;; amdgpu-corpus repo=ROCm/rocSPARSE kind=compiled arch=gfx950 opt=O3
	.amdgcn_target "amdgcn-amd-amdhsa--gfx950"
	.amdhsa_code_object_version 6
	.section	.text._ZN9rocsparseL38csrgemm_numeric_fill_wf_per_row_kernelILj256ELj8ELj16ELj137EiifEEvT4_S1_PKS1_S3_NS_24const_host_device_scalarIT5_EEPKT3_S3_PKS5_S9_S3_SB_S6_S9_S3_SB_S9_S3_PS5_21rocsparse_index_base_SD_SD_SD_bbb,"axG",@progbits,_ZN9rocsparseL38csrgemm_numeric_fill_wf_per_row_kernelILj256ELj8ELj16ELj137EiifEEvT4_S1_PKS1_S3_NS_24const_host_device_scalarIT5_EEPKT3_S3_PKS5_S9_S3_SB_S6_S9_S3_SB_S9_S3_PS5_21rocsparse_index_base_SD_SD_SD_bbb,comdat
	.globl	_ZN9rocsparseL38csrgemm_numeric_fill_wf_per_row_kernelILj256ELj8ELj16ELj137EiifEEvT4_S1_PKS1_S3_NS_24const_host_device_scalarIT5_EEPKT3_S3_PKS5_S9_S3_SB_S6_S9_S3_SB_S9_S3_PS5_21rocsparse_index_base_SD_SD_SD_bbb ; -- Begin function _ZN9rocsparseL38csrgemm_numeric_fill_wf_per_row_kernelILj256ELj8ELj16ELj137EiifEEvT4_S1_PKS1_S3_NS_24const_host_device_scalarIT5_EEPKT3_S3_PKS5_S9_S3_SB_S6_S9_S3_SB_S9_S3_PS5_21rocsparse_index_base_SD_SD_SD_bbb
	.p2align	8
	.type	_ZN9rocsparseL38csrgemm_numeric_fill_wf_per_row_kernelILj256ELj8ELj16ELj137EiifEEvT4_S1_PKS1_S3_NS_24const_host_device_scalarIT5_EEPKT3_S3_PKS5_S9_S3_SB_S6_S9_S3_SB_S9_S3_PS5_21rocsparse_index_base_SD_SD_SD_bbb,@function
_ZN9rocsparseL38csrgemm_numeric_fill_wf_per_row_kernelILj256ELj8ELj16ELj137EiifEEvT4_S1_PKS1_S3_NS_24const_host_device_scalarIT5_EEPKT3_S3_PKS5_S9_S3_SB_S6_S9_S3_SB_S9_S3_PS5_21rocsparse_index_base_SD_SD_SD_bbb: ; @_ZN9rocsparseL38csrgemm_numeric_fill_wf_per_row_kernelILj256ELj8ELj16ELj137EiifEEvT4_S1_PKS1_S3_NS_24const_host_device_scalarIT5_EEPKT3_S3_PKS5_S9_S3_SB_S6_S9_S3_SB_S9_S3_PS5_21rocsparse_index_base_SD_SD_SD_bbb
; %bb.0:
	s_load_dword s3, s[0:1], 0x98
	s_load_dwordx4 s[16:19], s[0:1], 0x88
	s_load_dwordx2 s[4:5], s[0:1], 0x18
	s_load_dwordx2 s[20:21], s[0:1], 0x50
	s_waitcnt lgkmcnt(0)
	s_bitcmp1_b32 s3, 0
	s_cselect_b64 s[6:7], -1, 0
	s_bitcmp1_b32 s3, 16
	s_cselect_b64 s[22:23], -1, 0
	s_xor_b64 s[8:9], s[6:7], -1
	s_or_b64 s[8:9], s[22:23], s[8:9]
	s_and_b64 vcc, exec, s[8:9]
	s_cbranch_vccnz .LBB0_2
; %bb.1:
	s_load_dword s4, s[4:5], 0x0
	s_waitcnt lgkmcnt(0)
	v_mov_b32_e32 v11, s4
	s_branch .LBB0_3
.LBB0_2:
	v_mov_b32_e32 v1, s4
	v_cndmask_b32_e64 v11, 0, v1, s[6:7]
.LBB0_3:
	s_load_dwordx2 s[34:35], s[0:1], 0x80
	s_load_dwordx2 s[38:39], s[0:1], 0x70
	;; [unrolled: 1-line block ×3, first 2 shown]
	s_load_dwordx4 s[28:31], s[0:1], 0x8
	s_load_dwordx8 s[8:15], s[0:1], 0x20
	s_bitcmp1_b32 s3, 8
	s_cselect_b64 s[4:5], -1, 0
	s_xor_b64 s[24:25], s[4:5], -1
	s_or_b64 s[22:23], s[22:23], s[24:25]
	s_and_b64 vcc, exec, s[22:23]
	s_cbranch_vccnz .LBB0_5
; %bb.4:
	s_load_dword s3, s[20:21], 0x0
	s_waitcnt lgkmcnt(0)
	v_mov_b32_e32 v9, s3
	s_branch .LBB0_6
.LBB0_5:
	v_mov_b32_e32 v1, s20
	v_cndmask_b32_e64 v9, 0, v1, s[4:5]
.LBB0_6:
	s_load_dwordx4 s[20:23], s[0:1], 0x60
	s_load_dwordx4 s[24:27], s[0:1], 0x40
	s_load_dwordx2 s[36:37], s[0:1], 0x0
	v_and_b32_e32 v12, 7, v0
	v_lshrrev_b32_e32 v1, 3, v0
	v_lshlrev_b32_e32 v0, 2, v12
	v_or_b32_e32 v6, -8, v12
	v_lshl_or_b32 v7, v1, 6, v0
	s_mov_b64 s[0:1], 0
	s_waitcnt lgkmcnt(0)
	v_mov_b32_e32 v0, s37
	v_mov_b32_e32 v2, 0
	;; [unrolled: 1-line block ×4, first 2 shown]
.LBB0_7:                                ; =>This Inner Loop Header: Depth=1
	v_add_co_u32_e32 v4, vcc, 8, v4
	s_xor_b64 s[42:43], vcc, -1
	s_and_b64 s[42:43], exec, s[42:43]
	ds_write2st64_b32 v3, v2, v0 offset1:8
	s_or_b64 s[0:1], s[42:43], s[0:1]
	v_add_u32_e32 v3, 32, v3
	s_andn2_b64 exec, exec, s[0:1]
	s_cbranch_execnz .LBB0_7
; %bb.8:
	s_or_b64 exec, exec, s[0:1]
	s_lshl_b32 s0, s2, 5
	s_and_b32 s0, s0, 0x1fffffe0
	v_or_b32_e32 v0, s0, v1
	v_cmp_gt_i32_e32 vcc, s36, v0
	s_waitcnt lgkmcnt(0)
	s_and_saveexec_b64 s[0:1], vcc
	s_cbranch_execz .LBB0_48
; %bb.9:
	s_cmp_eq_u64 s[30:31], 0
	s_cbranch_scc1 .LBB0_11
; %bb.10:
	s_load_dword s0, s[28:29], 0x0
	s_waitcnt lgkmcnt(0)
	v_add_u32_e32 v2, s0, v0
	v_ashrrev_i32_e32 v3, 31, v2
	v_lshl_add_u64 v[2:3], v[2:3], 2, s[30:31]
	global_load_dword v0, v[2:3], off
.LBB0_11:
	v_lshlrev_b32_e32 v10, 6, v1
	v_or_b32_e32 v8, 0x800, v10
	s_andn2_b64 vcc, exec, s[6:7]
	s_waitcnt vmcnt(0)
	v_ashrrev_i32_e32 v1, 31, v0
	s_cbranch_vccnz .LBB0_29
; %bb.12:
	v_lshl_add_u64 v[2:3], v[0:1], 2, s[8:9]
	global_load_dwordx2 v[2:3], v[2:3], off
	v_subrev_u32_e32 v4, s16, v12
	s_waitcnt vmcnt(0)
	v_subrev_u32_e32 v13, s16, v3
	v_add_u32_e32 v2, v2, v4
	v_cmp_lt_i32_e32 vcc, v2, v13
	s_and_saveexec_b64 s[0:1], vcc
	s_cbranch_execz .LBB0_28
; %bb.13:
	s_mov_b64 s[2:3], 0
	s_branch .LBB0_15
.LBB0_14:                               ;   in Loop: Header=BB0_15 Depth=1
	s_or_b64 exec, exec, s[6:7]
	v_add_u32_e32 v2, 8, v2
	v_cmp_ge_i32_e32 vcc, v2, v13
	s_or_b64 s[2:3], vcc, s[2:3]
	s_andn2_b64 exec, exec, s[2:3]
	s_cbranch_execz .LBB0_28
.LBB0_15:                               ; =>This Loop Header: Depth=1
                                        ;     Child Loop BB0_19 Depth 2
                                        ;       Child Loop BB0_22 Depth 3
	v_ashrrev_i32_e32 v3, 31, v2
	v_lshl_add_u64 v[4:5], v[2:3], 2, s[10:11]
	global_load_dword v4, v[4:5], off
	s_waitcnt vmcnt(0)
	v_subrev_u32_e32 v4, s16, v4
	v_ashrrev_i32_e32 v5, 31, v4
	v_lshl_add_u64 v[4:5], v[4:5], 2, s[14:15]
	global_load_dwordx2 v[4:5], v[4:5], off
	s_waitcnt vmcnt(0)
	v_cmp_lt_i32_e32 vcc, v4, v5
	s_and_saveexec_b64 s[6:7], vcc
	s_cbranch_execz .LBB0_14
; %bb.16:                               ;   in Loop: Header=BB0_15 Depth=1
	v_lshl_add_u64 v[14:15], v[2:3], 2, s[12:13]
	global_load_dword v14, v[14:15], off
	v_subrev_u32_e32 v3, s17, v5
	v_subrev_u32_e32 v4, s17, v4
	s_mov_b64 s[8:9], 0
	s_waitcnt vmcnt(0)
	v_mul_f32_e32 v14, v11, v14
	s_branch .LBB0_19
.LBB0_17:                               ;   in Loop: Header=BB0_19 Depth=2
	s_or_b64 exec, exec, s[30:31]
.LBB0_18:                               ;   in Loop: Header=BB0_19 Depth=2
	s_or_b64 exec, exec, s[28:29]
	s_waitcnt vmcnt(0)
	v_mul_f32_e32 v5, v14, v5
	v_lshl_add_u32 v15, v15, 2, v10
	ds_add_f32 v15, v5
	v_add_u32_e32 v4, 1, v4
	v_cmp_ge_i32_e32 vcc, v4, v3
	s_or_b64 s[8:9], vcc, s[8:9]
	s_andn2_b64 exec, exec, s[8:9]
	s_cbranch_execz .LBB0_14
.LBB0_19:                               ;   Parent Loop BB0_15 Depth=1
                                        ; =>  This Loop Header: Depth=2
                                        ;       Child Loop BB0_22 Depth 3
	v_ashrrev_i32_e32 v5, 31, v4
	v_lshlrev_b64 v[16:17], 2, v[4:5]
	v_lshl_add_u64 v[18:19], s[24:25], 0, v[16:17]
	global_load_dword v15, v[18:19], off
	v_lshl_add_u64 v[16:17], s[26:27], 0, v[16:17]
	global_load_dword v5, v[16:17], off
	s_waitcnt vmcnt(1)
	v_subrev_u32_e32 v16, s17, v15
	v_lshl_add_u32 v15, v16, 3, v16
	v_and_b32_e32 v15, 15, v15
	v_lshl_add_u32 v17, v15, 2, v8
	ds_read_b32 v18, v17
	s_waitcnt lgkmcnt(0)
	v_cmp_ne_u32_e32 vcc, v18, v16
	s_and_saveexec_b64 s[28:29], vcc
	s_cbranch_execz .LBB0_18
; %bb.20:                               ;   in Loop: Header=BB0_19 Depth=2
	s_mov_b64 s[30:31], 0
	s_branch .LBB0_22
.LBB0_21:                               ;   in Loop: Header=BB0_22 Depth=3
	s_or_b64 exec, exec, s[46:47]
	s_and_b64 s[42:43], exec, s[44:45]
	s_or_b64 s[30:31], s[42:43], s[30:31]
	s_andn2_b64 exec, exec, s[30:31]
	s_cbranch_execz .LBB0_17
.LBB0_22:                               ;   Parent Loop BB0_15 Depth=1
                                        ;     Parent Loop BB0_19 Depth=2
                                        ; =>    This Inner Loop Header: Depth=3
	v_cmp_ne_u32_e32 vcc, s37, v18
	s_mov_b64 s[42:43], 0
	s_and_saveexec_b64 s[44:45], vcc
	s_xor_b64 s[44:45], exec, s[44:45]
	s_cbranch_execz .LBB0_24
; %bb.23:                               ;   in Loop: Header=BB0_22 Depth=3
	v_add_u32_e32 v15, 1, v15
	s_mov_b64 s[42:43], exec
	v_and_b32_e32 v15, 15, v15
                                        ; implicit-def: $vgpr17
	s_andn2_saveexec_b64 s[44:45], s[44:45]
	s_cbranch_execz .LBB0_26
	s_branch .LBB0_25
.LBB0_24:                               ;   in Loop: Header=BB0_22 Depth=3
	s_andn2_saveexec_b64 s[44:45], s[44:45]
	s_cbranch_execz .LBB0_26
.LBB0_25:                               ;   in Loop: Header=BB0_22 Depth=3
	v_mov_b32_e32 v18, s37
	ds_cmpst_rtn_b32 v17, v17, v18, v16
	s_andn2_b64 s[42:43], s[42:43], exec
	s_waitcnt lgkmcnt(0)
	v_cmp_ne_u32_e32 vcc, s37, v17
	s_and_b64 s[46:47], vcc, exec
	s_or_b64 s[42:43], s[42:43], s[46:47]
.LBB0_26:                               ;   in Loop: Header=BB0_22 Depth=3
	s_or_b64 exec, exec, s[44:45]
	s_mov_b64 s[44:45], -1
                                        ; implicit-def: $vgpr17
                                        ; implicit-def: $vgpr18
	s_and_saveexec_b64 s[46:47], s[42:43]
	s_cbranch_execz .LBB0_21
; %bb.27:                               ;   in Loop: Header=BB0_22 Depth=3
	v_lshl_add_u32 v17, v15, 2, v8
	ds_read_b32 v18, v17
	s_waitcnt lgkmcnt(0)
	v_cmp_eq_u32_e32 vcc, v18, v16
	s_orn2_b64 s[44:45], vcc, exec
	s_branch .LBB0_21
.LBB0_28:
	s_or_b64 exec, exec, s[0:1]
.LBB0_29:
	s_andn2_b64 vcc, exec, s[4:5]
	s_cbranch_vccnz .LBB0_44
; %bb.30:
	v_lshl_add_u64 v[2:3], v[0:1], 2, s[40:41]
	global_load_dwordx2 v[2:3], v[2:3], off
	v_subrev_u32_e32 v5, s19, v12
	s_waitcnt vmcnt(0)
	v_subrev_u32_e32 v4, s19, v3
	v_add_u32_e32 v2, v2, v5
	v_cmp_lt_i32_e32 vcc, v2, v4
	s_and_saveexec_b64 s[0:1], vcc
	s_cbranch_execz .LBB0_43
; %bb.31:
	s_mov_b64 s[2:3], 0
	s_branch .LBB0_34
.LBB0_32:                               ;   in Loop: Header=BB0_34 Depth=1
	s_or_b64 exec, exec, s[6:7]
.LBB0_33:                               ;   in Loop: Header=BB0_34 Depth=1
	s_or_b64 exec, exec, s[4:5]
	s_waitcnt vmcnt(0)
	v_mul_f32_e32 v3, v9, v3
	v_lshl_add_u32 v5, v5, 2, v10
	ds_add_f32 v5, v3
	v_add_u32_e32 v2, 8, v2
	v_cmp_ge_i32_e32 vcc, v2, v4
	s_or_b64 s[2:3], vcc, s[2:3]
	s_andn2_b64 exec, exec, s[2:3]
	s_cbranch_execz .LBB0_43
.LBB0_34:                               ; =>This Loop Header: Depth=1
                                        ;     Child Loop BB0_37 Depth 2
	v_ashrrev_i32_e32 v3, 31, v2
	v_lshlrev_b64 v[12:13], 2, v[2:3]
	v_lshl_add_u64 v[14:15], s[20:21], 0, v[12:13]
	global_load_dword v5, v[14:15], off
	v_lshl_add_u64 v[12:13], s[22:23], 0, v[12:13]
	global_load_dword v3, v[12:13], off
	s_waitcnt vmcnt(1)
	v_subrev_u32_e32 v11, s19, v5
	v_lshl_add_u32 v5, v11, 3, v11
	v_and_b32_e32 v5, 15, v5
	v_lshl_add_u32 v12, v5, 2, v8
	ds_read_b32 v13, v12
	s_waitcnt lgkmcnt(0)
	v_cmp_ne_u32_e32 vcc, v13, v11
	s_and_saveexec_b64 s[4:5], vcc
	s_cbranch_execz .LBB0_33
; %bb.35:                               ;   in Loop: Header=BB0_34 Depth=1
	s_mov_b64 s[6:7], 0
	s_branch .LBB0_37
.LBB0_36:                               ;   in Loop: Header=BB0_37 Depth=2
	s_or_b64 exec, exec, s[12:13]
	s_and_b64 s[8:9], exec, s[10:11]
	s_or_b64 s[6:7], s[8:9], s[6:7]
	s_andn2_b64 exec, exec, s[6:7]
	s_cbranch_execz .LBB0_32
.LBB0_37:                               ;   Parent Loop BB0_34 Depth=1
                                        ; =>  This Inner Loop Header: Depth=2
	v_cmp_ne_u32_e32 vcc, s37, v13
	s_mov_b64 s[8:9], 0
	s_and_saveexec_b64 s[10:11], vcc
	s_xor_b64 s[10:11], exec, s[10:11]
	s_cbranch_execz .LBB0_39
; %bb.38:                               ;   in Loop: Header=BB0_37 Depth=2
	v_add_u32_e32 v5, 1, v5
	s_mov_b64 s[8:9], exec
	v_and_b32_e32 v5, 15, v5
                                        ; implicit-def: $vgpr12
	s_andn2_saveexec_b64 s[10:11], s[10:11]
	s_cbranch_execz .LBB0_41
	s_branch .LBB0_40
.LBB0_39:                               ;   in Loop: Header=BB0_37 Depth=2
	s_andn2_saveexec_b64 s[10:11], s[10:11]
	s_cbranch_execz .LBB0_41
.LBB0_40:                               ;   in Loop: Header=BB0_37 Depth=2
	v_mov_b32_e32 v13, s37
	ds_cmpst_rtn_b32 v12, v12, v13, v11
	s_andn2_b64 s[8:9], s[8:9], exec
	s_waitcnt lgkmcnt(0)
	v_cmp_ne_u32_e32 vcc, s37, v12
	s_and_b64 s[12:13], vcc, exec
	s_or_b64 s[8:9], s[8:9], s[12:13]
.LBB0_41:                               ;   in Loop: Header=BB0_37 Depth=2
	s_or_b64 exec, exec, s[10:11]
	s_mov_b64 s[10:11], -1
                                        ; implicit-def: $vgpr12
                                        ; implicit-def: $vgpr13
	s_and_saveexec_b64 s[12:13], s[8:9]
	s_cbranch_execz .LBB0_36
; %bb.42:                               ;   in Loop: Header=BB0_37 Depth=2
	v_lshl_add_u32 v12, v5, 2, v8
	ds_read_b32 v13, v12
	s_waitcnt lgkmcnt(0)
	v_cmp_eq_u32_e32 vcc, v13, v11
	s_orn2_b64 s[10:11], vcc, exec
	s_branch .LBB0_36
.LBB0_43:
	s_or_b64 exec, exec, s[0:1]
.LBB0_44:
	v_lshl_add_u64 v[0:1], v[0:1], 2, s[38:39]
	s_waitcnt lgkmcnt(0)
	global_load_dword v0, v[0:1], off
	s_mov_b64 s[0:1], 0
	s_waitcnt vmcnt(0)
	v_subrev_u32_e32 v0, s18, v0
	s_branch .LBB0_46
.LBB0_45:                               ;   in Loop: Header=BB0_46 Depth=1
	s_or_b64 exec, exec, s[2:3]
	v_add_co_u32_e32 v6, vcc, 8, v6
	s_xor_b64 s[2:3], vcc, -1
	s_and_b64 s[2:3], exec, s[2:3]
	s_or_b64 s[0:1], s[2:3], s[0:1]
	v_add_u32_e32 v7, 32, v7
	s_andn2_b64 exec, exec, s[0:1]
	s_cbranch_execz .LBB0_48
.LBB0_46:                               ; =>This Inner Loop Header: Depth=1
	ds_read_b32 v1, v7 offset:2048
	s_waitcnt lgkmcnt(0)
	v_cmp_gt_i32_e32 vcc, s37, v1
	s_and_saveexec_b64 s[2:3], vcc
	s_cbranch_execz .LBB0_45
; %bb.47:                               ;   in Loop: Header=BB0_46 Depth=1
	ds_read_b128 v[2:5], v8
	ds_read_b128 v[10:13], v8 offset:16
	ds_read_b128 v[14:17], v8 offset:32
	;; [unrolled: 1-line block ×3, first 2 shown]
	s_waitcnt lgkmcnt(3)
	v_cmp_gt_i32_e32 vcc, v1, v2
	s_nop 1
	v_cndmask_b32_e64 v2, 0, 1, vcc
	v_cmp_gt_i32_e32 vcc, v1, v3
	s_nop 1
	v_addc_co_u32_e32 v2, vcc, v0, v2, vcc
	v_cmp_gt_i32_e32 vcc, v1, v4
	ds_read_b32 v4, v7
	s_nop 0
	v_cndmask_b32_e64 v3, 0, 1, vcc
	v_cmp_gt_i32_e32 vcc, v1, v5
	s_nop 1
	v_addc_co_u32_e32 v2, vcc, v2, v3, vcc
	s_waitcnt lgkmcnt(3)
	v_cmp_gt_i32_e32 vcc, v1, v10
	s_nop 1
	v_cndmask_b32_e64 v3, 0, 1, vcc
	v_cmp_gt_i32_e32 vcc, v1, v11
	s_nop 1
	v_addc_co_u32_e32 v2, vcc, v2, v3, vcc
	v_cmp_gt_i32_e32 vcc, v1, v12
	s_nop 1
	v_cndmask_b32_e64 v3, 0, 1, vcc
	v_cmp_gt_i32_e32 vcc, v1, v13
	s_nop 1
	v_addc_co_u32_e32 v2, vcc, v2, v3, vcc
	s_waitcnt lgkmcnt(2)
	v_cmp_gt_i32_e32 vcc, v1, v14
	s_nop 1
	v_cndmask_b32_e64 v3, 0, 1, vcc
	v_cmp_gt_i32_e32 vcc, v1, v15
	s_nop 1
	v_addc_co_u32_e32 v2, vcc, v2, v3, vcc
	v_cmp_gt_i32_e32 vcc, v1, v16
	;; [unrolled: 13-line block ×3, first 2 shown]
	s_nop 1
	v_cndmask_b32_e64 v3, 0, 1, vcc
	v_cmp_gt_i32_e32 vcc, v1, v21
	s_nop 1
	v_addc_co_u32_e32 v2, vcc, v2, v3, vcc
	v_ashrrev_i32_e32 v3, 31, v2
	v_lshl_add_u64 v[2:3], v[2:3], 2, s[34:35]
	s_waitcnt lgkmcnt(0)
	global_store_dword v[2:3], v4, off
	s_branch .LBB0_45
.LBB0_48:
	s_endpgm
	.section	.rodata,"a",@progbits
	.p2align	6, 0x0
	.amdhsa_kernel _ZN9rocsparseL38csrgemm_numeric_fill_wf_per_row_kernelILj256ELj8ELj16ELj137EiifEEvT4_S1_PKS1_S3_NS_24const_host_device_scalarIT5_EEPKT3_S3_PKS5_S9_S3_SB_S6_S9_S3_SB_S9_S3_PS5_21rocsparse_index_base_SD_SD_SD_bbb
		.amdhsa_group_segment_fixed_size 4096
		.amdhsa_private_segment_fixed_size 0
		.amdhsa_kernarg_size 156
		.amdhsa_user_sgpr_count 2
		.amdhsa_user_sgpr_dispatch_ptr 0
		.amdhsa_user_sgpr_queue_ptr 0
		.amdhsa_user_sgpr_kernarg_segment_ptr 1
		.amdhsa_user_sgpr_dispatch_id 0
		.amdhsa_user_sgpr_kernarg_preload_length 0
		.amdhsa_user_sgpr_kernarg_preload_offset 0
		.amdhsa_user_sgpr_private_segment_size 0
		.amdhsa_uses_dynamic_stack 0
		.amdhsa_enable_private_segment 0
		.amdhsa_system_sgpr_workgroup_id_x 1
		.amdhsa_system_sgpr_workgroup_id_y 0
		.amdhsa_system_sgpr_workgroup_id_z 0
		.amdhsa_system_sgpr_workgroup_info 0
		.amdhsa_system_vgpr_workitem_id 0
		.amdhsa_next_free_vgpr 22
		.amdhsa_next_free_sgpr 48
		.amdhsa_accum_offset 24
		.amdhsa_reserve_vcc 1
		.amdhsa_float_round_mode_32 0
		.amdhsa_float_round_mode_16_64 0
		.amdhsa_float_denorm_mode_32 3
		.amdhsa_float_denorm_mode_16_64 3
		.amdhsa_dx10_clamp 1
		.amdhsa_ieee_mode 1
		.amdhsa_fp16_overflow 0
		.amdhsa_tg_split 0
		.amdhsa_exception_fp_ieee_invalid_op 0
		.amdhsa_exception_fp_denorm_src 0
		.amdhsa_exception_fp_ieee_div_zero 0
		.amdhsa_exception_fp_ieee_overflow 0
		.amdhsa_exception_fp_ieee_underflow 0
		.amdhsa_exception_fp_ieee_inexact 0
		.amdhsa_exception_int_div_zero 0
	.end_amdhsa_kernel
	.section	.text._ZN9rocsparseL38csrgemm_numeric_fill_wf_per_row_kernelILj256ELj8ELj16ELj137EiifEEvT4_S1_PKS1_S3_NS_24const_host_device_scalarIT5_EEPKT3_S3_PKS5_S9_S3_SB_S6_S9_S3_SB_S9_S3_PS5_21rocsparse_index_base_SD_SD_SD_bbb,"axG",@progbits,_ZN9rocsparseL38csrgemm_numeric_fill_wf_per_row_kernelILj256ELj8ELj16ELj137EiifEEvT4_S1_PKS1_S3_NS_24const_host_device_scalarIT5_EEPKT3_S3_PKS5_S9_S3_SB_S6_S9_S3_SB_S9_S3_PS5_21rocsparse_index_base_SD_SD_SD_bbb,comdat
.Lfunc_end0:
	.size	_ZN9rocsparseL38csrgemm_numeric_fill_wf_per_row_kernelILj256ELj8ELj16ELj137EiifEEvT4_S1_PKS1_S3_NS_24const_host_device_scalarIT5_EEPKT3_S3_PKS5_S9_S3_SB_S6_S9_S3_SB_S9_S3_PS5_21rocsparse_index_base_SD_SD_SD_bbb, .Lfunc_end0-_ZN9rocsparseL38csrgemm_numeric_fill_wf_per_row_kernelILj256ELj8ELj16ELj137EiifEEvT4_S1_PKS1_S3_NS_24const_host_device_scalarIT5_EEPKT3_S3_PKS5_S9_S3_SB_S6_S9_S3_SB_S9_S3_PS5_21rocsparse_index_base_SD_SD_SD_bbb
                                        ; -- End function
	.set _ZN9rocsparseL38csrgemm_numeric_fill_wf_per_row_kernelILj256ELj8ELj16ELj137EiifEEvT4_S1_PKS1_S3_NS_24const_host_device_scalarIT5_EEPKT3_S3_PKS5_S9_S3_SB_S6_S9_S3_SB_S9_S3_PS5_21rocsparse_index_base_SD_SD_SD_bbb.num_vgpr, 22
	.set _ZN9rocsparseL38csrgemm_numeric_fill_wf_per_row_kernelILj256ELj8ELj16ELj137EiifEEvT4_S1_PKS1_S3_NS_24const_host_device_scalarIT5_EEPKT3_S3_PKS5_S9_S3_SB_S6_S9_S3_SB_S9_S3_PS5_21rocsparse_index_base_SD_SD_SD_bbb.num_agpr, 0
	.set _ZN9rocsparseL38csrgemm_numeric_fill_wf_per_row_kernelILj256ELj8ELj16ELj137EiifEEvT4_S1_PKS1_S3_NS_24const_host_device_scalarIT5_EEPKT3_S3_PKS5_S9_S3_SB_S6_S9_S3_SB_S9_S3_PS5_21rocsparse_index_base_SD_SD_SD_bbb.numbered_sgpr, 48
	.set _ZN9rocsparseL38csrgemm_numeric_fill_wf_per_row_kernelILj256ELj8ELj16ELj137EiifEEvT4_S1_PKS1_S3_NS_24const_host_device_scalarIT5_EEPKT3_S3_PKS5_S9_S3_SB_S6_S9_S3_SB_S9_S3_PS5_21rocsparse_index_base_SD_SD_SD_bbb.num_named_barrier, 0
	.set _ZN9rocsparseL38csrgemm_numeric_fill_wf_per_row_kernelILj256ELj8ELj16ELj137EiifEEvT4_S1_PKS1_S3_NS_24const_host_device_scalarIT5_EEPKT3_S3_PKS5_S9_S3_SB_S6_S9_S3_SB_S9_S3_PS5_21rocsparse_index_base_SD_SD_SD_bbb.private_seg_size, 0
	.set _ZN9rocsparseL38csrgemm_numeric_fill_wf_per_row_kernelILj256ELj8ELj16ELj137EiifEEvT4_S1_PKS1_S3_NS_24const_host_device_scalarIT5_EEPKT3_S3_PKS5_S9_S3_SB_S6_S9_S3_SB_S9_S3_PS5_21rocsparse_index_base_SD_SD_SD_bbb.uses_vcc, 1
	.set _ZN9rocsparseL38csrgemm_numeric_fill_wf_per_row_kernelILj256ELj8ELj16ELj137EiifEEvT4_S1_PKS1_S3_NS_24const_host_device_scalarIT5_EEPKT3_S3_PKS5_S9_S3_SB_S6_S9_S3_SB_S9_S3_PS5_21rocsparse_index_base_SD_SD_SD_bbb.uses_flat_scratch, 0
	.set _ZN9rocsparseL38csrgemm_numeric_fill_wf_per_row_kernelILj256ELj8ELj16ELj137EiifEEvT4_S1_PKS1_S3_NS_24const_host_device_scalarIT5_EEPKT3_S3_PKS5_S9_S3_SB_S6_S9_S3_SB_S9_S3_PS5_21rocsparse_index_base_SD_SD_SD_bbb.has_dyn_sized_stack, 0
	.set _ZN9rocsparseL38csrgemm_numeric_fill_wf_per_row_kernelILj256ELj8ELj16ELj137EiifEEvT4_S1_PKS1_S3_NS_24const_host_device_scalarIT5_EEPKT3_S3_PKS5_S9_S3_SB_S6_S9_S3_SB_S9_S3_PS5_21rocsparse_index_base_SD_SD_SD_bbb.has_recursion, 0
	.set _ZN9rocsparseL38csrgemm_numeric_fill_wf_per_row_kernelILj256ELj8ELj16ELj137EiifEEvT4_S1_PKS1_S3_NS_24const_host_device_scalarIT5_EEPKT3_S3_PKS5_S9_S3_SB_S6_S9_S3_SB_S9_S3_PS5_21rocsparse_index_base_SD_SD_SD_bbb.has_indirect_call, 0
	.section	.AMDGPU.csdata,"",@progbits
; Kernel info:
; codeLenInByte = 1680
; TotalNumSgprs: 54
; NumVgprs: 22
; NumAgprs: 0
; TotalNumVgprs: 22
; ScratchSize: 0
; MemoryBound: 0
; FloatMode: 240
; IeeeMode: 1
; LDSByteSize: 4096 bytes/workgroup (compile time only)
; SGPRBlocks: 6
; VGPRBlocks: 2
; NumSGPRsForWavesPerEU: 54
; NumVGPRsForWavesPerEU: 22
; AccumOffset: 24
; Occupancy: 8
; WaveLimiterHint : 1
; COMPUTE_PGM_RSRC2:SCRATCH_EN: 0
; COMPUTE_PGM_RSRC2:USER_SGPR: 2
; COMPUTE_PGM_RSRC2:TRAP_HANDLER: 0
; COMPUTE_PGM_RSRC2:TGID_X_EN: 1
; COMPUTE_PGM_RSRC2:TGID_Y_EN: 0
; COMPUTE_PGM_RSRC2:TGID_Z_EN: 0
; COMPUTE_PGM_RSRC2:TIDIG_COMP_CNT: 0
; COMPUTE_PGM_RSRC3_GFX90A:ACCUM_OFFSET: 5
; COMPUTE_PGM_RSRC3_GFX90A:TG_SPLIT: 0
	.section	.text._ZN9rocsparseL38csrgemm_numeric_fill_wf_per_row_kernelILj256ELj16ELj32ELj137EiifEEvT4_S1_PKS1_S3_NS_24const_host_device_scalarIT5_EEPKT3_S3_PKS5_S9_S3_SB_S6_S9_S3_SB_S9_S3_PS5_21rocsparse_index_base_SD_SD_SD_bbb,"axG",@progbits,_ZN9rocsparseL38csrgemm_numeric_fill_wf_per_row_kernelILj256ELj16ELj32ELj137EiifEEvT4_S1_PKS1_S3_NS_24const_host_device_scalarIT5_EEPKT3_S3_PKS5_S9_S3_SB_S6_S9_S3_SB_S9_S3_PS5_21rocsparse_index_base_SD_SD_SD_bbb,comdat
	.globl	_ZN9rocsparseL38csrgemm_numeric_fill_wf_per_row_kernelILj256ELj16ELj32ELj137EiifEEvT4_S1_PKS1_S3_NS_24const_host_device_scalarIT5_EEPKT3_S3_PKS5_S9_S3_SB_S6_S9_S3_SB_S9_S3_PS5_21rocsparse_index_base_SD_SD_SD_bbb ; -- Begin function _ZN9rocsparseL38csrgemm_numeric_fill_wf_per_row_kernelILj256ELj16ELj32ELj137EiifEEvT4_S1_PKS1_S3_NS_24const_host_device_scalarIT5_EEPKT3_S3_PKS5_S9_S3_SB_S6_S9_S3_SB_S9_S3_PS5_21rocsparse_index_base_SD_SD_SD_bbb
	.p2align	8
	.type	_ZN9rocsparseL38csrgemm_numeric_fill_wf_per_row_kernelILj256ELj16ELj32ELj137EiifEEvT4_S1_PKS1_S3_NS_24const_host_device_scalarIT5_EEPKT3_S3_PKS5_S9_S3_SB_S6_S9_S3_SB_S9_S3_PS5_21rocsparse_index_base_SD_SD_SD_bbb,@function
_ZN9rocsparseL38csrgemm_numeric_fill_wf_per_row_kernelILj256ELj16ELj32ELj137EiifEEvT4_S1_PKS1_S3_NS_24const_host_device_scalarIT5_EEPKT3_S3_PKS5_S9_S3_SB_S6_S9_S3_SB_S9_S3_PS5_21rocsparse_index_base_SD_SD_SD_bbb: ; @_ZN9rocsparseL38csrgemm_numeric_fill_wf_per_row_kernelILj256ELj16ELj32ELj137EiifEEvT4_S1_PKS1_S3_NS_24const_host_device_scalarIT5_EEPKT3_S3_PKS5_S9_S3_SB_S6_S9_S3_SB_S9_S3_PS5_21rocsparse_index_base_SD_SD_SD_bbb
; %bb.0:
	s_load_dword s3, s[0:1], 0x98
	s_load_dwordx4 s[16:19], s[0:1], 0x88
	s_load_dwordx2 s[4:5], s[0:1], 0x18
	s_load_dwordx2 s[20:21], s[0:1], 0x50
	s_waitcnt lgkmcnt(0)
	s_bitcmp1_b32 s3, 0
	s_cselect_b64 s[6:7], -1, 0
	s_bitcmp1_b32 s3, 16
	s_cselect_b64 s[22:23], -1, 0
	s_xor_b64 s[8:9], s[6:7], -1
	s_or_b64 s[8:9], s[22:23], s[8:9]
	s_and_b64 vcc, exec, s[8:9]
	s_cbranch_vccnz .LBB1_2
; %bb.1:
	s_load_dword s4, s[4:5], 0x0
	s_waitcnt lgkmcnt(0)
	v_mov_b32_e32 v11, s4
	s_branch .LBB1_3
.LBB1_2:
	v_mov_b32_e32 v1, s4
	v_cndmask_b32_e64 v11, 0, v1, s[6:7]
.LBB1_3:
	s_load_dwordx2 s[34:35], s[0:1], 0x80
	s_load_dwordx2 s[38:39], s[0:1], 0x70
	s_load_dwordx2 s[40:41], s[0:1], 0x58
	s_load_dwordx4 s[28:31], s[0:1], 0x8
	s_load_dwordx8 s[8:15], s[0:1], 0x20
	s_bitcmp1_b32 s3, 8
	s_cselect_b64 s[4:5], -1, 0
	s_xor_b64 s[24:25], s[4:5], -1
	s_or_b64 s[22:23], s[22:23], s[24:25]
	s_and_b64 vcc, exec, s[22:23]
	s_cbranch_vccnz .LBB1_5
; %bb.4:
	s_load_dword s3, s[20:21], 0x0
	s_waitcnt lgkmcnt(0)
	v_mov_b32_e32 v9, s3
	s_branch .LBB1_6
.LBB1_5:
	v_mov_b32_e32 v1, s20
	v_cndmask_b32_e64 v9, 0, v1, s[4:5]
.LBB1_6:
	s_load_dwordx4 s[20:23], s[0:1], 0x60
	s_load_dwordx4 s[24:27], s[0:1], 0x40
	s_load_dwordx2 s[36:37], s[0:1], 0x0
	v_and_b32_e32 v12, 15, v0
	v_lshrrev_b32_e32 v1, 4, v0
	v_lshlrev_b32_e32 v0, 2, v12
	v_or_b32_e32 v6, -16, v12
	v_lshl_or_b32 v7, v1, 7, v0
	s_mov_b64 s[0:1], 0
	s_waitcnt lgkmcnt(0)
	v_mov_b32_e32 v0, s37
	v_mov_b32_e32 v2, 0
	;; [unrolled: 1-line block ×4, first 2 shown]
.LBB1_7:                                ; =>This Inner Loop Header: Depth=1
	v_add_co_u32_e32 v4, vcc, 16, v4
	s_xor_b64 s[42:43], vcc, -1
	s_and_b64 s[42:43], exec, s[42:43]
	ds_write2st64_b32 v3, v2, v0 offset1:8
	s_or_b64 s[0:1], s[42:43], s[0:1]
	v_add_u32_e32 v3, 64, v3
	s_andn2_b64 exec, exec, s[0:1]
	s_cbranch_execnz .LBB1_7
; %bb.8:
	s_or_b64 exec, exec, s[0:1]
	s_lshl_b32 s0, s2, 4
	s_and_b32 s0, s0, 0xffffff0
	v_or_b32_e32 v0, s0, v1
	v_cmp_gt_i32_e32 vcc, s36, v0
	s_waitcnt lgkmcnt(0)
	s_and_saveexec_b64 s[0:1], vcc
	s_cbranch_execz .LBB1_48
; %bb.9:
	s_cmp_eq_u64 s[30:31], 0
	s_cbranch_scc1 .LBB1_11
; %bb.10:
	s_load_dword s0, s[28:29], 0x0
	s_waitcnt lgkmcnt(0)
	v_add_u32_e32 v2, s0, v0
	v_ashrrev_i32_e32 v3, 31, v2
	v_lshl_add_u64 v[2:3], v[2:3], 2, s[30:31]
	global_load_dword v0, v[2:3], off
.LBB1_11:
	v_lshlrev_b32_e32 v10, 7, v1
	v_or_b32_e32 v8, 0x800, v10
	s_andn2_b64 vcc, exec, s[6:7]
	s_waitcnt vmcnt(0)
	v_ashrrev_i32_e32 v1, 31, v0
	s_cbranch_vccnz .LBB1_29
; %bb.12:
	v_lshl_add_u64 v[2:3], v[0:1], 2, s[8:9]
	global_load_dwordx2 v[2:3], v[2:3], off
	v_subrev_u32_e32 v4, s16, v12
	s_waitcnt vmcnt(0)
	v_subrev_u32_e32 v13, s16, v3
	v_add_u32_e32 v2, v2, v4
	v_cmp_lt_i32_e32 vcc, v2, v13
	s_and_saveexec_b64 s[0:1], vcc
	s_cbranch_execz .LBB1_28
; %bb.13:
	s_mov_b64 s[2:3], 0
	s_branch .LBB1_15
.LBB1_14:                               ;   in Loop: Header=BB1_15 Depth=1
	s_or_b64 exec, exec, s[6:7]
	v_add_u32_e32 v2, 16, v2
	v_cmp_ge_i32_e32 vcc, v2, v13
	s_or_b64 s[2:3], vcc, s[2:3]
	s_andn2_b64 exec, exec, s[2:3]
	s_cbranch_execz .LBB1_28
.LBB1_15:                               ; =>This Loop Header: Depth=1
                                        ;     Child Loop BB1_19 Depth 2
                                        ;       Child Loop BB1_22 Depth 3
	v_ashrrev_i32_e32 v3, 31, v2
	v_lshl_add_u64 v[4:5], v[2:3], 2, s[10:11]
	global_load_dword v4, v[4:5], off
	s_waitcnt vmcnt(0)
	v_subrev_u32_e32 v4, s16, v4
	v_ashrrev_i32_e32 v5, 31, v4
	v_lshl_add_u64 v[4:5], v[4:5], 2, s[14:15]
	global_load_dwordx2 v[4:5], v[4:5], off
	s_waitcnt vmcnt(0)
	v_cmp_lt_i32_e32 vcc, v4, v5
	s_and_saveexec_b64 s[6:7], vcc
	s_cbranch_execz .LBB1_14
; %bb.16:                               ;   in Loop: Header=BB1_15 Depth=1
	v_lshl_add_u64 v[14:15], v[2:3], 2, s[12:13]
	global_load_dword v14, v[14:15], off
	v_subrev_u32_e32 v3, s17, v5
	v_subrev_u32_e32 v4, s17, v4
	s_mov_b64 s[8:9], 0
	s_waitcnt vmcnt(0)
	v_mul_f32_e32 v14, v11, v14
	s_branch .LBB1_19
.LBB1_17:                               ;   in Loop: Header=BB1_19 Depth=2
	s_or_b64 exec, exec, s[30:31]
.LBB1_18:                               ;   in Loop: Header=BB1_19 Depth=2
	s_or_b64 exec, exec, s[28:29]
	s_waitcnt vmcnt(0)
	v_mul_f32_e32 v5, v14, v5
	v_lshl_add_u32 v15, v15, 2, v10
	ds_add_f32 v15, v5
	v_add_u32_e32 v4, 1, v4
	v_cmp_ge_i32_e32 vcc, v4, v3
	s_or_b64 s[8:9], vcc, s[8:9]
	s_andn2_b64 exec, exec, s[8:9]
	s_cbranch_execz .LBB1_14
.LBB1_19:                               ;   Parent Loop BB1_15 Depth=1
                                        ; =>  This Loop Header: Depth=2
                                        ;       Child Loop BB1_22 Depth 3
	v_ashrrev_i32_e32 v5, 31, v4
	v_lshlrev_b64 v[16:17], 2, v[4:5]
	v_lshl_add_u64 v[18:19], s[24:25], 0, v[16:17]
	global_load_dword v15, v[18:19], off
	v_lshl_add_u64 v[16:17], s[26:27], 0, v[16:17]
	global_load_dword v5, v[16:17], off
	s_waitcnt vmcnt(1)
	v_subrev_u32_e32 v16, s17, v15
	v_lshl_add_u32 v15, v16, 3, v16
	v_and_b32_e32 v15, 31, v15
	v_lshl_add_u32 v17, v15, 2, v8
	ds_read_b32 v18, v17
	s_waitcnt lgkmcnt(0)
	v_cmp_ne_u32_e32 vcc, v18, v16
	s_and_saveexec_b64 s[28:29], vcc
	s_cbranch_execz .LBB1_18
; %bb.20:                               ;   in Loop: Header=BB1_19 Depth=2
	s_mov_b64 s[30:31], 0
	s_branch .LBB1_22
.LBB1_21:                               ;   in Loop: Header=BB1_22 Depth=3
	s_or_b64 exec, exec, s[46:47]
	s_and_b64 s[42:43], exec, s[44:45]
	s_or_b64 s[30:31], s[42:43], s[30:31]
	s_andn2_b64 exec, exec, s[30:31]
	s_cbranch_execz .LBB1_17
.LBB1_22:                               ;   Parent Loop BB1_15 Depth=1
                                        ;     Parent Loop BB1_19 Depth=2
                                        ; =>    This Inner Loop Header: Depth=3
	v_cmp_ne_u32_e32 vcc, s37, v18
	s_mov_b64 s[42:43], 0
	s_and_saveexec_b64 s[44:45], vcc
	s_xor_b64 s[44:45], exec, s[44:45]
	s_cbranch_execz .LBB1_24
; %bb.23:                               ;   in Loop: Header=BB1_22 Depth=3
	v_add_u32_e32 v15, 1, v15
	s_mov_b64 s[42:43], exec
	v_and_b32_e32 v15, 31, v15
                                        ; implicit-def: $vgpr17
	s_andn2_saveexec_b64 s[44:45], s[44:45]
	s_cbranch_execz .LBB1_26
	s_branch .LBB1_25
.LBB1_24:                               ;   in Loop: Header=BB1_22 Depth=3
	s_andn2_saveexec_b64 s[44:45], s[44:45]
	s_cbranch_execz .LBB1_26
.LBB1_25:                               ;   in Loop: Header=BB1_22 Depth=3
	v_mov_b32_e32 v18, s37
	ds_cmpst_rtn_b32 v17, v17, v18, v16
	s_andn2_b64 s[42:43], s[42:43], exec
	s_waitcnt lgkmcnt(0)
	v_cmp_ne_u32_e32 vcc, s37, v17
	s_and_b64 s[46:47], vcc, exec
	s_or_b64 s[42:43], s[42:43], s[46:47]
.LBB1_26:                               ;   in Loop: Header=BB1_22 Depth=3
	s_or_b64 exec, exec, s[44:45]
	s_mov_b64 s[44:45], -1
                                        ; implicit-def: $vgpr17
                                        ; implicit-def: $vgpr18
	s_and_saveexec_b64 s[46:47], s[42:43]
	s_cbranch_execz .LBB1_21
; %bb.27:                               ;   in Loop: Header=BB1_22 Depth=3
	v_lshl_add_u32 v17, v15, 2, v8
	ds_read_b32 v18, v17
	s_waitcnt lgkmcnt(0)
	v_cmp_eq_u32_e32 vcc, v18, v16
	s_orn2_b64 s[44:45], vcc, exec
	s_branch .LBB1_21
.LBB1_28:
	s_or_b64 exec, exec, s[0:1]
.LBB1_29:
	s_andn2_b64 vcc, exec, s[4:5]
	s_cbranch_vccnz .LBB1_44
; %bb.30:
	v_lshl_add_u64 v[2:3], v[0:1], 2, s[40:41]
	global_load_dwordx2 v[2:3], v[2:3], off
	v_subrev_u32_e32 v5, s19, v12
	s_waitcnt vmcnt(0)
	v_subrev_u32_e32 v4, s19, v3
	v_add_u32_e32 v2, v2, v5
	v_cmp_lt_i32_e32 vcc, v2, v4
	s_and_saveexec_b64 s[0:1], vcc
	s_cbranch_execz .LBB1_43
; %bb.31:
	s_mov_b64 s[2:3], 0
	s_branch .LBB1_34
.LBB1_32:                               ;   in Loop: Header=BB1_34 Depth=1
	s_or_b64 exec, exec, s[6:7]
.LBB1_33:                               ;   in Loop: Header=BB1_34 Depth=1
	s_or_b64 exec, exec, s[4:5]
	s_waitcnt vmcnt(0)
	v_mul_f32_e32 v3, v9, v3
	v_lshl_add_u32 v5, v5, 2, v10
	ds_add_f32 v5, v3
	v_add_u32_e32 v2, 16, v2
	v_cmp_ge_i32_e32 vcc, v2, v4
	s_or_b64 s[2:3], vcc, s[2:3]
	s_andn2_b64 exec, exec, s[2:3]
	s_cbranch_execz .LBB1_43
.LBB1_34:                               ; =>This Loop Header: Depth=1
                                        ;     Child Loop BB1_37 Depth 2
	v_ashrrev_i32_e32 v3, 31, v2
	v_lshlrev_b64 v[12:13], 2, v[2:3]
	v_lshl_add_u64 v[14:15], s[20:21], 0, v[12:13]
	global_load_dword v5, v[14:15], off
	v_lshl_add_u64 v[12:13], s[22:23], 0, v[12:13]
	global_load_dword v3, v[12:13], off
	s_waitcnt vmcnt(1)
	v_subrev_u32_e32 v11, s19, v5
	v_lshl_add_u32 v5, v11, 3, v11
	v_and_b32_e32 v5, 31, v5
	v_lshl_add_u32 v12, v5, 2, v8
	ds_read_b32 v13, v12
	s_waitcnt lgkmcnt(0)
	v_cmp_ne_u32_e32 vcc, v13, v11
	s_and_saveexec_b64 s[4:5], vcc
	s_cbranch_execz .LBB1_33
; %bb.35:                               ;   in Loop: Header=BB1_34 Depth=1
	s_mov_b64 s[6:7], 0
	s_branch .LBB1_37
.LBB1_36:                               ;   in Loop: Header=BB1_37 Depth=2
	s_or_b64 exec, exec, s[12:13]
	s_and_b64 s[8:9], exec, s[10:11]
	s_or_b64 s[6:7], s[8:9], s[6:7]
	s_andn2_b64 exec, exec, s[6:7]
	s_cbranch_execz .LBB1_32
.LBB1_37:                               ;   Parent Loop BB1_34 Depth=1
                                        ; =>  This Inner Loop Header: Depth=2
	v_cmp_ne_u32_e32 vcc, s37, v13
	s_mov_b64 s[8:9], 0
	s_and_saveexec_b64 s[10:11], vcc
	s_xor_b64 s[10:11], exec, s[10:11]
	s_cbranch_execz .LBB1_39
; %bb.38:                               ;   in Loop: Header=BB1_37 Depth=2
	v_add_u32_e32 v5, 1, v5
	s_mov_b64 s[8:9], exec
	v_and_b32_e32 v5, 31, v5
                                        ; implicit-def: $vgpr12
	s_andn2_saveexec_b64 s[10:11], s[10:11]
	s_cbranch_execz .LBB1_41
	s_branch .LBB1_40
.LBB1_39:                               ;   in Loop: Header=BB1_37 Depth=2
	s_andn2_saveexec_b64 s[10:11], s[10:11]
	s_cbranch_execz .LBB1_41
.LBB1_40:                               ;   in Loop: Header=BB1_37 Depth=2
	v_mov_b32_e32 v13, s37
	ds_cmpst_rtn_b32 v12, v12, v13, v11
	s_andn2_b64 s[8:9], s[8:9], exec
	s_waitcnt lgkmcnt(0)
	v_cmp_ne_u32_e32 vcc, s37, v12
	s_and_b64 s[12:13], vcc, exec
	s_or_b64 s[8:9], s[8:9], s[12:13]
.LBB1_41:                               ;   in Loop: Header=BB1_37 Depth=2
	s_or_b64 exec, exec, s[10:11]
	s_mov_b64 s[10:11], -1
                                        ; implicit-def: $vgpr12
                                        ; implicit-def: $vgpr13
	s_and_saveexec_b64 s[12:13], s[8:9]
	s_cbranch_execz .LBB1_36
; %bb.42:                               ;   in Loop: Header=BB1_37 Depth=2
	v_lshl_add_u32 v12, v5, 2, v8
	ds_read_b32 v13, v12
	s_waitcnt lgkmcnt(0)
	v_cmp_eq_u32_e32 vcc, v13, v11
	s_orn2_b64 s[10:11], vcc, exec
	s_branch .LBB1_36
.LBB1_43:
	s_or_b64 exec, exec, s[0:1]
.LBB1_44:
	v_lshl_add_u64 v[0:1], v[0:1], 2, s[38:39]
	s_waitcnt lgkmcnt(0)
	global_load_dword v0, v[0:1], off
	s_mov_b64 s[0:1], 0
	s_waitcnt vmcnt(0)
	v_subrev_u32_e32 v0, s18, v0
	s_branch .LBB1_46
.LBB1_45:                               ;   in Loop: Header=BB1_46 Depth=1
	s_or_b64 exec, exec, s[2:3]
	v_add_co_u32_e32 v6, vcc, 16, v6
	s_xor_b64 s[2:3], vcc, -1
	s_and_b64 s[2:3], exec, s[2:3]
	s_or_b64 s[0:1], s[2:3], s[0:1]
	v_add_u32_e32 v7, 64, v7
	s_andn2_b64 exec, exec, s[0:1]
	s_cbranch_execz .LBB1_48
.LBB1_46:                               ; =>This Inner Loop Header: Depth=1
	ds_read_b32 v1, v7 offset:2048
	s_waitcnt lgkmcnt(0)
	v_cmp_gt_i32_e32 vcc, s37, v1
	s_and_saveexec_b64 s[2:3], vcc
	s_cbranch_execz .LBB1_45
; %bb.47:                               ;   in Loop: Header=BB1_46 Depth=1
	ds_read_b128 v[2:5], v8
	ds_read_b128 v[10:13], v8 offset:16
	ds_read_b128 v[14:17], v8 offset:32
	;; [unrolled: 1-line block ×3, first 2 shown]
	s_waitcnt lgkmcnt(3)
	v_cmp_gt_i32_e32 vcc, v1, v2
	s_nop 1
	v_cndmask_b32_e64 v2, 0, 1, vcc
	v_cmp_gt_i32_e32 vcc, v1, v3
	s_nop 1
	v_addc_co_u32_e32 v2, vcc, v0, v2, vcc
	v_cmp_gt_i32_e32 vcc, v1, v4
	s_nop 1
	v_cndmask_b32_e64 v3, 0, 1, vcc
	v_cmp_gt_i32_e32 vcc, v1, v5
	s_nop 1
	v_addc_co_u32_e32 v2, vcc, v2, v3, vcc
	s_waitcnt lgkmcnt(2)
	v_cmp_gt_i32_e32 vcc, v1, v10
	s_nop 1
	v_cndmask_b32_e64 v3, 0, 1, vcc
	v_cmp_gt_i32_e32 vcc, v1, v11
	s_nop 1
	v_addc_co_u32_e32 v2, vcc, v2, v3, vcc
	v_cmp_gt_i32_e32 vcc, v1, v12
	s_nop 1
	v_cndmask_b32_e64 v3, 0, 1, vcc
	v_cmp_gt_i32_e32 vcc, v1, v13
	s_nop 1
	v_addc_co_u32_e32 v2, vcc, v2, v3, vcc
	;; [unrolled: 13-line block ×3, first 2 shown]
	s_waitcnt lgkmcnt(0)
	v_cmp_gt_i32_e32 vcc, v1, v18
	s_nop 1
	v_cndmask_b32_e64 v3, 0, 1, vcc
	v_cmp_gt_i32_e32 vcc, v1, v19
	s_nop 1
	v_addc_co_u32_e32 v9, vcc, v2, v3, vcc
	ds_read_b128 v[2:5], v8 offset:64
	v_cmp_gt_i32_e32 vcc, v1, v20
	s_nop 1
	v_cndmask_b32_e64 v10, 0, 1, vcc
	v_cmp_gt_i32_e32 vcc, v1, v21
	s_nop 1
	v_addc_co_u32_e32 v9, vcc, v9, v10, vcc
	ds_read_b128 v[10:13], v8 offset:80
	s_waitcnt lgkmcnt(1)
	v_cmp_gt_i32_e32 vcc, v1, v2
	s_nop 1
	v_cndmask_b32_e64 v2, 0, 1, vcc
	v_cmp_gt_i32_e32 vcc, v1, v3
	s_nop 1
	v_addc_co_u32_e32 v2, vcc, v9, v2, vcc
	v_cmp_gt_i32_e32 vcc, v1, v4
	s_nop 1
	v_cndmask_b32_e64 v3, 0, 1, vcc
	v_cmp_gt_i32_e32 vcc, v1, v5
	s_nop 1
	v_addc_co_u32_e32 v2, vcc, v2, v3, vcc
	s_waitcnt lgkmcnt(0)
	v_cmp_gt_i32_e32 vcc, v1, v10
	s_nop 1
	v_cndmask_b32_e64 v3, 0, 1, vcc
	v_cmp_gt_i32_e32 vcc, v1, v11
	s_nop 1
	v_addc_co_u32_e32 v9, vcc, v2, v3, vcc
	ds_read_b128 v[2:5], v8 offset:96
	v_cmp_gt_i32_e32 vcc, v1, v12
	s_nop 1
	v_cndmask_b32_e64 v10, 0, 1, vcc
	v_cmp_gt_i32_e32 vcc, v1, v13
	s_nop 1
	v_addc_co_u32_e32 v9, vcc, v9, v10, vcc
	ds_read_b128 v[10:13], v8 offset:112
	s_waitcnt lgkmcnt(1)
	v_cmp_gt_i32_e32 vcc, v1, v2
	s_nop 1
	v_cndmask_b32_e64 v2, 0, 1, vcc
	v_cmp_gt_i32_e32 vcc, v1, v3
	s_nop 1
	v_addc_co_u32_e32 v2, vcc, v9, v2, vcc
	v_cmp_gt_i32_e32 vcc, v1, v4
	ds_read_b32 v4, v7
	s_nop 0
	v_cndmask_b32_e64 v3, 0, 1, vcc
	v_cmp_gt_i32_e32 vcc, v1, v5
	s_nop 1
	v_addc_co_u32_e32 v2, vcc, v2, v3, vcc
	s_waitcnt lgkmcnt(1)
	v_cmp_gt_i32_e32 vcc, v1, v10
	s_nop 1
	v_cndmask_b32_e64 v3, 0, 1, vcc
	v_cmp_gt_i32_e32 vcc, v1, v11
	s_nop 1
	v_addc_co_u32_e32 v2, vcc, v2, v3, vcc
	v_cmp_gt_i32_e32 vcc, v1, v12
	s_nop 1
	v_cndmask_b32_e64 v3, 0, 1, vcc
	v_cmp_gt_i32_e32 vcc, v1, v13
	s_nop 1
	v_addc_co_u32_e32 v2, vcc, v2, v3, vcc
	v_ashrrev_i32_e32 v3, 31, v2
	v_lshl_add_u64 v[2:3], v[2:3], 2, s[34:35]
	s_waitcnt lgkmcnt(0)
	global_store_dword v[2:3], v4, off
	s_branch .LBB1_45
.LBB1_48:
	s_endpgm
	.section	.rodata,"a",@progbits
	.p2align	6, 0x0
	.amdhsa_kernel _ZN9rocsparseL38csrgemm_numeric_fill_wf_per_row_kernelILj256ELj16ELj32ELj137EiifEEvT4_S1_PKS1_S3_NS_24const_host_device_scalarIT5_EEPKT3_S3_PKS5_S9_S3_SB_S6_S9_S3_SB_S9_S3_PS5_21rocsparse_index_base_SD_SD_SD_bbb
		.amdhsa_group_segment_fixed_size 4096
		.amdhsa_private_segment_fixed_size 0
		.amdhsa_kernarg_size 156
		.amdhsa_user_sgpr_count 2
		.amdhsa_user_sgpr_dispatch_ptr 0
		.amdhsa_user_sgpr_queue_ptr 0
		.amdhsa_user_sgpr_kernarg_segment_ptr 1
		.amdhsa_user_sgpr_dispatch_id 0
		.amdhsa_user_sgpr_kernarg_preload_length 0
		.amdhsa_user_sgpr_kernarg_preload_offset 0
		.amdhsa_user_sgpr_private_segment_size 0
		.amdhsa_uses_dynamic_stack 0
		.amdhsa_enable_private_segment 0
		.amdhsa_system_sgpr_workgroup_id_x 1
		.amdhsa_system_sgpr_workgroup_id_y 0
		.amdhsa_system_sgpr_workgroup_id_z 0
		.amdhsa_system_sgpr_workgroup_info 0
		.amdhsa_system_vgpr_workitem_id 0
		.amdhsa_next_free_vgpr 22
		.amdhsa_next_free_sgpr 48
		.amdhsa_accum_offset 24
		.amdhsa_reserve_vcc 1
		.amdhsa_float_round_mode_32 0
		.amdhsa_float_round_mode_16_64 0
		.amdhsa_float_denorm_mode_32 3
		.amdhsa_float_denorm_mode_16_64 3
		.amdhsa_dx10_clamp 1
		.amdhsa_ieee_mode 1
		.amdhsa_fp16_overflow 0
		.amdhsa_tg_split 0
		.amdhsa_exception_fp_ieee_invalid_op 0
		.amdhsa_exception_fp_denorm_src 0
		.amdhsa_exception_fp_ieee_div_zero 0
		.amdhsa_exception_fp_ieee_overflow 0
		.amdhsa_exception_fp_ieee_underflow 0
		.amdhsa_exception_fp_ieee_inexact 0
		.amdhsa_exception_int_div_zero 0
	.end_amdhsa_kernel
	.section	.text._ZN9rocsparseL38csrgemm_numeric_fill_wf_per_row_kernelILj256ELj16ELj32ELj137EiifEEvT4_S1_PKS1_S3_NS_24const_host_device_scalarIT5_EEPKT3_S3_PKS5_S9_S3_SB_S6_S9_S3_SB_S9_S3_PS5_21rocsparse_index_base_SD_SD_SD_bbb,"axG",@progbits,_ZN9rocsparseL38csrgemm_numeric_fill_wf_per_row_kernelILj256ELj16ELj32ELj137EiifEEvT4_S1_PKS1_S3_NS_24const_host_device_scalarIT5_EEPKT3_S3_PKS5_S9_S3_SB_S6_S9_S3_SB_S9_S3_PS5_21rocsparse_index_base_SD_SD_SD_bbb,comdat
.Lfunc_end1:
	.size	_ZN9rocsparseL38csrgemm_numeric_fill_wf_per_row_kernelILj256ELj16ELj32ELj137EiifEEvT4_S1_PKS1_S3_NS_24const_host_device_scalarIT5_EEPKT3_S3_PKS5_S9_S3_SB_S6_S9_S3_SB_S9_S3_PS5_21rocsparse_index_base_SD_SD_SD_bbb, .Lfunc_end1-_ZN9rocsparseL38csrgemm_numeric_fill_wf_per_row_kernelILj256ELj16ELj32ELj137EiifEEvT4_S1_PKS1_S3_NS_24const_host_device_scalarIT5_EEPKT3_S3_PKS5_S9_S3_SB_S6_S9_S3_SB_S9_S3_PS5_21rocsparse_index_base_SD_SD_SD_bbb
                                        ; -- End function
	.set _ZN9rocsparseL38csrgemm_numeric_fill_wf_per_row_kernelILj256ELj16ELj32ELj137EiifEEvT4_S1_PKS1_S3_NS_24const_host_device_scalarIT5_EEPKT3_S3_PKS5_S9_S3_SB_S6_S9_S3_SB_S9_S3_PS5_21rocsparse_index_base_SD_SD_SD_bbb.num_vgpr, 22
	.set _ZN9rocsparseL38csrgemm_numeric_fill_wf_per_row_kernelILj256ELj16ELj32ELj137EiifEEvT4_S1_PKS1_S3_NS_24const_host_device_scalarIT5_EEPKT3_S3_PKS5_S9_S3_SB_S6_S9_S3_SB_S9_S3_PS5_21rocsparse_index_base_SD_SD_SD_bbb.num_agpr, 0
	.set _ZN9rocsparseL38csrgemm_numeric_fill_wf_per_row_kernelILj256ELj16ELj32ELj137EiifEEvT4_S1_PKS1_S3_NS_24const_host_device_scalarIT5_EEPKT3_S3_PKS5_S9_S3_SB_S6_S9_S3_SB_S9_S3_PS5_21rocsparse_index_base_SD_SD_SD_bbb.numbered_sgpr, 48
	.set _ZN9rocsparseL38csrgemm_numeric_fill_wf_per_row_kernelILj256ELj16ELj32ELj137EiifEEvT4_S1_PKS1_S3_NS_24const_host_device_scalarIT5_EEPKT3_S3_PKS5_S9_S3_SB_S6_S9_S3_SB_S9_S3_PS5_21rocsparse_index_base_SD_SD_SD_bbb.num_named_barrier, 0
	.set _ZN9rocsparseL38csrgemm_numeric_fill_wf_per_row_kernelILj256ELj16ELj32ELj137EiifEEvT4_S1_PKS1_S3_NS_24const_host_device_scalarIT5_EEPKT3_S3_PKS5_S9_S3_SB_S6_S9_S3_SB_S9_S3_PS5_21rocsparse_index_base_SD_SD_SD_bbb.private_seg_size, 0
	.set _ZN9rocsparseL38csrgemm_numeric_fill_wf_per_row_kernelILj256ELj16ELj32ELj137EiifEEvT4_S1_PKS1_S3_NS_24const_host_device_scalarIT5_EEPKT3_S3_PKS5_S9_S3_SB_S6_S9_S3_SB_S9_S3_PS5_21rocsparse_index_base_SD_SD_SD_bbb.uses_vcc, 1
	.set _ZN9rocsparseL38csrgemm_numeric_fill_wf_per_row_kernelILj256ELj16ELj32ELj137EiifEEvT4_S1_PKS1_S3_NS_24const_host_device_scalarIT5_EEPKT3_S3_PKS5_S9_S3_SB_S6_S9_S3_SB_S9_S3_PS5_21rocsparse_index_base_SD_SD_SD_bbb.uses_flat_scratch, 0
	.set _ZN9rocsparseL38csrgemm_numeric_fill_wf_per_row_kernelILj256ELj16ELj32ELj137EiifEEvT4_S1_PKS1_S3_NS_24const_host_device_scalarIT5_EEPKT3_S3_PKS5_S9_S3_SB_S6_S9_S3_SB_S9_S3_PS5_21rocsparse_index_base_SD_SD_SD_bbb.has_dyn_sized_stack, 0
	.set _ZN9rocsparseL38csrgemm_numeric_fill_wf_per_row_kernelILj256ELj16ELj32ELj137EiifEEvT4_S1_PKS1_S3_NS_24const_host_device_scalarIT5_EEPKT3_S3_PKS5_S9_S3_SB_S6_S9_S3_SB_S9_S3_PS5_21rocsparse_index_base_SD_SD_SD_bbb.has_recursion, 0
	.set _ZN9rocsparseL38csrgemm_numeric_fill_wf_per_row_kernelILj256ELj16ELj32ELj137EiifEEvT4_S1_PKS1_S3_NS_24const_host_device_scalarIT5_EEPKT3_S3_PKS5_S9_S3_SB_S6_S9_S3_SB_S9_S3_PS5_21rocsparse_index_base_SD_SD_SD_bbb.has_indirect_call, 0
	.section	.AMDGPU.csdata,"",@progbits
; Kernel info:
; codeLenInByte = 1952
; TotalNumSgprs: 54
; NumVgprs: 22
; NumAgprs: 0
; TotalNumVgprs: 22
; ScratchSize: 0
; MemoryBound: 0
; FloatMode: 240
; IeeeMode: 1
; LDSByteSize: 4096 bytes/workgroup (compile time only)
; SGPRBlocks: 6
; VGPRBlocks: 2
; NumSGPRsForWavesPerEU: 54
; NumVGPRsForWavesPerEU: 22
; AccumOffset: 24
; Occupancy: 8
; WaveLimiterHint : 1
; COMPUTE_PGM_RSRC2:SCRATCH_EN: 0
; COMPUTE_PGM_RSRC2:USER_SGPR: 2
; COMPUTE_PGM_RSRC2:TRAP_HANDLER: 0
; COMPUTE_PGM_RSRC2:TGID_X_EN: 1
; COMPUTE_PGM_RSRC2:TGID_Y_EN: 0
; COMPUTE_PGM_RSRC2:TGID_Z_EN: 0
; COMPUTE_PGM_RSRC2:TIDIG_COMP_CNT: 0
; COMPUTE_PGM_RSRC3_GFX90A:ACCUM_OFFSET: 5
; COMPUTE_PGM_RSRC3_GFX90A:TG_SPLIT: 0
	.section	.text._ZN9rocsparseL41csrgemm_numeric_fill_block_per_row_kernelILj128ELj16ELj256ELj137ELj32EiifEEvT5_PKS1_S3_NS_24const_host_device_scalarIT6_EEPKT4_S3_PKS5_S9_S3_SB_S6_S9_S3_SB_S9_S3_PS5_21rocsparse_index_base_SD_SD_SD_bbb,"axG",@progbits,_ZN9rocsparseL41csrgemm_numeric_fill_block_per_row_kernelILj128ELj16ELj256ELj137ELj32EiifEEvT5_PKS1_S3_NS_24const_host_device_scalarIT6_EEPKT4_S3_PKS5_S9_S3_SB_S6_S9_S3_SB_S9_S3_PS5_21rocsparse_index_base_SD_SD_SD_bbb,comdat
	.globl	_ZN9rocsparseL41csrgemm_numeric_fill_block_per_row_kernelILj128ELj16ELj256ELj137ELj32EiifEEvT5_PKS1_S3_NS_24const_host_device_scalarIT6_EEPKT4_S3_PKS5_S9_S3_SB_S6_S9_S3_SB_S9_S3_PS5_21rocsparse_index_base_SD_SD_SD_bbb ; -- Begin function _ZN9rocsparseL41csrgemm_numeric_fill_block_per_row_kernelILj128ELj16ELj256ELj137ELj32EiifEEvT5_PKS1_S3_NS_24const_host_device_scalarIT6_EEPKT4_S3_PKS5_S9_S3_SB_S6_S9_S3_SB_S9_S3_PS5_21rocsparse_index_base_SD_SD_SD_bbb
	.p2align	8
	.type	_ZN9rocsparseL41csrgemm_numeric_fill_block_per_row_kernelILj128ELj16ELj256ELj137ELj32EiifEEvT5_PKS1_S3_NS_24const_host_device_scalarIT6_EEPKT4_S3_PKS5_S9_S3_SB_S6_S9_S3_SB_S9_S3_PS5_21rocsparse_index_base_SD_SD_SD_bbb,@function
_ZN9rocsparseL41csrgemm_numeric_fill_block_per_row_kernelILj128ELj16ELj256ELj137ELj32EiifEEvT5_PKS1_S3_NS_24const_host_device_scalarIT6_EEPKT4_S3_PKS5_S9_S3_SB_S6_S9_S3_SB_S9_S3_PS5_21rocsparse_index_base_SD_SD_SD_bbb: ; @_ZN9rocsparseL41csrgemm_numeric_fill_block_per_row_kernelILj128ELj16ELj256ELj137ELj32EiifEEvT5_PKS1_S3_NS_24const_host_device_scalarIT6_EEPKT4_S3_PKS5_S9_S3_SB_S6_S9_S3_SB_S9_S3_PS5_21rocsparse_index_base_SD_SD_SD_bbb
; %bb.0:
	s_load_dword s3, s[0:1], 0x98
	s_load_dwordx2 s[8:9], s[0:1], 0x18
	s_load_dwordx2 s[6:7], s[0:1], 0x50
	s_waitcnt lgkmcnt(0)
	s_bitcmp1_b32 s3, 0
	s_cselect_b64 s[4:5], -1, 0
	s_bitcmp1_b32 s3, 16
	s_cselect_b64 s[10:11], -1, 0
	s_xor_b64 s[12:13], s[4:5], -1
	s_or_b64 s[12:13], s[10:11], s[12:13]
	s_and_b64 vcc, exec, s[12:13]
	s_cbranch_vccnz .LBB2_2
; %bb.1:
	s_load_dword s8, s[8:9], 0x0
	s_waitcnt lgkmcnt(0)
	v_mov_b32_e32 v7, s8
	s_branch .LBB2_3
.LBB2_2:
	v_mov_b32_e32 v1, s8
	v_cndmask_b32_e64 v7, 0, v1, s[4:5]
.LBB2_3:
	s_load_dwordx4 s[20:23], s[0:1], 0x88
	s_bitcmp1_b32 s3, 8
	s_cselect_b64 s[8:9], -1, 0
	s_xor_b64 s[12:13], s[8:9], -1
	s_or_b64 s[10:11], s[10:11], s[12:13]
	s_and_b64 vcc, exec, s[10:11]
	s_cbranch_vccnz .LBB2_5
; %bb.4:
	s_load_dword s3, s[6:7], 0x0
	s_waitcnt lgkmcnt(0)
	v_mov_b32_e32 v6, s3
	s_branch .LBB2_6
.LBB2_5:
	v_mov_b32_e32 v1, s6
	v_cndmask_b32_e64 v6, 0, v1, s[8:9]
.LBB2_6:
	s_load_dwordx2 s[10:11], s[0:1], 0x80
	s_load_dwordx2 s[34:35], s[0:1], 0x70
	;; [unrolled: 1-line block ×3, first 2 shown]
	s_load_dwordx8 s[12:19], s[0:1], 0x20
	s_load_dwordx4 s[36:39], s[0:1], 0x8
	s_load_dword s33, s[0:1], 0x0
	s_movk_i32 s3, 0x100
	v_cmp_gt_u32_e64 s[6:7], s3, v0
	v_lshl_add_u32 v1, v0, 2, 0
	s_and_saveexec_b64 s[24:25], s[6:7]
	s_cbranch_execz .LBB2_9
; %bb.7:
	v_or_b32_e32 v2, 0xffffff80, v0
	v_lshl_add_u32 v3, v0, 2, 0
	s_mov_b64 s[26:27], 0
	s_waitcnt lgkmcnt(0)
	v_mov_b32_e32 v4, s33
	v_mov_b32_e32 v5, 0
.LBB2_8:                                ; =>This Inner Loop Header: Depth=1
	v_add_co_u32_e32 v2, vcc, 0x80, v2
	s_xor_b64 s[28:29], vcc, -1
	s_and_b64 s[28:29], exec, s[28:29]
	ds_write2st64_b32 v3, v4, v5 offset1:4
	s_or_b64 s[26:27], s[28:29], s[26:27]
	v_add_u32_e32 v3, 0x200, v3
	s_andn2_b64 exec, exec, s[26:27]
	s_cbranch_execnz .LBB2_8
.LBB2_9:
	s_or_b64 exec, exec, s[24:25]
	s_load_dwordx4 s[24:27], s[0:1], 0x60
	s_load_dwordx4 s[28:31], s[0:1], 0x40
	s_waitcnt lgkmcnt(0)
	s_barrier
	s_load_dword s0, s[36:37], 0x0
	s_mov_b32 s1, 0
	s_waitcnt lgkmcnt(0)
	s_add_i32 s0, s0, s2
	s_lshl_b64 s[0:1], s[0:1], 2
	s_add_u32 s0, s38, s0
	s_addc_u32 s1, s39, s1
	s_load_dword s36, s[0:1], 0x0
	s_and_b64 vcc, exec, s[4:5]
	s_cbranch_vccz .LBB2_27
; %bb.10:
	s_waitcnt lgkmcnt(0)
	s_ashr_i32 s37, s36, 31
	s_lshl_b64 s[0:1], s[36:37], 2
	s_add_u32 s0, s12, s0
	s_addc_u32 s1, s13, s1
	s_load_dwordx2 s[2:3], s[0:1], 0x0
	v_lshrrev_b32_e32 v2, 4, v0
	v_subrev_u32_e32 v2, s20, v2
	s_waitcnt lgkmcnt(0)
	s_sub_i32 s37, s3, s20
	v_add_u32_e32 v2, s2, v2
	v_cmp_gt_i32_e32 vcc, s37, v2
	s_and_saveexec_b64 s[0:1], vcc
	s_cbranch_execz .LBB2_26
; %bb.11:
	v_and_b32_e32 v3, 15, v0
	v_subrev_u32_e32 v8, s21, v3
	s_mov_b64 s[2:3], 0
	s_movk_i32 s50, 0x89
	s_branch .LBB2_13
.LBB2_12:                               ;   in Loop: Header=BB2_13 Depth=1
	s_or_b64 exec, exec, s[4:5]
	v_add_u32_e32 v2, 8, v2
	v_cmp_le_i32_e32 vcc, s37, v2
	s_or_b64 s[2:3], vcc, s[2:3]
	s_andn2_b64 exec, exec, s[2:3]
	s_cbranch_execz .LBB2_26
.LBB2_13:                               ; =>This Loop Header: Depth=1
                                        ;     Child Loop BB2_17 Depth 2
                                        ;       Child Loop BB2_20 Depth 3
	v_ashrrev_i32_e32 v3, 31, v2
	v_lshl_add_u64 v[4:5], v[2:3], 2, s[14:15]
	global_load_dword v4, v[4:5], off
	s_waitcnt vmcnt(0)
	v_subrev_u32_e32 v4, s20, v4
	v_ashrrev_i32_e32 v5, 31, v4
	v_lshl_add_u64 v[4:5], v[4:5], 2, s[18:19]
	global_load_dwordx2 v[4:5], v[4:5], off
	s_waitcnt vmcnt(0)
	v_subrev_u32_e32 v9, s21, v5
	v_add_u32_e32 v4, v4, v8
	v_cmp_lt_i32_e32 vcc, v4, v9
	s_and_saveexec_b64 s[4:5], vcc
	s_cbranch_execz .LBB2_12
; %bb.14:                               ;   in Loop: Header=BB2_13 Depth=1
	v_lshl_add_u64 v[10:11], v[2:3], 2, s[16:17]
	global_load_dword v3, v[10:11], off
	s_mov_b64 s[12:13], 0
	s_waitcnt vmcnt(0)
	v_mul_f32_e32 v3, v7, v3
	s_branch .LBB2_17
.LBB2_15:                               ;   in Loop: Header=BB2_17 Depth=2
	s_or_b64 exec, exec, s[42:43]
.LBB2_16:                               ;   in Loop: Header=BB2_17 Depth=2
	s_or_b64 exec, exec, s[38:39]
	s_waitcnt vmcnt(0)
	v_mul_f32_e32 v5, v3, v5
	v_lshl_add_u32 v10, v10, 2, 0
	ds_add_f32 v10, v5 offset:1024
	v_add_u32_e32 v4, 16, v4
	v_cmp_ge_i32_e32 vcc, v4, v9
	s_or_b64 s[12:13], vcc, s[12:13]
	s_andn2_b64 exec, exec, s[12:13]
	s_cbranch_execz .LBB2_12
.LBB2_17:                               ;   Parent Loop BB2_13 Depth=1
                                        ; =>  This Loop Header: Depth=2
                                        ;       Child Loop BB2_20 Depth 3
	v_ashrrev_i32_e32 v5, 31, v4
	v_lshlrev_b64 v[10:11], 2, v[4:5]
	v_lshl_add_u64 v[12:13], s[28:29], 0, v[10:11]
	global_load_dword v12, v[12:13], off
	v_lshl_add_u64 v[10:11], s[30:31], 0, v[10:11]
	global_load_dword v5, v[10:11], off
	s_waitcnt vmcnt(1)
	v_subrev_u32_e32 v11, s21, v12
	v_mul_lo_u32 v10, v11, s50
	v_and_b32_e32 v10, 0xff, v10
	v_lshl_add_u32 v12, v10, 2, 0
	ds_read_b32 v13, v12
	s_waitcnt lgkmcnt(0)
	v_cmp_ne_u32_e32 vcc, v13, v11
	s_and_saveexec_b64 s[38:39], vcc
	s_cbranch_execz .LBB2_16
; %bb.18:                               ;   in Loop: Header=BB2_17 Depth=2
	s_mov_b64 s[42:43], 0
	s_branch .LBB2_20
.LBB2_19:                               ;   in Loop: Header=BB2_20 Depth=3
	s_or_b64 exec, exec, s[48:49]
	s_and_b64 s[44:45], exec, s[46:47]
	s_or_b64 s[42:43], s[44:45], s[42:43]
	s_andn2_b64 exec, exec, s[42:43]
	s_cbranch_execz .LBB2_15
.LBB2_20:                               ;   Parent Loop BB2_13 Depth=1
                                        ;     Parent Loop BB2_17 Depth=2
                                        ; =>    This Inner Loop Header: Depth=3
	v_cmp_ne_u32_e32 vcc, s33, v13
	s_mov_b64 s[44:45], 0
	s_and_saveexec_b64 s[46:47], vcc
	s_xor_b64 s[46:47], exec, s[46:47]
	s_cbranch_execz .LBB2_22
; %bb.21:                               ;   in Loop: Header=BB2_20 Depth=3
	v_add_u32_e32 v10, 1, v10
	s_mov_b64 s[44:45], exec
	v_and_b32_e32 v10, 0xff, v10
                                        ; implicit-def: $vgpr12
	s_andn2_saveexec_b64 s[46:47], s[46:47]
	s_cbranch_execz .LBB2_24
	s_branch .LBB2_23
.LBB2_22:                               ;   in Loop: Header=BB2_20 Depth=3
	s_andn2_saveexec_b64 s[46:47], s[46:47]
	s_cbranch_execz .LBB2_24
.LBB2_23:                               ;   in Loop: Header=BB2_20 Depth=3
	v_mov_b32_e32 v13, s33
	ds_cmpst_rtn_b32 v12, v12, v13, v11
	s_andn2_b64 s[44:45], s[44:45], exec
	s_waitcnt lgkmcnt(0)
	v_cmp_ne_u32_e32 vcc, s33, v12
	s_and_b64 s[48:49], vcc, exec
	s_or_b64 s[44:45], s[44:45], s[48:49]
.LBB2_24:                               ;   in Loop: Header=BB2_20 Depth=3
	s_or_b64 exec, exec, s[46:47]
	s_mov_b64 s[46:47], -1
                                        ; implicit-def: $vgpr12
                                        ; implicit-def: $vgpr13
	s_and_saveexec_b64 s[48:49], s[44:45]
	s_cbranch_execz .LBB2_19
; %bb.25:                               ;   in Loop: Header=BB2_20 Depth=3
	v_lshl_add_u32 v12, v10, 2, 0
	ds_read_b32 v13, v12
	s_waitcnt lgkmcnt(0)
	v_cmp_eq_u32_e32 vcc, v13, v11
	s_orn2_b64 s[46:47], vcc, exec
	s_branch .LBB2_19
.LBB2_26:
	s_or_b64 exec, exec, s[0:1]
.LBB2_27:
	s_andn2_b64 vcc, exec, s[8:9]
	s_cbranch_vccnz .LBB2_42
; %bb.28:
	s_waitcnt lgkmcnt(0)
	s_ashr_i32 s37, s36, 31
	s_lshl_b64 s[0:1], s[36:37], 2
	s_add_u32 s0, s40, s0
	s_addc_u32 s1, s41, s1
	s_load_dwordx2 s[2:3], s[0:1], 0x0
	v_subrev_u32_e32 v2, s23, v0
	s_waitcnt lgkmcnt(0)
	s_sub_i32 s18, s3, s23
	v_add_u32_e32 v2, s2, v2
	v_cmp_gt_i32_e32 vcc, s18, v2
	s_and_saveexec_b64 s[0:1], vcc
	s_cbranch_execz .LBB2_41
; %bb.29:
	s_mov_b64 s[2:3], 0
	s_movk_i32 s19, 0x89
	s_branch .LBB2_32
.LBB2_30:                               ;   in Loop: Header=BB2_32 Depth=1
	s_or_b64 exec, exec, s[8:9]
.LBB2_31:                               ;   in Loop: Header=BB2_32 Depth=1
	s_or_b64 exec, exec, s[4:5]
	s_waitcnt vmcnt(0)
	v_mul_f32_e32 v3, v6, v3
	v_lshl_add_u32 v4, v4, 2, 0
	ds_add_f32 v4, v3 offset:1024
	v_add_u32_e32 v2, 0x80, v2
	v_cmp_le_i32_e32 vcc, s18, v2
	s_or_b64 s[2:3], vcc, s[2:3]
	s_andn2_b64 exec, exec, s[2:3]
	s_cbranch_execz .LBB2_41
.LBB2_32:                               ; =>This Loop Header: Depth=1
                                        ;     Child Loop BB2_35 Depth 2
	v_ashrrev_i32_e32 v3, 31, v2
	v_lshlrev_b64 v[4:5], 2, v[2:3]
	v_lshl_add_u64 v[8:9], s[24:25], 0, v[4:5]
	global_load_dword v7, v[8:9], off
	v_lshl_add_u64 v[4:5], s[26:27], 0, v[4:5]
	global_load_dword v3, v[4:5], off
	s_waitcnt vmcnt(1)
	v_subrev_u32_e32 v5, s23, v7
	v_mul_lo_u32 v4, v5, s19
	v_and_b32_e32 v4, 0xff, v4
	v_lshl_add_u32 v7, v4, 2, 0
	ds_read_b32 v8, v7
	s_waitcnt lgkmcnt(0)
	v_cmp_ne_u32_e32 vcc, v8, v5
	s_and_saveexec_b64 s[4:5], vcc
	s_cbranch_execz .LBB2_31
; %bb.33:                               ;   in Loop: Header=BB2_32 Depth=1
	s_mov_b64 s[8:9], 0
	s_branch .LBB2_35
.LBB2_34:                               ;   in Loop: Header=BB2_35 Depth=2
	s_or_b64 exec, exec, s[16:17]
	s_and_b64 s[12:13], exec, s[14:15]
	s_or_b64 s[8:9], s[12:13], s[8:9]
	s_andn2_b64 exec, exec, s[8:9]
	s_cbranch_execz .LBB2_30
.LBB2_35:                               ;   Parent Loop BB2_32 Depth=1
                                        ; =>  This Inner Loop Header: Depth=2
	v_cmp_ne_u32_e32 vcc, s33, v8
	s_mov_b64 s[12:13], 0
	s_and_saveexec_b64 s[14:15], vcc
	s_xor_b64 s[14:15], exec, s[14:15]
	s_cbranch_execz .LBB2_37
; %bb.36:                               ;   in Loop: Header=BB2_35 Depth=2
	v_add_u32_e32 v4, 1, v4
	s_mov_b64 s[12:13], exec
	v_and_b32_e32 v4, 0xff, v4
                                        ; implicit-def: $vgpr7
	s_andn2_saveexec_b64 s[14:15], s[14:15]
	s_cbranch_execz .LBB2_39
	s_branch .LBB2_38
.LBB2_37:                               ;   in Loop: Header=BB2_35 Depth=2
	s_andn2_saveexec_b64 s[14:15], s[14:15]
	s_cbranch_execz .LBB2_39
.LBB2_38:                               ;   in Loop: Header=BB2_35 Depth=2
	v_mov_b32_e32 v8, s33
	ds_cmpst_rtn_b32 v7, v7, v8, v5
	s_andn2_b64 s[12:13], s[12:13], exec
	s_waitcnt lgkmcnt(0)
	v_cmp_ne_u32_e32 vcc, s33, v7
	s_and_b64 s[16:17], vcc, exec
	s_or_b64 s[12:13], s[12:13], s[16:17]
.LBB2_39:                               ;   in Loop: Header=BB2_35 Depth=2
	s_or_b64 exec, exec, s[14:15]
	s_mov_b64 s[14:15], -1
                                        ; implicit-def: $vgpr7
                                        ; implicit-def: $vgpr8
	s_and_saveexec_b64 s[16:17], s[12:13]
	s_cbranch_execz .LBB2_34
; %bb.40:                               ;   in Loop: Header=BB2_35 Depth=2
	v_lshl_add_u32 v7, v4, 2, 0
	ds_read_b32 v8, v7
	s_waitcnt lgkmcnt(0)
	v_cmp_eq_u32_e32 vcc, v8, v5
	s_orn2_b64 s[14:15], vcc, exec
	s_branch .LBB2_34
.LBB2_41:
	s_or_b64 exec, exec, s[0:1]
.LBB2_42:
	s_waitcnt lgkmcnt(0)
	s_barrier
	s_and_saveexec_b64 s[8:9], s[6:7]
	s_cbranch_execz .LBB2_55
; %bb.43:
	v_mbcnt_lo_u32_b32 v2, -1, 0
	v_mbcnt_hi_u32_b32 v2, -1, v2
	v_lshrrev_b32_e32 v4, 3, v0
	v_sub_u32_e32 v2, 63, v2
	v_and_b32_e32 v4, 12, v4
	s_movk_i32 s0, 0x7f
	s_movk_i32 s6, 0x5f
	v_mov_b32_e32 v6, 0
	v_lshrrev_b64 v[2:3], v2, -1
	v_add_u32_e32 v7, 0, v4
	v_cmp_eq_u32_e64 s[0:1], s0, v0
	v_cmp_lt_u32_e64 s[2:3], 31, v0
	v_cmp_lt_u32_e64 s[4:5], 63, v0
	;; [unrolled: 1-line block ×3, first 2 shown]
	v_or_b32_e32 v8, 0xffffff80, v0
	s_mov_b64 s[12:13], 0
	v_mov_b32_e32 v9, 0
	s_branch .LBB2_45
.LBB2_44:                               ;   in Loop: Header=BB2_45 Depth=1
	s_or_b64 exec, exec, s[14:15]
	s_waitcnt lgkmcnt(0)
	s_barrier
	ds_read_b32 v4, v6 offset:2060
	v_add_co_u32_e32 v8, vcc, 0x80, v8
	s_xor_b64 s[14:15], vcc, -1
	s_and_b64 s[14:15], exec, s[14:15]
	s_waitcnt lgkmcnt(0)
	v_add_u32_e32 v9, v4, v9
	s_or_b64 s[12:13], s[14:15], s[12:13]
	v_add_u32_e32 v1, 0x200, v1
	s_andn2_b64 exec, exec, s[12:13]
	s_cbranch_execz .LBB2_55
.LBB2_45:                               ; =>This Inner Loop Header: Depth=1
	ds_read2st64_b32 v[4:5], v1 offset1:4
	s_waitcnt lgkmcnt(0)
	s_barrier
	v_cmp_gt_i32_e32 vcc, s33, v4
	s_bcnt1_i32_b64 s14, vcc
	s_nop 0
	v_and_b32_e32 v11, vcc_lo, v2
	v_and_b32_e32 v10, vcc_hi, v3
	v_bcnt_u32_b32 v11, v11, 0
	v_bcnt_u32_b32 v10, v10, v11
	v_mov_b32_e32 v11, s14
	ds_write_b32 v7, v11 offset:2048
	s_waitcnt lgkmcnt(0)
	s_barrier
	s_and_saveexec_b64 s[14:15], s[2:3]
	s_cbranch_execz .LBB2_50
; %bb.46:                               ;   in Loop: Header=BB2_45 Depth=1
	ds_read_b32 v11, v6 offset:2048
	s_waitcnt lgkmcnt(0)
	v_add_u32_e32 v10, v11, v10
	s_or_b64 exec, exec, s[14:15]
	s_and_saveexec_b64 s[14:15], s[4:5]
	s_cbranch_execnz .LBB2_51
.LBB2_47:                               ;   in Loop: Header=BB2_45 Depth=1
	s_or_b64 exec, exec, s[14:15]
	s_and_saveexec_b64 s[14:15], s[6:7]
	s_cbranch_execz .LBB2_52
.LBB2_48:                               ;   in Loop: Header=BB2_45 Depth=1
	ds_read_b32 v11, v6 offset:2056
	s_waitcnt lgkmcnt(0)
	v_add_u32_e32 v10, v11, v10
	s_or_b64 exec, exec, s[14:15]
	s_and_saveexec_b64 s[14:15], vcc
	s_cbranch_execnz .LBB2_53
.LBB2_49:                               ;   in Loop: Header=BB2_45 Depth=1
	s_or_b64 exec, exec, s[14:15]
	s_and_saveexec_b64 s[14:15], s[0:1]
	s_cbranch_execz .LBB2_44
	s_branch .LBB2_54
.LBB2_50:                               ;   in Loop: Header=BB2_45 Depth=1
	s_or_b64 exec, exec, s[14:15]
	s_and_saveexec_b64 s[14:15], s[4:5]
	s_cbranch_execz .LBB2_47
.LBB2_51:                               ;   in Loop: Header=BB2_45 Depth=1
	ds_read_b32 v11, v6 offset:2052
	s_waitcnt lgkmcnt(0)
	v_add_u32_e32 v10, v11, v10
	s_or_b64 exec, exec, s[14:15]
	s_and_saveexec_b64 s[14:15], s[6:7]
	s_cbranch_execnz .LBB2_48
.LBB2_52:                               ;   in Loop: Header=BB2_45 Depth=1
	s_or_b64 exec, exec, s[14:15]
	s_and_saveexec_b64 s[14:15], vcc
	s_cbranch_execz .LBB2_49
.LBB2_53:                               ;   in Loop: Header=BB2_45 Depth=1
	v_add3_u32 v11, v9, -1, v10
	v_lshl_add_u32 v11, v11, 2, 0
	v_add_u32_e32 v12, v9, v10
	v_lshl_add_u32 v12, v12, 2, 0
	ds_write_b32 v11, v4
	ds_write_b32 v12, v5 offset:1020
	s_or_b64 exec, exec, s[14:15]
	s_and_saveexec_b64 s[14:15], s[0:1]
	s_cbranch_execz .LBB2_44
.LBB2_54:                               ;   in Loop: Header=BB2_45 Depth=1
	ds_write_b32 v6, v10 offset:2060
	s_branch .LBB2_44
.LBB2_55:
	s_or_b64 exec, exec, s[8:9]
	s_ashr_i32 s37, s36, 31
	s_lshl_b64 s[0:1], s[36:37], 2
	s_add_u32 s2, s34, s0
	s_addc_u32 s3, s35, s1
	s_load_dwordx2 s[0:1], s[2:3], 0x0
	s_waitcnt lgkmcnt(0)
	s_sub_i32 s16, s1, s0
	v_cmp_gt_i32_e32 vcc, s16, v0
	s_and_saveexec_b64 s[2:3], vcc
	s_cbranch_execz .LBB2_69
; %bb.56:
	s_sub_i32 s8, s0, s22
	v_sub_co_u32_e64 v1, s[0:1], s16, 2
	s_nop 0
	v_readfirstlane_b32 s2, v1
	s_lshr_b32 s2, s2, 1
	s_add_i32 s2, s2, 1
	s_xor_b64 s[0:1], s[0:1], -1
	s_and_b32 s17, s16, -2
	s_and_b32 s3, s2, 7
	s_and_b32 s18, s2, -8
	s_cmp_lg_u32 s3, 0
	v_cmp_lt_u32_e32 vcc, 13, v1
	s_cselect_b64 s[4:5], -1, 0
	s_cmp_lg_u32 s16, s17
	v_cndmask_b32_e64 v1, 0, 1, vcc
	s_cselect_b64 s[12:13], -1, 0
	s_lshl_b32 s19, s3, 3
	v_cndmask_b32_e64 v2, 0, 1, s[0:1]
	v_cmp_ne_u32_e64 s[2:3], 1, v1
	v_cndmask_b32_e64 v1, 0, 1, s[4:5]
	s_mov_b32 s9, 0
	s_mov_b64 s[14:15], 0
	v_cmp_ne_u32_e64 s[0:1], 1, v2
	v_cmp_ne_u32_e64 s[4:5], 1, v1
	s_branch .LBB2_58
.LBB2_57:                               ;   in Loop: Header=BB2_58 Depth=1
	v_add_u32_e32 v0, 0x80, v0
	v_ashrrev_i32_e32 v5, 31, v4
	v_cmp_le_i32_e32 vcc, s16, v0
	v_lshl_add_u64 v[4:5], v[4:5], 2, s[10:11]
	s_or_b64 s[14:15], vcc, s[14:15]
	s_waitcnt lgkmcnt(0)
	global_store_dword v[4:5], v3, off
	s_andn2_b64 exec, exec, s[14:15]
	s_cbranch_execz .LBB2_69
.LBB2_58:                               ; =>This Loop Header: Depth=1
                                        ;     Child Loop BB2_61 Depth 2
                                        ;     Child Loop BB2_64 Depth 2
	;; [unrolled: 1-line block ×3, first 2 shown]
	v_lshl_add_u32 v1, v0, 2, 0
	ds_read2st64_b32 v[2:3], v1 offset1:4
	s_and_b64 vcc, exec, s[0:1]
	v_mov_b32_e32 v4, s8
	s_mov_b32 s20, 0
	s_mov_b64 s[6:7], -1
	s_cbranch_vccnz .LBB2_66
; %bb.59:                               ;   in Loop: Header=BB2_58 Depth=1
	s_and_b64 vcc, exec, s[2:3]
	v_mov_b64_e32 v[4:5], s[8:9]
	s_cbranch_vccnz .LBB2_62
; %bb.60:                               ;   in Loop: Header=BB2_58 Depth=1
	s_mov_b32 s21, 0
	v_mov_b32_e32 v4, s8
	v_mov_b32_e32 v5, 0
	s_mov_b32 s22, s18
.LBB2_61:                               ;   Parent Loop BB2_58 Depth=1
                                        ; =>  This Inner Loop Header: Depth=2
	v_mov_b32_e32 v1, s21
	ds_read2_b32 v[6:7], v1 offset1:1
	ds_read2_b32 v[8:9], v1 offset0:2 offset1:3
	ds_read2_b32 v[10:11], v1 offset0:4 offset1:5
	;; [unrolled: 1-line block ×7, first 2 shown]
	s_waitcnt lgkmcnt(7)
	v_cmp_gt_i32_e32 vcc, v2, v7
	s_waitcnt lgkmcnt(5)
	v_cmp_gt_i32_e64 s[6:7], v2, v10
	s_add_i32 s20, s20, 16
	v_cndmask_b32_e64 v1, 0, 1, vcc
	v_cmp_gt_i32_e32 vcc, v2, v6
	v_cndmask_b32_e64 v7, 0, 1, s[6:7]
	v_cmp_gt_i32_e64 s[6:7], v2, v11
	v_cndmask_b32_e64 v6, 0, 1, vcc
	v_cmp_gt_i32_e32 vcc, v2, v9
	v_cndmask_b32_e64 v9, 0, 1, s[6:7]
	s_waitcnt lgkmcnt(3)
	v_cmp_gt_i32_e64 s[6:7], v2, v15
	v_addc_co_u32_e32 v1, vcc, v5, v1, vcc
	s_nop 0
	v_cndmask_b32_e64 v10, 0, 1, s[6:7]
	v_cmp_gt_i32_e64 s[6:7], v2, v14
	v_cmp_gt_i32_e32 vcc, v2, v12
	s_add_i32 s21, s21, 64
	v_cndmask_b32_e64 v11, 0, 1, s[6:7]
	s_waitcnt lgkmcnt(1)
	v_cmp_gt_i32_e64 s[6:7], v2, v18
	s_add_i32 s22, s22, -8
	s_cmp_lg_u32 s22, 0
	v_cndmask_b32_e64 v14, 0, 1, s[6:7]
	v_cmp_gt_i32_e64 s[6:7], v2, v19
	s_nop 1
	v_cndmask_b32_e64 v15, 0, 1, s[6:7]
	v_cmp_gt_i32_e64 s[6:7], v2, v8
	s_nop 1
	v_addc_co_u32_e64 v4, s[6:7], v4, v6, s[6:7]
	v_cmp_gt_i32_e64 s[6:7], v2, v13
	v_addc_co_u32_e32 v4, vcc, v4, v7, vcc
	s_nop 0
	v_addc_co_u32_e64 v1, s[6:7], v1, v9, s[6:7]
	v_cmp_gt_i32_e32 vcc, v2, v17
	v_cmp_gt_i32_e64 s[6:7], v2, v16
	s_nop 0
	v_addc_co_u32_e32 v1, vcc, v1, v10, vcc
	v_addc_co_u32_e64 v4, s[6:7], v4, v11, s[6:7]
	s_waitcnt lgkmcnt(0)
	v_cmp_gt_i32_e32 vcc, v2, v20
	v_cmp_gt_i32_e64 s[6:7], v2, v21
	s_nop 0
	v_addc_co_u32_e32 v4, vcc, v4, v14, vcc
	v_addc_co_u32_e64 v5, s[6:7], v1, v15, s[6:7]
	s_cbranch_scc1 .LBB2_61
.LBB2_62:                               ;   in Loop: Header=BB2_58 Depth=1
	s_and_b64 vcc, exec, s[4:5]
	s_cbranch_vccnz .LBB2_65
; %bb.63:                               ;   in Loop: Header=BB2_58 Depth=1
	s_lshl_b32 s6, s20, 2
	s_add_i32 s6, s6, 0
	s_mov_b32 s7, s19
.LBB2_64:                               ;   Parent Loop BB2_58 Depth=1
                                        ; =>  This Inner Loop Header: Depth=2
	v_mov_b32_e32 v1, s6
	ds_read2_b32 v[6:7], v1 offset1:1
	s_add_i32 s6, s6, 8
	s_add_i32 s7, s7, -8
	s_cmp_lg_u32 s7, 0
	s_waitcnt lgkmcnt(0)
	v_cmp_gt_i32_e32 vcc, v2, v7
	s_nop 1
	v_addc_co_u32_e32 v5, vcc, 0, v5, vcc
	v_cmp_gt_i32_e32 vcc, v2, v6
	s_nop 1
	v_addc_co_u32_e32 v4, vcc, 0, v4, vcc
	s_cbranch_scc1 .LBB2_64
.LBB2_65:                               ;   in Loop: Header=BB2_58 Depth=1
	v_add_u32_e32 v4, v4, v5
	s_mov_b32 s20, s17
	s_mov_b64 s[6:7], s[12:13]
.LBB2_66:                               ;   in Loop: Header=BB2_58 Depth=1
	s_and_b64 vcc, exec, s[6:7]
	s_cbranch_vccz .LBB2_57
; %bb.67:                               ;   in Loop: Header=BB2_58 Depth=1
	s_lshl_b32 s6, s20, 2
	s_add_i32 s6, s6, 0
.LBB2_68:                               ;   Parent Loop BB2_58 Depth=1
                                        ; =>  This Inner Loop Header: Depth=2
	v_mov_b32_e32 v1, s6
	ds_read_b32 v1, v1
	s_add_i32 s20, s20, 1
	s_add_i32 s6, s6, 4
	s_cmp_ge_i32 s20, s16
	s_waitcnt lgkmcnt(0)
	v_cmp_gt_i32_e32 vcc, v2, v1
	s_nop 1
	v_addc_co_u32_e32 v4, vcc, 0, v4, vcc
	s_cbranch_scc0 .LBB2_68
	s_branch .LBB2_57
.LBB2_69:
	s_endpgm
	.section	.rodata,"a",@progbits
	.p2align	6, 0x0
	.amdhsa_kernel _ZN9rocsparseL41csrgemm_numeric_fill_block_per_row_kernelILj128ELj16ELj256ELj137ELj32EiifEEvT5_PKS1_S3_NS_24const_host_device_scalarIT6_EEPKT4_S3_PKS5_S9_S3_SB_S6_S9_S3_SB_S9_S3_PS5_21rocsparse_index_base_SD_SD_SD_bbb
		.amdhsa_group_segment_fixed_size 0
		.amdhsa_private_segment_fixed_size 0
		.amdhsa_kernarg_size 156
		.amdhsa_user_sgpr_count 2
		.amdhsa_user_sgpr_dispatch_ptr 0
		.amdhsa_user_sgpr_queue_ptr 0
		.amdhsa_user_sgpr_kernarg_segment_ptr 1
		.amdhsa_user_sgpr_dispatch_id 0
		.amdhsa_user_sgpr_kernarg_preload_length 0
		.amdhsa_user_sgpr_kernarg_preload_offset 0
		.amdhsa_user_sgpr_private_segment_size 0
		.amdhsa_uses_dynamic_stack 0
		.amdhsa_enable_private_segment 0
		.amdhsa_system_sgpr_workgroup_id_x 1
		.amdhsa_system_sgpr_workgroup_id_y 0
		.amdhsa_system_sgpr_workgroup_id_z 0
		.amdhsa_system_sgpr_workgroup_info 0
		.amdhsa_system_vgpr_workitem_id 0
		.amdhsa_next_free_vgpr 22
		.amdhsa_next_free_sgpr 51
		.amdhsa_accum_offset 24
		.amdhsa_reserve_vcc 1
		.amdhsa_float_round_mode_32 0
		.amdhsa_float_round_mode_16_64 0
		.amdhsa_float_denorm_mode_32 3
		.amdhsa_float_denorm_mode_16_64 3
		.amdhsa_dx10_clamp 1
		.amdhsa_ieee_mode 1
		.amdhsa_fp16_overflow 0
		.amdhsa_tg_split 0
		.amdhsa_exception_fp_ieee_invalid_op 0
		.amdhsa_exception_fp_denorm_src 0
		.amdhsa_exception_fp_ieee_div_zero 0
		.amdhsa_exception_fp_ieee_overflow 0
		.amdhsa_exception_fp_ieee_underflow 0
		.amdhsa_exception_fp_ieee_inexact 0
		.amdhsa_exception_int_div_zero 0
	.end_amdhsa_kernel
	.section	.text._ZN9rocsparseL41csrgemm_numeric_fill_block_per_row_kernelILj128ELj16ELj256ELj137ELj32EiifEEvT5_PKS1_S3_NS_24const_host_device_scalarIT6_EEPKT4_S3_PKS5_S9_S3_SB_S6_S9_S3_SB_S9_S3_PS5_21rocsparse_index_base_SD_SD_SD_bbb,"axG",@progbits,_ZN9rocsparseL41csrgemm_numeric_fill_block_per_row_kernelILj128ELj16ELj256ELj137ELj32EiifEEvT5_PKS1_S3_NS_24const_host_device_scalarIT6_EEPKT4_S3_PKS5_S9_S3_SB_S6_S9_S3_SB_S9_S3_PS5_21rocsparse_index_base_SD_SD_SD_bbb,comdat
.Lfunc_end2:
	.size	_ZN9rocsparseL41csrgemm_numeric_fill_block_per_row_kernelILj128ELj16ELj256ELj137ELj32EiifEEvT5_PKS1_S3_NS_24const_host_device_scalarIT6_EEPKT4_S3_PKS5_S9_S3_SB_S6_S9_S3_SB_S9_S3_PS5_21rocsparse_index_base_SD_SD_SD_bbb, .Lfunc_end2-_ZN9rocsparseL41csrgemm_numeric_fill_block_per_row_kernelILj128ELj16ELj256ELj137ELj32EiifEEvT5_PKS1_S3_NS_24const_host_device_scalarIT6_EEPKT4_S3_PKS5_S9_S3_SB_S6_S9_S3_SB_S9_S3_PS5_21rocsparse_index_base_SD_SD_SD_bbb
                                        ; -- End function
	.set _ZN9rocsparseL41csrgemm_numeric_fill_block_per_row_kernelILj128ELj16ELj256ELj137ELj32EiifEEvT5_PKS1_S3_NS_24const_host_device_scalarIT6_EEPKT4_S3_PKS5_S9_S3_SB_S6_S9_S3_SB_S9_S3_PS5_21rocsparse_index_base_SD_SD_SD_bbb.num_vgpr, 22
	.set _ZN9rocsparseL41csrgemm_numeric_fill_block_per_row_kernelILj128ELj16ELj256ELj137ELj32EiifEEvT5_PKS1_S3_NS_24const_host_device_scalarIT6_EEPKT4_S3_PKS5_S9_S3_SB_S6_S9_S3_SB_S9_S3_PS5_21rocsparse_index_base_SD_SD_SD_bbb.num_agpr, 0
	.set _ZN9rocsparseL41csrgemm_numeric_fill_block_per_row_kernelILj128ELj16ELj256ELj137ELj32EiifEEvT5_PKS1_S3_NS_24const_host_device_scalarIT6_EEPKT4_S3_PKS5_S9_S3_SB_S6_S9_S3_SB_S9_S3_PS5_21rocsparse_index_base_SD_SD_SD_bbb.numbered_sgpr, 51
	.set _ZN9rocsparseL41csrgemm_numeric_fill_block_per_row_kernelILj128ELj16ELj256ELj137ELj32EiifEEvT5_PKS1_S3_NS_24const_host_device_scalarIT6_EEPKT4_S3_PKS5_S9_S3_SB_S6_S9_S3_SB_S9_S3_PS5_21rocsparse_index_base_SD_SD_SD_bbb.num_named_barrier, 0
	.set _ZN9rocsparseL41csrgemm_numeric_fill_block_per_row_kernelILj128ELj16ELj256ELj137ELj32EiifEEvT5_PKS1_S3_NS_24const_host_device_scalarIT6_EEPKT4_S3_PKS5_S9_S3_SB_S6_S9_S3_SB_S9_S3_PS5_21rocsparse_index_base_SD_SD_SD_bbb.private_seg_size, 0
	.set _ZN9rocsparseL41csrgemm_numeric_fill_block_per_row_kernelILj128ELj16ELj256ELj137ELj32EiifEEvT5_PKS1_S3_NS_24const_host_device_scalarIT6_EEPKT4_S3_PKS5_S9_S3_SB_S6_S9_S3_SB_S9_S3_PS5_21rocsparse_index_base_SD_SD_SD_bbb.uses_vcc, 1
	.set _ZN9rocsparseL41csrgemm_numeric_fill_block_per_row_kernelILj128ELj16ELj256ELj137ELj32EiifEEvT5_PKS1_S3_NS_24const_host_device_scalarIT6_EEPKT4_S3_PKS5_S9_S3_SB_S6_S9_S3_SB_S9_S3_PS5_21rocsparse_index_base_SD_SD_SD_bbb.uses_flat_scratch, 0
	.set _ZN9rocsparseL41csrgemm_numeric_fill_block_per_row_kernelILj128ELj16ELj256ELj137ELj32EiifEEvT5_PKS1_S3_NS_24const_host_device_scalarIT6_EEPKT4_S3_PKS5_S9_S3_SB_S6_S9_S3_SB_S9_S3_PS5_21rocsparse_index_base_SD_SD_SD_bbb.has_dyn_sized_stack, 0
	.set _ZN9rocsparseL41csrgemm_numeric_fill_block_per_row_kernelILj128ELj16ELj256ELj137ELj32EiifEEvT5_PKS1_S3_NS_24const_host_device_scalarIT6_EEPKT4_S3_PKS5_S9_S3_SB_S6_S9_S3_SB_S9_S3_PS5_21rocsparse_index_base_SD_SD_SD_bbb.has_recursion, 0
	.set _ZN9rocsparseL41csrgemm_numeric_fill_block_per_row_kernelILj128ELj16ELj256ELj137ELj32EiifEEvT5_PKS1_S3_NS_24const_host_device_scalarIT6_EEPKT4_S3_PKS5_S9_S3_SB_S6_S9_S3_SB_S9_S3_PS5_21rocsparse_index_base_SD_SD_SD_bbb.has_indirect_call, 0
	.section	.AMDGPU.csdata,"",@progbits
; Kernel info:
; codeLenInByte = 2572
; TotalNumSgprs: 57
; NumVgprs: 22
; NumAgprs: 0
; TotalNumVgprs: 22
; ScratchSize: 0
; MemoryBound: 0
; FloatMode: 240
; IeeeMode: 1
; LDSByteSize: 0 bytes/workgroup (compile time only)
; SGPRBlocks: 7
; VGPRBlocks: 2
; NumSGPRsForWavesPerEU: 57
; NumVGPRsForWavesPerEU: 22
; AccumOffset: 24
; Occupancy: 8
; WaveLimiterHint : 1
; COMPUTE_PGM_RSRC2:SCRATCH_EN: 0
; COMPUTE_PGM_RSRC2:USER_SGPR: 2
; COMPUTE_PGM_RSRC2:TRAP_HANDLER: 0
; COMPUTE_PGM_RSRC2:TGID_X_EN: 1
; COMPUTE_PGM_RSRC2:TGID_Y_EN: 0
; COMPUTE_PGM_RSRC2:TGID_Z_EN: 0
; COMPUTE_PGM_RSRC2:TIDIG_COMP_CNT: 0
; COMPUTE_PGM_RSRC3_GFX90A:ACCUM_OFFSET: 5
; COMPUTE_PGM_RSRC3_GFX90A:TG_SPLIT: 0
	.section	.text._ZN9rocsparseL41csrgemm_numeric_fill_block_per_row_kernelILj128ELj16ELj256ELj137ELj64EiifEEvT5_PKS1_S3_NS_24const_host_device_scalarIT6_EEPKT4_S3_PKS5_S9_S3_SB_S6_S9_S3_SB_S9_S3_PS5_21rocsparse_index_base_SD_SD_SD_bbb,"axG",@progbits,_ZN9rocsparseL41csrgemm_numeric_fill_block_per_row_kernelILj128ELj16ELj256ELj137ELj64EiifEEvT5_PKS1_S3_NS_24const_host_device_scalarIT6_EEPKT4_S3_PKS5_S9_S3_SB_S6_S9_S3_SB_S9_S3_PS5_21rocsparse_index_base_SD_SD_SD_bbb,comdat
	.globl	_ZN9rocsparseL41csrgemm_numeric_fill_block_per_row_kernelILj128ELj16ELj256ELj137ELj64EiifEEvT5_PKS1_S3_NS_24const_host_device_scalarIT6_EEPKT4_S3_PKS5_S9_S3_SB_S6_S9_S3_SB_S9_S3_PS5_21rocsparse_index_base_SD_SD_SD_bbb ; -- Begin function _ZN9rocsparseL41csrgemm_numeric_fill_block_per_row_kernelILj128ELj16ELj256ELj137ELj64EiifEEvT5_PKS1_S3_NS_24const_host_device_scalarIT6_EEPKT4_S3_PKS5_S9_S3_SB_S6_S9_S3_SB_S9_S3_PS5_21rocsparse_index_base_SD_SD_SD_bbb
	.p2align	8
	.type	_ZN9rocsparseL41csrgemm_numeric_fill_block_per_row_kernelILj128ELj16ELj256ELj137ELj64EiifEEvT5_PKS1_S3_NS_24const_host_device_scalarIT6_EEPKT4_S3_PKS5_S9_S3_SB_S6_S9_S3_SB_S9_S3_PS5_21rocsparse_index_base_SD_SD_SD_bbb,@function
_ZN9rocsparseL41csrgemm_numeric_fill_block_per_row_kernelILj128ELj16ELj256ELj137ELj64EiifEEvT5_PKS1_S3_NS_24const_host_device_scalarIT6_EEPKT4_S3_PKS5_S9_S3_SB_S6_S9_S3_SB_S9_S3_PS5_21rocsparse_index_base_SD_SD_SD_bbb: ; @_ZN9rocsparseL41csrgemm_numeric_fill_block_per_row_kernelILj128ELj16ELj256ELj137ELj64EiifEEvT5_PKS1_S3_NS_24const_host_device_scalarIT6_EEPKT4_S3_PKS5_S9_S3_SB_S6_S9_S3_SB_S9_S3_PS5_21rocsparse_index_base_SD_SD_SD_bbb
; %bb.0:
	s_load_dword s3, s[0:1], 0x98
	s_load_dwordx2 s[8:9], s[0:1], 0x18
	s_load_dwordx2 s[6:7], s[0:1], 0x50
	s_waitcnt lgkmcnt(0)
	s_bitcmp1_b32 s3, 0
	s_cselect_b64 s[4:5], -1, 0
	s_bitcmp1_b32 s3, 16
	s_cselect_b64 s[10:11], -1, 0
	s_xor_b64 s[12:13], s[4:5], -1
	s_or_b64 s[12:13], s[10:11], s[12:13]
	s_and_b64 vcc, exec, s[12:13]
	s_cbranch_vccnz .LBB3_2
; %bb.1:
	s_load_dword s8, s[8:9], 0x0
	s_waitcnt lgkmcnt(0)
	v_mov_b32_e32 v8, s8
	s_branch .LBB3_3
.LBB3_2:
	v_mov_b32_e32 v1, s8
	v_cndmask_b32_e64 v8, 0, v1, s[4:5]
.LBB3_3:
	s_load_dwordx4 s[20:23], s[0:1], 0x88
	s_bitcmp1_b32 s3, 8
	s_cselect_b64 s[8:9], -1, 0
	s_xor_b64 s[12:13], s[8:9], -1
	s_or_b64 s[10:11], s[10:11], s[12:13]
	s_and_b64 vcc, exec, s[10:11]
	s_cbranch_vccnz .LBB3_5
; %bb.4:
	s_load_dword s3, s[6:7], 0x0
	s_waitcnt lgkmcnt(0)
	v_mov_b32_e32 v6, s3
	s_branch .LBB3_6
.LBB3_5:
	v_mov_b32_e32 v1, s6
	v_cndmask_b32_e64 v6, 0, v1, s[8:9]
.LBB3_6:
	s_load_dwordx2 s[10:11], s[0:1], 0x80
	s_load_dwordx2 s[34:35], s[0:1], 0x70
	;; [unrolled: 1-line block ×3, first 2 shown]
	s_load_dwordx8 s[12:19], s[0:1], 0x20
	s_load_dwordx4 s[36:39], s[0:1], 0x8
	s_load_dword s33, s[0:1], 0x0
	s_movk_i32 s3, 0x100
	v_cmp_gt_u32_e64 s[6:7], s3, v0
	v_lshl_add_u32 v1, v0, 2, 0
	s_and_saveexec_b64 s[24:25], s[6:7]
	s_cbranch_execz .LBB3_9
; %bb.7:
	v_or_b32_e32 v2, 0xffffff80, v0
	v_lshl_add_u32 v3, v0, 2, 0
	s_mov_b64 s[26:27], 0
	s_waitcnt lgkmcnt(0)
	v_mov_b32_e32 v4, s33
	v_mov_b32_e32 v5, 0
.LBB3_8:                                ; =>This Inner Loop Header: Depth=1
	v_add_co_u32_e32 v2, vcc, 0x80, v2
	s_xor_b64 s[28:29], vcc, -1
	s_and_b64 s[28:29], exec, s[28:29]
	ds_write2st64_b32 v3, v4, v5 offset1:4
	s_or_b64 s[26:27], s[28:29], s[26:27]
	v_add_u32_e32 v3, 0x200, v3
	s_andn2_b64 exec, exec, s[26:27]
	s_cbranch_execnz .LBB3_8
.LBB3_9:
	s_or_b64 exec, exec, s[24:25]
	s_load_dwordx4 s[24:27], s[0:1], 0x60
	s_load_dwordx4 s[28:31], s[0:1], 0x40
	s_waitcnt lgkmcnt(0)
	s_barrier
	s_load_dword s0, s[36:37], 0x0
	s_mov_b32 s1, 0
	v_lshrrev_b32_e32 v7, 4, v0
	s_waitcnt lgkmcnt(0)
	s_add_i32 s0, s0, s2
	s_lshl_b64 s[0:1], s[0:1], 2
	s_add_u32 s0, s38, s0
	s_addc_u32 s1, s39, s1
	s_load_dword s36, s[0:1], 0x0
	s_and_b64 vcc, exec, s[4:5]
	s_cbranch_vccz .LBB3_27
; %bb.10:
	s_waitcnt lgkmcnt(0)
	s_ashr_i32 s37, s36, 31
	s_lshl_b64 s[0:1], s[36:37], 2
	s_add_u32 s0, s12, s0
	s_addc_u32 s1, s13, s1
	s_load_dwordx2 s[2:3], s[0:1], 0x0
	v_subrev_u32_e32 v2, s20, v7
	s_waitcnt lgkmcnt(0)
	s_sub_i32 s37, s3, s20
	v_add_u32_e32 v2, s2, v2
	v_cmp_gt_i32_e32 vcc, s37, v2
	s_and_saveexec_b64 s[0:1], vcc
	s_cbranch_execz .LBB3_26
; %bb.11:
	v_and_b32_e32 v3, 15, v0
	v_subrev_u32_e32 v9, s21, v3
	s_mov_b64 s[2:3], 0
	s_movk_i32 s50, 0x89
	s_branch .LBB3_13
.LBB3_12:                               ;   in Loop: Header=BB3_13 Depth=1
	s_or_b64 exec, exec, s[4:5]
	v_add_u32_e32 v2, 8, v2
	v_cmp_le_i32_e32 vcc, s37, v2
	s_or_b64 s[2:3], vcc, s[2:3]
	s_andn2_b64 exec, exec, s[2:3]
	s_cbranch_execz .LBB3_26
.LBB3_13:                               ; =>This Loop Header: Depth=1
                                        ;     Child Loop BB3_17 Depth 2
                                        ;       Child Loop BB3_20 Depth 3
	v_ashrrev_i32_e32 v3, 31, v2
	v_lshl_add_u64 v[4:5], v[2:3], 2, s[14:15]
	global_load_dword v4, v[4:5], off
	s_waitcnt vmcnt(0)
	v_subrev_u32_e32 v4, s20, v4
	v_ashrrev_i32_e32 v5, 31, v4
	v_lshl_add_u64 v[4:5], v[4:5], 2, s[18:19]
	global_load_dwordx2 v[4:5], v[4:5], off
	s_waitcnt vmcnt(0)
	v_subrev_u32_e32 v10, s21, v5
	v_add_u32_e32 v4, v4, v9
	v_cmp_lt_i32_e32 vcc, v4, v10
	s_and_saveexec_b64 s[4:5], vcc
	s_cbranch_execz .LBB3_12
; %bb.14:                               ;   in Loop: Header=BB3_13 Depth=1
	v_lshl_add_u64 v[12:13], v[2:3], 2, s[16:17]
	global_load_dword v3, v[12:13], off
	s_mov_b64 s[12:13], 0
	s_waitcnt vmcnt(0)
	v_mul_f32_e32 v3, v8, v3
	s_branch .LBB3_17
.LBB3_15:                               ;   in Loop: Header=BB3_17 Depth=2
	s_or_b64 exec, exec, s[42:43]
.LBB3_16:                               ;   in Loop: Header=BB3_17 Depth=2
	s_or_b64 exec, exec, s[38:39]
	s_waitcnt vmcnt(0)
	v_mul_f32_e32 v5, v3, v5
	v_lshl_add_u32 v11, v11, 2, 0
	ds_add_f32 v11, v5 offset:1024
	v_add_u32_e32 v4, 16, v4
	v_cmp_ge_i32_e32 vcc, v4, v10
	s_or_b64 s[12:13], vcc, s[12:13]
	s_andn2_b64 exec, exec, s[12:13]
	s_cbranch_execz .LBB3_12
.LBB3_17:                               ;   Parent Loop BB3_13 Depth=1
                                        ; =>  This Loop Header: Depth=2
                                        ;       Child Loop BB3_20 Depth 3
	v_ashrrev_i32_e32 v5, 31, v4
	v_lshlrev_b64 v[12:13], 2, v[4:5]
	v_lshl_add_u64 v[14:15], s[28:29], 0, v[12:13]
	global_load_dword v11, v[14:15], off
	v_lshl_add_u64 v[12:13], s[30:31], 0, v[12:13]
	global_load_dword v5, v[12:13], off
	s_waitcnt vmcnt(1)
	v_subrev_u32_e32 v12, s21, v11
	v_mul_lo_u32 v11, v12, s50
	v_and_b32_e32 v11, 0xff, v11
	v_lshl_add_u32 v13, v11, 2, 0
	ds_read_b32 v14, v13
	s_waitcnt lgkmcnt(0)
	v_cmp_ne_u32_e32 vcc, v14, v12
	s_and_saveexec_b64 s[38:39], vcc
	s_cbranch_execz .LBB3_16
; %bb.18:                               ;   in Loop: Header=BB3_17 Depth=2
	s_mov_b64 s[42:43], 0
	s_branch .LBB3_20
.LBB3_19:                               ;   in Loop: Header=BB3_20 Depth=3
	s_or_b64 exec, exec, s[48:49]
	s_and_b64 s[44:45], exec, s[46:47]
	s_or_b64 s[42:43], s[44:45], s[42:43]
	s_andn2_b64 exec, exec, s[42:43]
	s_cbranch_execz .LBB3_15
.LBB3_20:                               ;   Parent Loop BB3_13 Depth=1
                                        ;     Parent Loop BB3_17 Depth=2
                                        ; =>    This Inner Loop Header: Depth=3
	v_cmp_ne_u32_e32 vcc, s33, v14
	s_mov_b64 s[44:45], 0
	s_and_saveexec_b64 s[46:47], vcc
	s_xor_b64 s[46:47], exec, s[46:47]
	s_cbranch_execz .LBB3_22
; %bb.21:                               ;   in Loop: Header=BB3_20 Depth=3
	v_add_u32_e32 v11, 1, v11
	s_mov_b64 s[44:45], exec
	v_and_b32_e32 v11, 0xff, v11
                                        ; implicit-def: $vgpr13
	s_andn2_saveexec_b64 s[46:47], s[46:47]
	s_cbranch_execz .LBB3_24
	s_branch .LBB3_23
.LBB3_22:                               ;   in Loop: Header=BB3_20 Depth=3
	s_andn2_saveexec_b64 s[46:47], s[46:47]
	s_cbranch_execz .LBB3_24
.LBB3_23:                               ;   in Loop: Header=BB3_20 Depth=3
	v_mov_b32_e32 v14, s33
	ds_cmpst_rtn_b32 v13, v13, v14, v12
	s_andn2_b64 s[44:45], s[44:45], exec
	s_waitcnt lgkmcnt(0)
	v_cmp_ne_u32_e32 vcc, s33, v13
	s_and_b64 s[48:49], vcc, exec
	s_or_b64 s[44:45], s[44:45], s[48:49]
.LBB3_24:                               ;   in Loop: Header=BB3_20 Depth=3
	s_or_b64 exec, exec, s[46:47]
	s_mov_b64 s[46:47], -1
                                        ; implicit-def: $vgpr13
                                        ; implicit-def: $vgpr14
	s_and_saveexec_b64 s[48:49], s[44:45]
	s_cbranch_execz .LBB3_19
; %bb.25:                               ;   in Loop: Header=BB3_20 Depth=3
	v_lshl_add_u32 v13, v11, 2, 0
	ds_read_b32 v14, v13
	s_waitcnt lgkmcnt(0)
	v_cmp_eq_u32_e32 vcc, v14, v12
	s_orn2_b64 s[46:47], vcc, exec
	s_branch .LBB3_19
.LBB3_26:
	s_or_b64 exec, exec, s[0:1]
.LBB3_27:
	s_andn2_b64 vcc, exec, s[8:9]
	s_cbranch_vccnz .LBB3_42
; %bb.28:
	s_waitcnt lgkmcnt(0)
	s_ashr_i32 s37, s36, 31
	s_lshl_b64 s[0:1], s[36:37], 2
	s_add_u32 s0, s40, s0
	s_addc_u32 s1, s41, s1
	s_load_dwordx2 s[2:3], s[0:1], 0x0
	v_subrev_u32_e32 v2, s23, v0
	s_waitcnt lgkmcnt(0)
	s_sub_i32 s18, s3, s23
	v_add_u32_e32 v2, s2, v2
	v_cmp_gt_i32_e32 vcc, s18, v2
	s_and_saveexec_b64 s[0:1], vcc
	s_cbranch_execz .LBB3_41
; %bb.29:
	s_mov_b64 s[2:3], 0
	s_movk_i32 s19, 0x89
	s_branch .LBB3_32
.LBB3_30:                               ;   in Loop: Header=BB3_32 Depth=1
	s_or_b64 exec, exec, s[8:9]
.LBB3_31:                               ;   in Loop: Header=BB3_32 Depth=1
	s_or_b64 exec, exec, s[4:5]
	s_waitcnt vmcnt(0)
	v_mul_f32_e32 v3, v6, v3
	v_lshl_add_u32 v4, v4, 2, 0
	ds_add_f32 v4, v3 offset:1024
	v_add_u32_e32 v2, 0x80, v2
	v_cmp_le_i32_e32 vcc, s18, v2
	s_or_b64 s[2:3], vcc, s[2:3]
	s_andn2_b64 exec, exec, s[2:3]
	s_cbranch_execz .LBB3_41
.LBB3_32:                               ; =>This Loop Header: Depth=1
                                        ;     Child Loop BB3_35 Depth 2
	v_ashrrev_i32_e32 v3, 31, v2
	v_lshlrev_b64 v[4:5], 2, v[2:3]
	v_lshl_add_u64 v[8:9], s[24:25], 0, v[4:5]
	global_load_dword v8, v[8:9], off
	v_lshl_add_u64 v[4:5], s[26:27], 0, v[4:5]
	global_load_dword v3, v[4:5], off
	s_waitcnt vmcnt(1)
	v_subrev_u32_e32 v5, s23, v8
	v_mul_lo_u32 v4, v5, s19
	v_and_b32_e32 v4, 0xff, v4
	v_lshl_add_u32 v8, v4, 2, 0
	ds_read_b32 v9, v8
	s_waitcnt lgkmcnt(0)
	v_cmp_ne_u32_e32 vcc, v9, v5
	s_and_saveexec_b64 s[4:5], vcc
	s_cbranch_execz .LBB3_31
; %bb.33:                               ;   in Loop: Header=BB3_32 Depth=1
	s_mov_b64 s[8:9], 0
	s_branch .LBB3_35
.LBB3_34:                               ;   in Loop: Header=BB3_35 Depth=2
	s_or_b64 exec, exec, s[16:17]
	s_and_b64 s[12:13], exec, s[14:15]
	s_or_b64 s[8:9], s[12:13], s[8:9]
	s_andn2_b64 exec, exec, s[8:9]
	s_cbranch_execz .LBB3_30
.LBB3_35:                               ;   Parent Loop BB3_32 Depth=1
                                        ; =>  This Inner Loop Header: Depth=2
	v_cmp_ne_u32_e32 vcc, s33, v9
	s_mov_b64 s[12:13], 0
	s_and_saveexec_b64 s[14:15], vcc
	s_xor_b64 s[14:15], exec, s[14:15]
	s_cbranch_execz .LBB3_37
; %bb.36:                               ;   in Loop: Header=BB3_35 Depth=2
	v_add_u32_e32 v4, 1, v4
	s_mov_b64 s[12:13], exec
	v_and_b32_e32 v4, 0xff, v4
                                        ; implicit-def: $vgpr8
	s_andn2_saveexec_b64 s[14:15], s[14:15]
	s_cbranch_execz .LBB3_39
	s_branch .LBB3_38
.LBB3_37:                               ;   in Loop: Header=BB3_35 Depth=2
	s_andn2_saveexec_b64 s[14:15], s[14:15]
	s_cbranch_execz .LBB3_39
.LBB3_38:                               ;   in Loop: Header=BB3_35 Depth=2
	v_mov_b32_e32 v9, s33
	ds_cmpst_rtn_b32 v8, v8, v9, v5
	s_andn2_b64 s[12:13], s[12:13], exec
	s_waitcnt lgkmcnt(0)
	v_cmp_ne_u32_e32 vcc, s33, v8
	s_and_b64 s[16:17], vcc, exec
	s_or_b64 s[12:13], s[12:13], s[16:17]
.LBB3_39:                               ;   in Loop: Header=BB3_35 Depth=2
	s_or_b64 exec, exec, s[14:15]
	s_mov_b64 s[14:15], -1
                                        ; implicit-def: $vgpr8
                                        ; implicit-def: $vgpr9
	s_and_saveexec_b64 s[16:17], s[12:13]
	s_cbranch_execz .LBB3_34
; %bb.40:                               ;   in Loop: Header=BB3_35 Depth=2
	v_lshl_add_u32 v8, v4, 2, 0
	ds_read_b32 v9, v8
	s_waitcnt lgkmcnt(0)
	v_cmp_eq_u32_e32 vcc, v9, v5
	s_orn2_b64 s[14:15], vcc, exec
	s_branch .LBB3_34
.LBB3_41:
	s_or_b64 exec, exec, s[0:1]
.LBB3_42:
	s_waitcnt lgkmcnt(0)
	s_barrier
	s_and_saveexec_b64 s[4:5], s[6:7]
	s_cbranch_execz .LBB3_51
; %bb.43:
	v_mbcnt_lo_u32_b32 v2, -1, 0
	v_mbcnt_hi_u32_b32 v2, -1, v2
	v_sub_u32_e32 v2, 63, v2
	v_and_b32_e32 v4, 4, v7
	s_movk_i32 s2, 0x7f
	v_mov_b32_e32 v6, 0
	v_lshrrev_b64 v[2:3], v2, -1
	v_add_u32_e32 v7, 0, v4
	v_cmp_lt_u32_e64 s[0:1], 63, v0
	v_cmp_eq_u32_e64 s[2:3], s2, v0
	v_or_b32_e32 v8, 0xffffff80, v0
	s_mov_b64 s[6:7], 0
	v_mov_b32_e32 v9, 0
	s_branch .LBB3_45
.LBB3_44:                               ;   in Loop: Header=BB3_45 Depth=1
	s_or_b64 exec, exec, s[8:9]
	s_waitcnt lgkmcnt(0)
	s_barrier
	ds_read_b32 v4, v6 offset:2052
	v_add_co_u32_e32 v8, vcc, 0x80, v8
	s_xor_b64 s[8:9], vcc, -1
	s_and_b64 s[8:9], exec, s[8:9]
	s_waitcnt lgkmcnt(0)
	v_add_u32_e32 v9, v4, v9
	s_or_b64 s[6:7], s[8:9], s[6:7]
	v_add_u32_e32 v1, 0x200, v1
	s_andn2_b64 exec, exec, s[6:7]
	s_cbranch_execz .LBB3_51
.LBB3_45:                               ; =>This Inner Loop Header: Depth=1
	ds_read2st64_b32 v[4:5], v1 offset1:4
	s_waitcnt lgkmcnt(0)
	s_barrier
	v_cmp_gt_i32_e32 vcc, s33, v4
	s_bcnt1_i32_b64 s8, vcc
	s_nop 0
	v_and_b32_e32 v11, vcc_lo, v2
	v_and_b32_e32 v10, vcc_hi, v3
	v_bcnt_u32_b32 v11, v11, 0
	v_bcnt_u32_b32 v10, v10, v11
	v_mov_b32_e32 v11, s8
	ds_write_b32 v7, v11 offset:2048
	s_waitcnt lgkmcnt(0)
	s_barrier
	s_and_saveexec_b64 s[8:9], s[0:1]
	s_cbranch_execz .LBB3_48
; %bb.46:                               ;   in Loop: Header=BB3_45 Depth=1
	ds_read_b32 v11, v6 offset:2048
	s_waitcnt lgkmcnt(0)
	v_add_u32_e32 v10, v11, v10
	s_or_b64 exec, exec, s[8:9]
	s_and_saveexec_b64 s[8:9], vcc
	s_cbranch_execnz .LBB3_49
.LBB3_47:                               ;   in Loop: Header=BB3_45 Depth=1
	s_or_b64 exec, exec, s[8:9]
	s_and_saveexec_b64 s[8:9], s[2:3]
	s_cbranch_execz .LBB3_44
	s_branch .LBB3_50
.LBB3_48:                               ;   in Loop: Header=BB3_45 Depth=1
	s_or_b64 exec, exec, s[8:9]
	s_and_saveexec_b64 s[8:9], vcc
	s_cbranch_execz .LBB3_47
.LBB3_49:                               ;   in Loop: Header=BB3_45 Depth=1
	v_add3_u32 v11, v9, -1, v10
	v_lshl_add_u32 v11, v11, 2, 0
	v_add_u32_e32 v12, v9, v10
	v_lshl_add_u32 v12, v12, 2, 0
	ds_write_b32 v11, v4
	ds_write_b32 v12, v5 offset:1020
	s_or_b64 exec, exec, s[8:9]
	s_and_saveexec_b64 s[8:9], s[2:3]
	s_cbranch_execz .LBB3_44
.LBB3_50:                               ;   in Loop: Header=BB3_45 Depth=1
	ds_write_b32 v6, v10 offset:2052
	s_branch .LBB3_44
.LBB3_51:
	s_or_b64 exec, exec, s[4:5]
	s_ashr_i32 s37, s36, 31
	s_lshl_b64 s[0:1], s[36:37], 2
	s_add_u32 s2, s34, s0
	s_addc_u32 s3, s35, s1
	s_load_dwordx2 s[0:1], s[2:3], 0x0
	s_waitcnt lgkmcnt(0)
	s_sub_i32 s16, s1, s0
	v_cmp_gt_i32_e32 vcc, s16, v0
	s_and_saveexec_b64 s[2:3], vcc
	s_cbranch_execz .LBB3_65
; %bb.52:
	s_sub_i32 s8, s0, s22
	v_sub_co_u32_e64 v1, s[0:1], s16, 2
	s_nop 0
	v_readfirstlane_b32 s2, v1
	s_lshr_b32 s2, s2, 1
	s_add_i32 s2, s2, 1
	s_xor_b64 s[0:1], s[0:1], -1
	s_and_b32 s17, s16, -2
	s_and_b32 s3, s2, 7
	s_and_b32 s18, s2, -8
	s_cmp_lg_u32 s3, 0
	v_cmp_lt_u32_e32 vcc, 13, v1
	s_cselect_b64 s[4:5], -1, 0
	s_cmp_lg_u32 s16, s17
	v_cndmask_b32_e64 v1, 0, 1, vcc
	s_cselect_b64 s[12:13], -1, 0
	s_lshl_b32 s19, s3, 3
	v_cndmask_b32_e64 v2, 0, 1, s[0:1]
	v_cmp_ne_u32_e64 s[2:3], 1, v1
	v_cndmask_b32_e64 v1, 0, 1, s[4:5]
	s_mov_b32 s9, 0
	s_mov_b64 s[14:15], 0
	v_cmp_ne_u32_e64 s[0:1], 1, v2
	v_cmp_ne_u32_e64 s[4:5], 1, v1
	s_branch .LBB3_54
.LBB3_53:                               ;   in Loop: Header=BB3_54 Depth=1
	v_add_u32_e32 v0, 0x80, v0
	v_ashrrev_i32_e32 v5, 31, v4
	v_cmp_le_i32_e32 vcc, s16, v0
	v_lshl_add_u64 v[4:5], v[4:5], 2, s[10:11]
	s_or_b64 s[14:15], vcc, s[14:15]
	s_waitcnt lgkmcnt(0)
	global_store_dword v[4:5], v3, off
	s_andn2_b64 exec, exec, s[14:15]
	s_cbranch_execz .LBB3_65
.LBB3_54:                               ; =>This Loop Header: Depth=1
                                        ;     Child Loop BB3_57 Depth 2
                                        ;     Child Loop BB3_60 Depth 2
	;; [unrolled: 1-line block ×3, first 2 shown]
	v_lshl_add_u32 v1, v0, 2, 0
	ds_read2st64_b32 v[2:3], v1 offset1:4
	s_and_b64 vcc, exec, s[0:1]
	v_mov_b32_e32 v4, s8
	s_mov_b32 s20, 0
	s_mov_b64 s[6:7], -1
	s_cbranch_vccnz .LBB3_62
; %bb.55:                               ;   in Loop: Header=BB3_54 Depth=1
	s_and_b64 vcc, exec, s[2:3]
	v_mov_b64_e32 v[4:5], s[8:9]
	s_cbranch_vccnz .LBB3_58
; %bb.56:                               ;   in Loop: Header=BB3_54 Depth=1
	s_mov_b32 s21, 0
	v_mov_b32_e32 v4, s8
	v_mov_b32_e32 v5, 0
	s_mov_b32 s22, s18
.LBB3_57:                               ;   Parent Loop BB3_54 Depth=1
                                        ; =>  This Inner Loop Header: Depth=2
	v_mov_b32_e32 v1, s21
	ds_read2_b32 v[6:7], v1 offset1:1
	ds_read2_b32 v[8:9], v1 offset0:2 offset1:3
	ds_read2_b32 v[10:11], v1 offset0:4 offset1:5
	;; [unrolled: 1-line block ×7, first 2 shown]
	s_waitcnt lgkmcnt(7)
	v_cmp_gt_i32_e32 vcc, v2, v7
	s_waitcnt lgkmcnt(5)
	v_cmp_gt_i32_e64 s[6:7], v2, v10
	s_add_i32 s20, s20, 16
	v_cndmask_b32_e64 v1, 0, 1, vcc
	v_cmp_gt_i32_e32 vcc, v2, v6
	v_cndmask_b32_e64 v7, 0, 1, s[6:7]
	v_cmp_gt_i32_e64 s[6:7], v2, v11
	v_cndmask_b32_e64 v6, 0, 1, vcc
	v_cmp_gt_i32_e32 vcc, v2, v9
	v_cndmask_b32_e64 v9, 0, 1, s[6:7]
	s_waitcnt lgkmcnt(3)
	v_cmp_gt_i32_e64 s[6:7], v2, v15
	v_addc_co_u32_e32 v1, vcc, v5, v1, vcc
	s_nop 0
	v_cndmask_b32_e64 v10, 0, 1, s[6:7]
	v_cmp_gt_i32_e64 s[6:7], v2, v14
	v_cmp_gt_i32_e32 vcc, v2, v12
	s_add_i32 s21, s21, 64
	v_cndmask_b32_e64 v11, 0, 1, s[6:7]
	s_waitcnt lgkmcnt(1)
	v_cmp_gt_i32_e64 s[6:7], v2, v18
	s_add_i32 s22, s22, -8
	s_cmp_lg_u32 s22, 0
	v_cndmask_b32_e64 v14, 0, 1, s[6:7]
	v_cmp_gt_i32_e64 s[6:7], v2, v19
	s_nop 1
	v_cndmask_b32_e64 v15, 0, 1, s[6:7]
	v_cmp_gt_i32_e64 s[6:7], v2, v8
	s_nop 1
	v_addc_co_u32_e64 v4, s[6:7], v4, v6, s[6:7]
	v_cmp_gt_i32_e64 s[6:7], v2, v13
	v_addc_co_u32_e32 v4, vcc, v4, v7, vcc
	s_nop 0
	v_addc_co_u32_e64 v1, s[6:7], v1, v9, s[6:7]
	v_cmp_gt_i32_e32 vcc, v2, v17
	v_cmp_gt_i32_e64 s[6:7], v2, v16
	s_nop 0
	v_addc_co_u32_e32 v1, vcc, v1, v10, vcc
	v_addc_co_u32_e64 v4, s[6:7], v4, v11, s[6:7]
	s_waitcnt lgkmcnt(0)
	v_cmp_gt_i32_e32 vcc, v2, v20
	v_cmp_gt_i32_e64 s[6:7], v2, v21
	s_nop 0
	v_addc_co_u32_e32 v4, vcc, v4, v14, vcc
	v_addc_co_u32_e64 v5, s[6:7], v1, v15, s[6:7]
	s_cbranch_scc1 .LBB3_57
.LBB3_58:                               ;   in Loop: Header=BB3_54 Depth=1
	s_and_b64 vcc, exec, s[4:5]
	s_cbranch_vccnz .LBB3_61
; %bb.59:                               ;   in Loop: Header=BB3_54 Depth=1
	s_lshl_b32 s6, s20, 2
	s_add_i32 s6, s6, 0
	s_mov_b32 s7, s19
.LBB3_60:                               ;   Parent Loop BB3_54 Depth=1
                                        ; =>  This Inner Loop Header: Depth=2
	v_mov_b32_e32 v1, s6
	ds_read2_b32 v[6:7], v1 offset1:1
	s_add_i32 s6, s6, 8
	s_add_i32 s7, s7, -8
	s_cmp_lg_u32 s7, 0
	s_waitcnt lgkmcnt(0)
	v_cmp_gt_i32_e32 vcc, v2, v7
	s_nop 1
	v_addc_co_u32_e32 v5, vcc, 0, v5, vcc
	v_cmp_gt_i32_e32 vcc, v2, v6
	s_nop 1
	v_addc_co_u32_e32 v4, vcc, 0, v4, vcc
	s_cbranch_scc1 .LBB3_60
.LBB3_61:                               ;   in Loop: Header=BB3_54 Depth=1
	v_add_u32_e32 v4, v4, v5
	s_mov_b32 s20, s17
	s_mov_b64 s[6:7], s[12:13]
.LBB3_62:                               ;   in Loop: Header=BB3_54 Depth=1
	s_and_b64 vcc, exec, s[6:7]
	s_cbranch_vccz .LBB3_53
; %bb.63:                               ;   in Loop: Header=BB3_54 Depth=1
	s_lshl_b32 s6, s20, 2
	s_add_i32 s6, s6, 0
.LBB3_64:                               ;   Parent Loop BB3_54 Depth=1
                                        ; =>  This Inner Loop Header: Depth=2
	v_mov_b32_e32 v1, s6
	ds_read_b32 v1, v1
	s_add_i32 s20, s20, 1
	s_add_i32 s6, s6, 4
	s_cmp_ge_i32 s20, s16
	s_waitcnt lgkmcnt(0)
	v_cmp_gt_i32_e32 vcc, v2, v1
	s_nop 1
	v_addc_co_u32_e32 v4, vcc, 0, v4, vcc
	s_cbranch_scc0 .LBB3_64
	s_branch .LBB3_53
.LBB3_65:
	s_endpgm
	.section	.rodata,"a",@progbits
	.p2align	6, 0x0
	.amdhsa_kernel _ZN9rocsparseL41csrgemm_numeric_fill_block_per_row_kernelILj128ELj16ELj256ELj137ELj64EiifEEvT5_PKS1_S3_NS_24const_host_device_scalarIT6_EEPKT4_S3_PKS5_S9_S3_SB_S6_S9_S3_SB_S9_S3_PS5_21rocsparse_index_base_SD_SD_SD_bbb
		.amdhsa_group_segment_fixed_size 0
		.amdhsa_private_segment_fixed_size 0
		.amdhsa_kernarg_size 156
		.amdhsa_user_sgpr_count 2
		.amdhsa_user_sgpr_dispatch_ptr 0
		.amdhsa_user_sgpr_queue_ptr 0
		.amdhsa_user_sgpr_kernarg_segment_ptr 1
		.amdhsa_user_sgpr_dispatch_id 0
		.amdhsa_user_sgpr_kernarg_preload_length 0
		.amdhsa_user_sgpr_kernarg_preload_offset 0
		.amdhsa_user_sgpr_private_segment_size 0
		.amdhsa_uses_dynamic_stack 0
		.amdhsa_enable_private_segment 0
		.amdhsa_system_sgpr_workgroup_id_x 1
		.amdhsa_system_sgpr_workgroup_id_y 0
		.amdhsa_system_sgpr_workgroup_id_z 0
		.amdhsa_system_sgpr_workgroup_info 0
		.amdhsa_system_vgpr_workitem_id 0
		.amdhsa_next_free_vgpr 22
		.amdhsa_next_free_sgpr 51
		.amdhsa_accum_offset 24
		.amdhsa_reserve_vcc 1
		.amdhsa_float_round_mode_32 0
		.amdhsa_float_round_mode_16_64 0
		.amdhsa_float_denorm_mode_32 3
		.amdhsa_float_denorm_mode_16_64 3
		.amdhsa_dx10_clamp 1
		.amdhsa_ieee_mode 1
		.amdhsa_fp16_overflow 0
		.amdhsa_tg_split 0
		.amdhsa_exception_fp_ieee_invalid_op 0
		.amdhsa_exception_fp_denorm_src 0
		.amdhsa_exception_fp_ieee_div_zero 0
		.amdhsa_exception_fp_ieee_overflow 0
		.amdhsa_exception_fp_ieee_underflow 0
		.amdhsa_exception_fp_ieee_inexact 0
		.amdhsa_exception_int_div_zero 0
	.end_amdhsa_kernel
	.section	.text._ZN9rocsparseL41csrgemm_numeric_fill_block_per_row_kernelILj128ELj16ELj256ELj137ELj64EiifEEvT5_PKS1_S3_NS_24const_host_device_scalarIT6_EEPKT4_S3_PKS5_S9_S3_SB_S6_S9_S3_SB_S9_S3_PS5_21rocsparse_index_base_SD_SD_SD_bbb,"axG",@progbits,_ZN9rocsparseL41csrgemm_numeric_fill_block_per_row_kernelILj128ELj16ELj256ELj137ELj64EiifEEvT5_PKS1_S3_NS_24const_host_device_scalarIT6_EEPKT4_S3_PKS5_S9_S3_SB_S6_S9_S3_SB_S9_S3_PS5_21rocsparse_index_base_SD_SD_SD_bbb,comdat
.Lfunc_end3:
	.size	_ZN9rocsparseL41csrgemm_numeric_fill_block_per_row_kernelILj128ELj16ELj256ELj137ELj64EiifEEvT5_PKS1_S3_NS_24const_host_device_scalarIT6_EEPKT4_S3_PKS5_S9_S3_SB_S6_S9_S3_SB_S9_S3_PS5_21rocsparse_index_base_SD_SD_SD_bbb, .Lfunc_end3-_ZN9rocsparseL41csrgemm_numeric_fill_block_per_row_kernelILj128ELj16ELj256ELj137ELj64EiifEEvT5_PKS1_S3_NS_24const_host_device_scalarIT6_EEPKT4_S3_PKS5_S9_S3_SB_S6_S9_S3_SB_S9_S3_PS5_21rocsparse_index_base_SD_SD_SD_bbb
                                        ; -- End function
	.set _ZN9rocsparseL41csrgemm_numeric_fill_block_per_row_kernelILj128ELj16ELj256ELj137ELj64EiifEEvT5_PKS1_S3_NS_24const_host_device_scalarIT6_EEPKT4_S3_PKS5_S9_S3_SB_S6_S9_S3_SB_S9_S3_PS5_21rocsparse_index_base_SD_SD_SD_bbb.num_vgpr, 22
	.set _ZN9rocsparseL41csrgemm_numeric_fill_block_per_row_kernelILj128ELj16ELj256ELj137ELj64EiifEEvT5_PKS1_S3_NS_24const_host_device_scalarIT6_EEPKT4_S3_PKS5_S9_S3_SB_S6_S9_S3_SB_S9_S3_PS5_21rocsparse_index_base_SD_SD_SD_bbb.num_agpr, 0
	.set _ZN9rocsparseL41csrgemm_numeric_fill_block_per_row_kernelILj128ELj16ELj256ELj137ELj64EiifEEvT5_PKS1_S3_NS_24const_host_device_scalarIT6_EEPKT4_S3_PKS5_S9_S3_SB_S6_S9_S3_SB_S9_S3_PS5_21rocsparse_index_base_SD_SD_SD_bbb.numbered_sgpr, 51
	.set _ZN9rocsparseL41csrgemm_numeric_fill_block_per_row_kernelILj128ELj16ELj256ELj137ELj64EiifEEvT5_PKS1_S3_NS_24const_host_device_scalarIT6_EEPKT4_S3_PKS5_S9_S3_SB_S6_S9_S3_SB_S9_S3_PS5_21rocsparse_index_base_SD_SD_SD_bbb.num_named_barrier, 0
	.set _ZN9rocsparseL41csrgemm_numeric_fill_block_per_row_kernelILj128ELj16ELj256ELj137ELj64EiifEEvT5_PKS1_S3_NS_24const_host_device_scalarIT6_EEPKT4_S3_PKS5_S9_S3_SB_S6_S9_S3_SB_S9_S3_PS5_21rocsparse_index_base_SD_SD_SD_bbb.private_seg_size, 0
	.set _ZN9rocsparseL41csrgemm_numeric_fill_block_per_row_kernelILj128ELj16ELj256ELj137ELj64EiifEEvT5_PKS1_S3_NS_24const_host_device_scalarIT6_EEPKT4_S3_PKS5_S9_S3_SB_S6_S9_S3_SB_S9_S3_PS5_21rocsparse_index_base_SD_SD_SD_bbb.uses_vcc, 1
	.set _ZN9rocsparseL41csrgemm_numeric_fill_block_per_row_kernelILj128ELj16ELj256ELj137ELj64EiifEEvT5_PKS1_S3_NS_24const_host_device_scalarIT6_EEPKT4_S3_PKS5_S9_S3_SB_S6_S9_S3_SB_S9_S3_PS5_21rocsparse_index_base_SD_SD_SD_bbb.uses_flat_scratch, 0
	.set _ZN9rocsparseL41csrgemm_numeric_fill_block_per_row_kernelILj128ELj16ELj256ELj137ELj64EiifEEvT5_PKS1_S3_NS_24const_host_device_scalarIT6_EEPKT4_S3_PKS5_S9_S3_SB_S6_S9_S3_SB_S9_S3_PS5_21rocsparse_index_base_SD_SD_SD_bbb.has_dyn_sized_stack, 0
	.set _ZN9rocsparseL41csrgemm_numeric_fill_block_per_row_kernelILj128ELj16ELj256ELj137ELj64EiifEEvT5_PKS1_S3_NS_24const_host_device_scalarIT6_EEPKT4_S3_PKS5_S9_S3_SB_S6_S9_S3_SB_S9_S3_PS5_21rocsparse_index_base_SD_SD_SD_bbb.has_recursion, 0
	.set _ZN9rocsparseL41csrgemm_numeric_fill_block_per_row_kernelILj128ELj16ELj256ELj137ELj64EiifEEvT5_PKS1_S3_NS_24const_host_device_scalarIT6_EEPKT4_S3_PKS5_S9_S3_SB_S6_S9_S3_SB_S9_S3_PS5_21rocsparse_index_base_SD_SD_SD_bbb.has_indirect_call, 0
	.section	.AMDGPU.csdata,"",@progbits
; Kernel info:
; codeLenInByte = 2468
; TotalNumSgprs: 57
; NumVgprs: 22
; NumAgprs: 0
; TotalNumVgprs: 22
; ScratchSize: 0
; MemoryBound: 0
; FloatMode: 240
; IeeeMode: 1
; LDSByteSize: 0 bytes/workgroup (compile time only)
; SGPRBlocks: 7
; VGPRBlocks: 2
; NumSGPRsForWavesPerEU: 57
; NumVGPRsForWavesPerEU: 22
; AccumOffset: 24
; Occupancy: 8
; WaveLimiterHint : 1
; COMPUTE_PGM_RSRC2:SCRATCH_EN: 0
; COMPUTE_PGM_RSRC2:USER_SGPR: 2
; COMPUTE_PGM_RSRC2:TRAP_HANDLER: 0
; COMPUTE_PGM_RSRC2:TGID_X_EN: 1
; COMPUTE_PGM_RSRC2:TGID_Y_EN: 0
; COMPUTE_PGM_RSRC2:TGID_Z_EN: 0
; COMPUTE_PGM_RSRC2:TIDIG_COMP_CNT: 0
; COMPUTE_PGM_RSRC3_GFX90A:ACCUM_OFFSET: 5
; COMPUTE_PGM_RSRC3_GFX90A:TG_SPLIT: 0
	.section	.text._ZN9rocsparseL41csrgemm_numeric_fill_block_per_row_kernelILj256ELj32ELj512ELj137ELj32EiifEEvT5_PKS1_S3_NS_24const_host_device_scalarIT6_EEPKT4_S3_PKS5_S9_S3_SB_S6_S9_S3_SB_S9_S3_PS5_21rocsparse_index_base_SD_SD_SD_bbb,"axG",@progbits,_ZN9rocsparseL41csrgemm_numeric_fill_block_per_row_kernelILj256ELj32ELj512ELj137ELj32EiifEEvT5_PKS1_S3_NS_24const_host_device_scalarIT6_EEPKT4_S3_PKS5_S9_S3_SB_S6_S9_S3_SB_S9_S3_PS5_21rocsparse_index_base_SD_SD_SD_bbb,comdat
	.globl	_ZN9rocsparseL41csrgemm_numeric_fill_block_per_row_kernelILj256ELj32ELj512ELj137ELj32EiifEEvT5_PKS1_S3_NS_24const_host_device_scalarIT6_EEPKT4_S3_PKS5_S9_S3_SB_S6_S9_S3_SB_S9_S3_PS5_21rocsparse_index_base_SD_SD_SD_bbb ; -- Begin function _ZN9rocsparseL41csrgemm_numeric_fill_block_per_row_kernelILj256ELj32ELj512ELj137ELj32EiifEEvT5_PKS1_S3_NS_24const_host_device_scalarIT6_EEPKT4_S3_PKS5_S9_S3_SB_S6_S9_S3_SB_S9_S3_PS5_21rocsparse_index_base_SD_SD_SD_bbb
	.p2align	8
	.type	_ZN9rocsparseL41csrgemm_numeric_fill_block_per_row_kernelILj256ELj32ELj512ELj137ELj32EiifEEvT5_PKS1_S3_NS_24const_host_device_scalarIT6_EEPKT4_S3_PKS5_S9_S3_SB_S6_S9_S3_SB_S9_S3_PS5_21rocsparse_index_base_SD_SD_SD_bbb,@function
_ZN9rocsparseL41csrgemm_numeric_fill_block_per_row_kernelILj256ELj32ELj512ELj137ELj32EiifEEvT5_PKS1_S3_NS_24const_host_device_scalarIT6_EEPKT4_S3_PKS5_S9_S3_SB_S6_S9_S3_SB_S9_S3_PS5_21rocsparse_index_base_SD_SD_SD_bbb: ; @_ZN9rocsparseL41csrgemm_numeric_fill_block_per_row_kernelILj256ELj32ELj512ELj137ELj32EiifEEvT5_PKS1_S3_NS_24const_host_device_scalarIT6_EEPKT4_S3_PKS5_S9_S3_SB_S6_S9_S3_SB_S9_S3_PS5_21rocsparse_index_base_SD_SD_SD_bbb
; %bb.0:
	s_load_dword s3, s[0:1], 0x98
	s_load_dwordx2 s[8:9], s[0:1], 0x18
	s_load_dwordx2 s[6:7], s[0:1], 0x50
	s_waitcnt lgkmcnt(0)
	s_bitcmp1_b32 s3, 0
	s_cselect_b64 s[4:5], -1, 0
	s_bitcmp1_b32 s3, 16
	s_cselect_b64 s[10:11], -1, 0
	s_xor_b64 s[12:13], s[4:5], -1
	s_or_b64 s[12:13], s[10:11], s[12:13]
	s_and_b64 vcc, exec, s[12:13]
	s_cbranch_vccnz .LBB4_2
; %bb.1:
	s_load_dword s8, s[8:9], 0x0
	s_waitcnt lgkmcnt(0)
	v_mov_b32_e32 v8, s8
	s_branch .LBB4_3
.LBB4_2:
	v_mov_b32_e32 v1, s8
	v_cndmask_b32_e64 v8, 0, v1, s[4:5]
.LBB4_3:
	s_load_dwordx4 s[20:23], s[0:1], 0x88
	s_bitcmp1_b32 s3, 8
	s_cselect_b64 s[8:9], -1, 0
	s_xor_b64 s[12:13], s[8:9], -1
	s_or_b64 s[10:11], s[10:11], s[12:13]
	s_and_b64 vcc, exec, s[10:11]
	s_cbranch_vccnz .LBB4_5
; %bb.4:
	s_load_dword s3, s[6:7], 0x0
	s_waitcnt lgkmcnt(0)
	v_mov_b32_e32 v6, s3
	s_branch .LBB4_6
.LBB4_5:
	v_mov_b32_e32 v1, s6
	v_cndmask_b32_e64 v6, 0, v1, s[8:9]
.LBB4_6:
	s_load_dwordx2 s[34:35], s[0:1], 0x80
	s_load_dwordx2 s[40:41], s[0:1], 0x70
	;; [unrolled: 1-line block ×3, first 2 shown]
	s_load_dwordx8 s[12:19], s[0:1], 0x20
	s_load_dwordx4 s[36:39], s[0:1], 0x8
	s_load_dword s33, s[0:1], 0x0
	s_movk_i32 s3, 0x200
	v_cmp_gt_u32_e64 s[6:7], s3, v0
	v_lshl_add_u32 v1, v0, 2, 0
	s_and_saveexec_b64 s[24:25], s[6:7]
	s_cbranch_execz .LBB4_9
; %bb.7:
	v_or_b32_e32 v2, 0xffffff00, v0
	v_lshl_add_u32 v3, v0, 2, 0
	s_mov_b64 s[26:27], 0
	s_waitcnt lgkmcnt(0)
	v_mov_b32_e32 v4, s33
	v_mov_b32_e32 v5, 0
.LBB4_8:                                ; =>This Inner Loop Header: Depth=1
	v_add_co_u32_e32 v2, vcc, 0x100, v2
	s_xor_b64 s[28:29], vcc, -1
	s_and_b64 s[28:29], exec, s[28:29]
	ds_write2st64_b32 v3, v4, v5 offset1:8
	s_or_b64 s[26:27], s[28:29], s[26:27]
	v_add_u32_e32 v3, 0x400, v3
	s_andn2_b64 exec, exec, s[26:27]
	s_cbranch_execnz .LBB4_8
.LBB4_9:
	s_or_b64 exec, exec, s[24:25]
	s_load_dwordx4 s[24:27], s[0:1], 0x60
	s_load_dwordx4 s[28:31], s[0:1], 0x40
	s_waitcnt lgkmcnt(0)
	s_barrier
	s_load_dword s0, s[36:37], 0x0
	s_mov_b32 s1, 0
	v_lshrrev_b32_e32 v7, 5, v0
	s_waitcnt lgkmcnt(0)
	s_add_i32 s0, s0, s2
	s_lshl_b64 s[0:1], s[0:1], 2
	s_add_u32 s0, s38, s0
	s_addc_u32 s1, s39, s1
	s_load_dword s36, s[0:1], 0x0
	s_and_b64 vcc, exec, s[4:5]
	s_cbranch_vccz .LBB4_27
; %bb.10:
	s_waitcnt lgkmcnt(0)
	s_ashr_i32 s37, s36, 31
	s_lshl_b64 s[0:1], s[36:37], 2
	s_add_u32 s0, s12, s0
	s_addc_u32 s1, s13, s1
	s_load_dwordx2 s[2:3], s[0:1], 0x0
	v_subrev_u32_e32 v2, s20, v7
	s_waitcnt lgkmcnt(0)
	s_sub_i32 s37, s3, s20
	v_add_u32_e32 v2, s2, v2
	v_cmp_gt_i32_e32 vcc, s37, v2
	s_and_saveexec_b64 s[0:1], vcc
	s_cbranch_execz .LBB4_26
; %bb.11:
	v_and_b32_e32 v3, 31, v0
	v_subrev_u32_e32 v9, s21, v3
	s_mov_b64 s[2:3], 0
	s_movk_i32 s50, 0x89
	s_branch .LBB4_13
.LBB4_12:                               ;   in Loop: Header=BB4_13 Depth=1
	s_or_b64 exec, exec, s[4:5]
	v_add_u32_e32 v2, 8, v2
	v_cmp_le_i32_e32 vcc, s37, v2
	s_or_b64 s[2:3], vcc, s[2:3]
	s_andn2_b64 exec, exec, s[2:3]
	s_cbranch_execz .LBB4_26
.LBB4_13:                               ; =>This Loop Header: Depth=1
                                        ;     Child Loop BB4_17 Depth 2
                                        ;       Child Loop BB4_20 Depth 3
	v_ashrrev_i32_e32 v3, 31, v2
	v_lshl_add_u64 v[4:5], v[2:3], 2, s[14:15]
	global_load_dword v4, v[4:5], off
	s_waitcnt vmcnt(0)
	v_subrev_u32_e32 v4, s20, v4
	v_ashrrev_i32_e32 v5, 31, v4
	v_lshl_add_u64 v[4:5], v[4:5], 2, s[18:19]
	global_load_dwordx2 v[4:5], v[4:5], off
	s_waitcnt vmcnt(0)
	v_subrev_u32_e32 v10, s21, v5
	v_add_u32_e32 v4, v4, v9
	v_cmp_lt_i32_e32 vcc, v4, v10
	s_and_saveexec_b64 s[4:5], vcc
	s_cbranch_execz .LBB4_12
; %bb.14:                               ;   in Loop: Header=BB4_13 Depth=1
	v_lshl_add_u64 v[12:13], v[2:3], 2, s[16:17]
	global_load_dword v3, v[12:13], off
	s_mov_b64 s[12:13], 0
	s_waitcnt vmcnt(0)
	v_mul_f32_e32 v3, v8, v3
	s_branch .LBB4_17
.LBB4_15:                               ;   in Loop: Header=BB4_17 Depth=2
	s_or_b64 exec, exec, s[42:43]
.LBB4_16:                               ;   in Loop: Header=BB4_17 Depth=2
	s_or_b64 exec, exec, s[38:39]
	s_waitcnt vmcnt(0)
	v_mul_f32_e32 v5, v3, v5
	v_lshl_add_u32 v11, v11, 2, 0
	ds_add_f32 v11, v5 offset:2048
	v_add_u32_e32 v4, 32, v4
	v_cmp_ge_i32_e32 vcc, v4, v10
	s_or_b64 s[12:13], vcc, s[12:13]
	s_andn2_b64 exec, exec, s[12:13]
	s_cbranch_execz .LBB4_12
.LBB4_17:                               ;   Parent Loop BB4_13 Depth=1
                                        ; =>  This Loop Header: Depth=2
                                        ;       Child Loop BB4_20 Depth 3
	v_ashrrev_i32_e32 v5, 31, v4
	v_lshlrev_b64 v[12:13], 2, v[4:5]
	v_lshl_add_u64 v[14:15], s[28:29], 0, v[12:13]
	global_load_dword v11, v[14:15], off
	v_lshl_add_u64 v[12:13], s[30:31], 0, v[12:13]
	global_load_dword v5, v[12:13], off
	s_waitcnt vmcnt(1)
	v_subrev_u32_e32 v12, s21, v11
	v_mul_lo_u32 v11, v12, s50
	v_and_b32_e32 v11, 0x1ff, v11
	v_lshl_add_u32 v13, v11, 2, 0
	ds_read_b32 v14, v13
	s_waitcnt lgkmcnt(0)
	v_cmp_ne_u32_e32 vcc, v14, v12
	s_and_saveexec_b64 s[38:39], vcc
	s_cbranch_execz .LBB4_16
; %bb.18:                               ;   in Loop: Header=BB4_17 Depth=2
	s_mov_b64 s[42:43], 0
	s_branch .LBB4_20
.LBB4_19:                               ;   in Loop: Header=BB4_20 Depth=3
	s_or_b64 exec, exec, s[48:49]
	s_and_b64 s[44:45], exec, s[46:47]
	s_or_b64 s[42:43], s[44:45], s[42:43]
	s_andn2_b64 exec, exec, s[42:43]
	s_cbranch_execz .LBB4_15
.LBB4_20:                               ;   Parent Loop BB4_13 Depth=1
                                        ;     Parent Loop BB4_17 Depth=2
                                        ; =>    This Inner Loop Header: Depth=3
	v_cmp_ne_u32_e32 vcc, s33, v14
	s_mov_b64 s[44:45], 0
	s_and_saveexec_b64 s[46:47], vcc
	s_xor_b64 s[46:47], exec, s[46:47]
	s_cbranch_execz .LBB4_22
; %bb.21:                               ;   in Loop: Header=BB4_20 Depth=3
	v_add_u32_e32 v11, 1, v11
	s_mov_b64 s[44:45], exec
	v_and_b32_e32 v11, 0x1ff, v11
                                        ; implicit-def: $vgpr13
	s_andn2_saveexec_b64 s[46:47], s[46:47]
	s_cbranch_execz .LBB4_24
	s_branch .LBB4_23
.LBB4_22:                               ;   in Loop: Header=BB4_20 Depth=3
	s_andn2_saveexec_b64 s[46:47], s[46:47]
	s_cbranch_execz .LBB4_24
.LBB4_23:                               ;   in Loop: Header=BB4_20 Depth=3
	v_mov_b32_e32 v14, s33
	ds_cmpst_rtn_b32 v13, v13, v14, v12
	s_andn2_b64 s[44:45], s[44:45], exec
	s_waitcnt lgkmcnt(0)
	v_cmp_ne_u32_e32 vcc, s33, v13
	s_and_b64 s[48:49], vcc, exec
	s_or_b64 s[44:45], s[44:45], s[48:49]
.LBB4_24:                               ;   in Loop: Header=BB4_20 Depth=3
	s_or_b64 exec, exec, s[46:47]
	s_mov_b64 s[46:47], -1
                                        ; implicit-def: $vgpr13
                                        ; implicit-def: $vgpr14
	s_and_saveexec_b64 s[48:49], s[44:45]
	s_cbranch_execz .LBB4_19
; %bb.25:                               ;   in Loop: Header=BB4_20 Depth=3
	v_lshl_add_u32 v13, v11, 2, 0
	ds_read_b32 v14, v13
	s_waitcnt lgkmcnt(0)
	v_cmp_eq_u32_e32 vcc, v14, v12
	s_orn2_b64 s[46:47], vcc, exec
	s_branch .LBB4_19
.LBB4_26:
	s_or_b64 exec, exec, s[0:1]
.LBB4_27:
	s_andn2_b64 vcc, exec, s[8:9]
	s_cbranch_vccnz .LBB4_42
; %bb.28:
	s_waitcnt lgkmcnt(0)
	s_ashr_i32 s37, s36, 31
	s_lshl_b64 s[0:1], s[36:37], 2
	s_add_u32 s0, s10, s0
	s_addc_u32 s1, s11, s1
	s_load_dwordx2 s[2:3], s[0:1], 0x0
	v_subrev_u32_e32 v2, s23, v0
	s_waitcnt lgkmcnt(0)
	s_sub_i32 s16, s3, s23
	v_add_u32_e32 v2, s2, v2
	v_cmp_gt_i32_e32 vcc, s16, v2
	s_and_saveexec_b64 s[0:1], vcc
	s_cbranch_execz .LBB4_41
; %bb.29:
	s_mov_b64 s[2:3], 0
	s_movk_i32 s17, 0x89
	s_branch .LBB4_32
.LBB4_30:                               ;   in Loop: Header=BB4_32 Depth=1
	s_or_b64 exec, exec, s[8:9]
.LBB4_31:                               ;   in Loop: Header=BB4_32 Depth=1
	s_or_b64 exec, exec, s[4:5]
	s_waitcnt vmcnt(0)
	v_mul_f32_e32 v3, v6, v3
	v_lshl_add_u32 v4, v4, 2, 0
	ds_add_f32 v4, v3 offset:2048
	v_add_u32_e32 v2, 0x100, v2
	v_cmp_le_i32_e32 vcc, s16, v2
	s_or_b64 s[2:3], vcc, s[2:3]
	s_andn2_b64 exec, exec, s[2:3]
	s_cbranch_execz .LBB4_41
.LBB4_32:                               ; =>This Loop Header: Depth=1
                                        ;     Child Loop BB4_35 Depth 2
	v_ashrrev_i32_e32 v3, 31, v2
	v_lshlrev_b64 v[4:5], 2, v[2:3]
	v_lshl_add_u64 v[8:9], s[24:25], 0, v[4:5]
	global_load_dword v8, v[8:9], off
	v_lshl_add_u64 v[4:5], s[26:27], 0, v[4:5]
	global_load_dword v3, v[4:5], off
	s_waitcnt vmcnt(1)
	v_subrev_u32_e32 v5, s23, v8
	v_mul_lo_u32 v4, v5, s17
	v_and_b32_e32 v4, 0x1ff, v4
	v_lshl_add_u32 v8, v4, 2, 0
	ds_read_b32 v9, v8
	s_waitcnt lgkmcnt(0)
	v_cmp_ne_u32_e32 vcc, v9, v5
	s_and_saveexec_b64 s[4:5], vcc
	s_cbranch_execz .LBB4_31
; %bb.33:                               ;   in Loop: Header=BB4_32 Depth=1
	s_mov_b64 s[8:9], 0
	s_branch .LBB4_35
.LBB4_34:                               ;   in Loop: Header=BB4_35 Depth=2
	s_or_b64 exec, exec, s[14:15]
	s_and_b64 s[10:11], exec, s[12:13]
	s_or_b64 s[8:9], s[10:11], s[8:9]
	s_andn2_b64 exec, exec, s[8:9]
	s_cbranch_execz .LBB4_30
.LBB4_35:                               ;   Parent Loop BB4_32 Depth=1
                                        ; =>  This Inner Loop Header: Depth=2
	v_cmp_ne_u32_e32 vcc, s33, v9
	s_mov_b64 s[10:11], 0
	s_and_saveexec_b64 s[12:13], vcc
	s_xor_b64 s[12:13], exec, s[12:13]
	s_cbranch_execz .LBB4_37
; %bb.36:                               ;   in Loop: Header=BB4_35 Depth=2
	v_add_u32_e32 v4, 1, v4
	s_mov_b64 s[10:11], exec
	v_and_b32_e32 v4, 0x1ff, v4
                                        ; implicit-def: $vgpr8
	s_andn2_saveexec_b64 s[12:13], s[12:13]
	s_cbranch_execz .LBB4_39
	s_branch .LBB4_38
.LBB4_37:                               ;   in Loop: Header=BB4_35 Depth=2
	s_andn2_saveexec_b64 s[12:13], s[12:13]
	s_cbranch_execz .LBB4_39
.LBB4_38:                               ;   in Loop: Header=BB4_35 Depth=2
	v_mov_b32_e32 v9, s33
	ds_cmpst_rtn_b32 v8, v8, v9, v5
	s_andn2_b64 s[10:11], s[10:11], exec
	s_waitcnt lgkmcnt(0)
	v_cmp_ne_u32_e32 vcc, s33, v8
	s_and_b64 s[14:15], vcc, exec
	s_or_b64 s[10:11], s[10:11], s[14:15]
.LBB4_39:                               ;   in Loop: Header=BB4_35 Depth=2
	s_or_b64 exec, exec, s[12:13]
	s_mov_b64 s[12:13], -1
                                        ; implicit-def: $vgpr8
                                        ; implicit-def: $vgpr9
	s_and_saveexec_b64 s[14:15], s[10:11]
	s_cbranch_execz .LBB4_34
; %bb.40:                               ;   in Loop: Header=BB4_35 Depth=2
	v_lshl_add_u32 v8, v4, 2, 0
	ds_read_b32 v9, v8
	s_waitcnt lgkmcnt(0)
	v_cmp_eq_u32_e32 vcc, v9, v5
	s_orn2_b64 s[12:13], vcc, exec
	s_branch .LBB4_34
.LBB4_41:
	s_or_b64 exec, exec, s[0:1]
.LBB4_42:
	s_waitcnt lgkmcnt(0)
	s_barrier
	s_and_saveexec_b64 s[16:17], s[6:7]
	s_cbranch_execz .LBB4_63
; %bb.43:
	v_mbcnt_lo_u32_b32 v2, -1, 0
	v_mbcnt_hi_u32_b32 v2, -1, v2
	v_sub_u32_e32 v2, 63, v2
	s_movk_i32 s0, 0xff
	s_movk_i32 s6, 0x5f
	s_movk_i32 s8, 0x7f
	s_movk_i32 s10, 0x9f
	s_movk_i32 s12, 0xbf
	s_movk_i32 s14, 0xdf
	v_mov_b32_e32 v6, 0
	v_lshrrev_b64 v[2:3], v2, -1
	v_lshl_add_u32 v7, v7, 2, 0
	v_cmp_eq_u32_e64 s[0:1], s0, v0
	v_cmp_lt_u32_e64 s[2:3], 31, v0
	v_cmp_lt_u32_e64 s[4:5], 63, v0
	;; [unrolled: 1-line block ×7, first 2 shown]
	v_or_b32_e32 v8, 0xffffff00, v0
	s_mov_b64 s[18:19], 0
	v_mov_b32_e32 v9, 0
	s_branch .LBB4_45
.LBB4_44:                               ;   in Loop: Header=BB4_45 Depth=1
	s_or_b64 exec, exec, s[20:21]
	s_waitcnt lgkmcnt(0)
	s_barrier
	ds_read_b32 v4, v6 offset:4124
	v_add_co_u32_e32 v8, vcc, 0x100, v8
	s_xor_b64 s[20:21], vcc, -1
	s_and_b64 s[20:21], exec, s[20:21]
	s_waitcnt lgkmcnt(0)
	v_add_u32_e32 v9, v4, v9
	s_or_b64 s[18:19], s[20:21], s[18:19]
	v_add_u32_e32 v1, 0x400, v1
	s_andn2_b64 exec, exec, s[18:19]
	s_cbranch_execz .LBB4_63
.LBB4_45:                               ; =>This Inner Loop Header: Depth=1
	ds_read2st64_b32 v[4:5], v1 offset1:8
	s_waitcnt lgkmcnt(0)
	s_barrier
	v_cmp_gt_i32_e32 vcc, s33, v4
	s_bcnt1_i32_b64 s20, vcc
	s_nop 0
	v_and_b32_e32 v11, vcc_lo, v2
	v_and_b32_e32 v10, vcc_hi, v3
	v_bcnt_u32_b32 v11, v11, 0
	v_bcnt_u32_b32 v10, v10, v11
	v_mov_b32_e32 v11, s20
	ds_write_b32 v7, v11 offset:4096
	s_waitcnt lgkmcnt(0)
	s_barrier
	s_and_saveexec_b64 s[20:21], s[2:3]
	s_cbranch_execz .LBB4_54
; %bb.46:                               ;   in Loop: Header=BB4_45 Depth=1
	ds_read_b32 v11, v6 offset:4096
	s_waitcnt lgkmcnt(0)
	v_add_u32_e32 v10, v11, v10
	s_or_b64 exec, exec, s[20:21]
	s_and_saveexec_b64 s[20:21], s[4:5]
	s_cbranch_execnz .LBB4_55
.LBB4_47:                               ;   in Loop: Header=BB4_45 Depth=1
	s_or_b64 exec, exec, s[20:21]
	s_and_saveexec_b64 s[20:21], s[6:7]
	s_cbranch_execz .LBB4_56
.LBB4_48:                               ;   in Loop: Header=BB4_45 Depth=1
	ds_read_b32 v11, v6 offset:4104
	s_waitcnt lgkmcnt(0)
	v_add_u32_e32 v10, v11, v10
	s_or_b64 exec, exec, s[20:21]
	s_and_saveexec_b64 s[20:21], s[8:9]
	s_cbranch_execnz .LBB4_57
.LBB4_49:                               ;   in Loop: Header=BB4_45 Depth=1
	s_or_b64 exec, exec, s[20:21]
	s_and_saveexec_b64 s[20:21], s[10:11]
	s_cbranch_execz .LBB4_58
.LBB4_50:                               ;   in Loop: Header=BB4_45 Depth=1
	ds_read_b32 v11, v6 offset:4112
	s_waitcnt lgkmcnt(0)
	v_add_u32_e32 v10, v11, v10
	s_or_b64 exec, exec, s[20:21]
	s_and_saveexec_b64 s[20:21], s[12:13]
	s_cbranch_execnz .LBB4_59
.LBB4_51:                               ;   in Loop: Header=BB4_45 Depth=1
	s_or_b64 exec, exec, s[20:21]
	s_and_saveexec_b64 s[20:21], s[14:15]
	s_cbranch_execz .LBB4_60
.LBB4_52:                               ;   in Loop: Header=BB4_45 Depth=1
	ds_read_b32 v11, v6 offset:4120
	s_waitcnt lgkmcnt(0)
	v_add_u32_e32 v10, v11, v10
	s_or_b64 exec, exec, s[20:21]
	s_and_saveexec_b64 s[20:21], vcc
	s_cbranch_execnz .LBB4_61
.LBB4_53:                               ;   in Loop: Header=BB4_45 Depth=1
	s_or_b64 exec, exec, s[20:21]
	s_and_saveexec_b64 s[20:21], s[0:1]
	s_cbranch_execz .LBB4_44
	s_branch .LBB4_62
.LBB4_54:                               ;   in Loop: Header=BB4_45 Depth=1
	s_or_b64 exec, exec, s[20:21]
	s_and_saveexec_b64 s[20:21], s[4:5]
	s_cbranch_execz .LBB4_47
.LBB4_55:                               ;   in Loop: Header=BB4_45 Depth=1
	ds_read_b32 v11, v6 offset:4100
	s_waitcnt lgkmcnt(0)
	v_add_u32_e32 v10, v11, v10
	s_or_b64 exec, exec, s[20:21]
	s_and_saveexec_b64 s[20:21], s[6:7]
	s_cbranch_execnz .LBB4_48
.LBB4_56:                               ;   in Loop: Header=BB4_45 Depth=1
	s_or_b64 exec, exec, s[20:21]
	s_and_saveexec_b64 s[20:21], s[8:9]
	s_cbranch_execz .LBB4_49
.LBB4_57:                               ;   in Loop: Header=BB4_45 Depth=1
	ds_read_b32 v11, v6 offset:4108
	s_waitcnt lgkmcnt(0)
	v_add_u32_e32 v10, v11, v10
	s_or_b64 exec, exec, s[20:21]
	s_and_saveexec_b64 s[20:21], s[10:11]
	s_cbranch_execnz .LBB4_50
.LBB4_58:                               ;   in Loop: Header=BB4_45 Depth=1
	s_or_b64 exec, exec, s[20:21]
	s_and_saveexec_b64 s[20:21], s[12:13]
	s_cbranch_execz .LBB4_51
.LBB4_59:                               ;   in Loop: Header=BB4_45 Depth=1
	ds_read_b32 v11, v6 offset:4116
	s_waitcnt lgkmcnt(0)
	v_add_u32_e32 v10, v11, v10
	s_or_b64 exec, exec, s[20:21]
	s_and_saveexec_b64 s[20:21], s[14:15]
	s_cbranch_execnz .LBB4_52
.LBB4_60:                               ;   in Loop: Header=BB4_45 Depth=1
	s_or_b64 exec, exec, s[20:21]
	s_and_saveexec_b64 s[20:21], vcc
	s_cbranch_execz .LBB4_53
.LBB4_61:                               ;   in Loop: Header=BB4_45 Depth=1
	v_add3_u32 v11, v9, -1, v10
	v_lshl_add_u32 v11, v11, 2, 0
	v_add_u32_e32 v12, v9, v10
	v_lshl_add_u32 v12, v12, 2, 0
	ds_write_b32 v11, v4
	ds_write_b32 v12, v5 offset:2044
	s_or_b64 exec, exec, s[20:21]
	s_and_saveexec_b64 s[20:21], s[0:1]
	s_cbranch_execz .LBB4_44
.LBB4_62:                               ;   in Loop: Header=BB4_45 Depth=1
	ds_write_b32 v6, v10 offset:4124
	s_branch .LBB4_44
.LBB4_63:
	s_or_b64 exec, exec, s[16:17]
	s_ashr_i32 s37, s36, 31
	s_lshl_b64 s[0:1], s[36:37], 2
	s_add_u32 s2, s40, s0
	s_addc_u32 s3, s41, s1
	s_load_dwordx2 s[0:1], s[2:3], 0x0
	s_waitcnt lgkmcnt(0)
	s_sub_i32 s14, s1, s0
	v_cmp_gt_i32_e32 vcc, s14, v0
	s_and_saveexec_b64 s[2:3], vcc
	s_cbranch_execz .LBB4_77
; %bb.64:
	s_sub_i32 s8, s0, s22
	v_sub_co_u32_e64 v1, s[0:1], s14, 2
	s_nop 0
	v_readfirstlane_b32 s2, v1
	s_lshr_b32 s2, s2, 1
	s_add_i32 s2, s2, 1
	s_xor_b64 s[0:1], s[0:1], -1
	s_and_b32 s15, s14, -2
	s_and_b32 s3, s2, 7
	s_and_b32 s16, s2, -8
	s_cmp_lg_u32 s3, 0
	v_cmp_lt_u32_e32 vcc, 13, v1
	s_cselect_b64 s[4:5], -1, 0
	s_cmp_lg_u32 s14, s15
	v_cndmask_b32_e64 v1, 0, 1, vcc
	s_cselect_b64 s[10:11], -1, 0
	s_lshl_b32 s17, s3, 3
	v_cndmask_b32_e64 v2, 0, 1, s[0:1]
	v_cmp_ne_u32_e64 s[2:3], 1, v1
	v_cndmask_b32_e64 v1, 0, 1, s[4:5]
	s_mov_b32 s9, 0
	s_mov_b64 s[12:13], 0
	v_cmp_ne_u32_e64 s[0:1], 1, v2
	v_cmp_ne_u32_e64 s[4:5], 1, v1
	s_branch .LBB4_66
.LBB4_65:                               ;   in Loop: Header=BB4_66 Depth=1
	v_add_u32_e32 v0, 0x100, v0
	v_ashrrev_i32_e32 v5, 31, v4
	v_cmp_le_i32_e32 vcc, s14, v0
	v_lshl_add_u64 v[4:5], v[4:5], 2, s[34:35]
	s_or_b64 s[12:13], vcc, s[12:13]
	s_waitcnt lgkmcnt(0)
	global_store_dword v[4:5], v3, off
	s_andn2_b64 exec, exec, s[12:13]
	s_cbranch_execz .LBB4_77
.LBB4_66:                               ; =>This Loop Header: Depth=1
                                        ;     Child Loop BB4_69 Depth 2
                                        ;     Child Loop BB4_72 Depth 2
	;; [unrolled: 1-line block ×3, first 2 shown]
	v_lshl_add_u32 v1, v0, 2, 0
	ds_read2st64_b32 v[2:3], v1 offset1:8
	s_and_b64 vcc, exec, s[0:1]
	v_mov_b32_e32 v4, s8
	s_mov_b32 s18, 0
	s_mov_b64 s[6:7], -1
	s_cbranch_vccnz .LBB4_74
; %bb.67:                               ;   in Loop: Header=BB4_66 Depth=1
	s_and_b64 vcc, exec, s[2:3]
	v_mov_b64_e32 v[4:5], s[8:9]
	s_cbranch_vccnz .LBB4_70
; %bb.68:                               ;   in Loop: Header=BB4_66 Depth=1
	s_mov_b32 s19, 0
	v_mov_b32_e32 v4, s8
	v_mov_b32_e32 v5, 0
	s_mov_b32 s20, s16
.LBB4_69:                               ;   Parent Loop BB4_66 Depth=1
                                        ; =>  This Inner Loop Header: Depth=2
	v_mov_b32_e32 v1, s19
	ds_read2_b32 v[6:7], v1 offset1:1
	ds_read2_b32 v[8:9], v1 offset0:2 offset1:3
	ds_read2_b32 v[10:11], v1 offset0:4 offset1:5
	;; [unrolled: 1-line block ×7, first 2 shown]
	s_waitcnt lgkmcnt(7)
	v_cmp_gt_i32_e32 vcc, v2, v7
	s_waitcnt lgkmcnt(5)
	v_cmp_gt_i32_e64 s[6:7], v2, v10
	s_add_i32 s18, s18, 16
	v_cndmask_b32_e64 v1, 0, 1, vcc
	v_cmp_gt_i32_e32 vcc, v2, v6
	v_cndmask_b32_e64 v7, 0, 1, s[6:7]
	v_cmp_gt_i32_e64 s[6:7], v2, v11
	v_cndmask_b32_e64 v6, 0, 1, vcc
	v_cmp_gt_i32_e32 vcc, v2, v9
	v_cndmask_b32_e64 v9, 0, 1, s[6:7]
	s_waitcnt lgkmcnt(3)
	v_cmp_gt_i32_e64 s[6:7], v2, v15
	v_addc_co_u32_e32 v1, vcc, v5, v1, vcc
	s_nop 0
	v_cndmask_b32_e64 v10, 0, 1, s[6:7]
	v_cmp_gt_i32_e64 s[6:7], v2, v14
	v_cmp_gt_i32_e32 vcc, v2, v12
	s_add_i32 s19, s19, 64
	v_cndmask_b32_e64 v11, 0, 1, s[6:7]
	s_waitcnt lgkmcnt(1)
	v_cmp_gt_i32_e64 s[6:7], v2, v18
	s_add_i32 s20, s20, -8
	s_cmp_lg_u32 s20, 0
	v_cndmask_b32_e64 v14, 0, 1, s[6:7]
	v_cmp_gt_i32_e64 s[6:7], v2, v19
	s_nop 1
	v_cndmask_b32_e64 v15, 0, 1, s[6:7]
	v_cmp_gt_i32_e64 s[6:7], v2, v8
	s_nop 1
	v_addc_co_u32_e64 v4, s[6:7], v4, v6, s[6:7]
	v_cmp_gt_i32_e64 s[6:7], v2, v13
	v_addc_co_u32_e32 v4, vcc, v4, v7, vcc
	s_nop 0
	v_addc_co_u32_e64 v1, s[6:7], v1, v9, s[6:7]
	v_cmp_gt_i32_e32 vcc, v2, v17
	v_cmp_gt_i32_e64 s[6:7], v2, v16
	s_nop 0
	v_addc_co_u32_e32 v1, vcc, v1, v10, vcc
	v_addc_co_u32_e64 v4, s[6:7], v4, v11, s[6:7]
	s_waitcnt lgkmcnt(0)
	v_cmp_gt_i32_e32 vcc, v2, v20
	v_cmp_gt_i32_e64 s[6:7], v2, v21
	s_nop 0
	v_addc_co_u32_e32 v4, vcc, v4, v14, vcc
	v_addc_co_u32_e64 v5, s[6:7], v1, v15, s[6:7]
	s_cbranch_scc1 .LBB4_69
.LBB4_70:                               ;   in Loop: Header=BB4_66 Depth=1
	s_and_b64 vcc, exec, s[4:5]
	s_cbranch_vccnz .LBB4_73
; %bb.71:                               ;   in Loop: Header=BB4_66 Depth=1
	s_lshl_b32 s6, s18, 2
	s_add_i32 s6, s6, 0
	s_mov_b32 s7, s17
.LBB4_72:                               ;   Parent Loop BB4_66 Depth=1
                                        ; =>  This Inner Loop Header: Depth=2
	v_mov_b32_e32 v1, s6
	ds_read2_b32 v[6:7], v1 offset1:1
	s_add_i32 s6, s6, 8
	s_add_i32 s7, s7, -8
	s_cmp_lg_u32 s7, 0
	s_waitcnt lgkmcnt(0)
	v_cmp_gt_i32_e32 vcc, v2, v7
	s_nop 1
	v_addc_co_u32_e32 v5, vcc, 0, v5, vcc
	v_cmp_gt_i32_e32 vcc, v2, v6
	s_nop 1
	v_addc_co_u32_e32 v4, vcc, 0, v4, vcc
	s_cbranch_scc1 .LBB4_72
.LBB4_73:                               ;   in Loop: Header=BB4_66 Depth=1
	v_add_u32_e32 v4, v4, v5
	s_mov_b32 s18, s15
	s_mov_b64 s[6:7], s[10:11]
.LBB4_74:                               ;   in Loop: Header=BB4_66 Depth=1
	s_and_b64 vcc, exec, s[6:7]
	s_cbranch_vccz .LBB4_65
; %bb.75:                               ;   in Loop: Header=BB4_66 Depth=1
	s_lshl_b32 s6, s18, 2
	s_add_i32 s6, s6, 0
.LBB4_76:                               ;   Parent Loop BB4_66 Depth=1
                                        ; =>  This Inner Loop Header: Depth=2
	v_mov_b32_e32 v1, s6
	ds_read_b32 v1, v1
	s_add_i32 s18, s18, 1
	s_add_i32 s6, s6, 4
	s_cmp_ge_i32 s18, s14
	s_waitcnt lgkmcnt(0)
	v_cmp_gt_i32_e32 vcc, v2, v1
	s_nop 1
	v_addc_co_u32_e32 v4, vcc, 0, v4, vcc
	s_cbranch_scc0 .LBB4_76
	s_branch .LBB4_65
.LBB4_77:
	s_endpgm
	.section	.rodata,"a",@progbits
	.p2align	6, 0x0
	.amdhsa_kernel _ZN9rocsparseL41csrgemm_numeric_fill_block_per_row_kernelILj256ELj32ELj512ELj137ELj32EiifEEvT5_PKS1_S3_NS_24const_host_device_scalarIT6_EEPKT4_S3_PKS5_S9_S3_SB_S6_S9_S3_SB_S9_S3_PS5_21rocsparse_index_base_SD_SD_SD_bbb
		.amdhsa_group_segment_fixed_size 0
		.amdhsa_private_segment_fixed_size 0
		.amdhsa_kernarg_size 156
		.amdhsa_user_sgpr_count 2
		.amdhsa_user_sgpr_dispatch_ptr 0
		.amdhsa_user_sgpr_queue_ptr 0
		.amdhsa_user_sgpr_kernarg_segment_ptr 1
		.amdhsa_user_sgpr_dispatch_id 0
		.amdhsa_user_sgpr_kernarg_preload_length 0
		.amdhsa_user_sgpr_kernarg_preload_offset 0
		.amdhsa_user_sgpr_private_segment_size 0
		.amdhsa_uses_dynamic_stack 0
		.amdhsa_enable_private_segment 0
		.amdhsa_system_sgpr_workgroup_id_x 1
		.amdhsa_system_sgpr_workgroup_id_y 0
		.amdhsa_system_sgpr_workgroup_id_z 0
		.amdhsa_system_sgpr_workgroup_info 0
		.amdhsa_system_vgpr_workitem_id 0
		.amdhsa_next_free_vgpr 22
		.amdhsa_next_free_sgpr 51
		.amdhsa_accum_offset 24
		.amdhsa_reserve_vcc 1
		.amdhsa_float_round_mode_32 0
		.amdhsa_float_round_mode_16_64 0
		.amdhsa_float_denorm_mode_32 3
		.amdhsa_float_denorm_mode_16_64 3
		.amdhsa_dx10_clamp 1
		.amdhsa_ieee_mode 1
		.amdhsa_fp16_overflow 0
		.amdhsa_tg_split 0
		.amdhsa_exception_fp_ieee_invalid_op 0
		.amdhsa_exception_fp_denorm_src 0
		.amdhsa_exception_fp_ieee_div_zero 0
		.amdhsa_exception_fp_ieee_overflow 0
		.amdhsa_exception_fp_ieee_underflow 0
		.amdhsa_exception_fp_ieee_inexact 0
		.amdhsa_exception_int_div_zero 0
	.end_amdhsa_kernel
	.section	.text._ZN9rocsparseL41csrgemm_numeric_fill_block_per_row_kernelILj256ELj32ELj512ELj137ELj32EiifEEvT5_PKS1_S3_NS_24const_host_device_scalarIT6_EEPKT4_S3_PKS5_S9_S3_SB_S6_S9_S3_SB_S9_S3_PS5_21rocsparse_index_base_SD_SD_SD_bbb,"axG",@progbits,_ZN9rocsparseL41csrgemm_numeric_fill_block_per_row_kernelILj256ELj32ELj512ELj137ELj32EiifEEvT5_PKS1_S3_NS_24const_host_device_scalarIT6_EEPKT4_S3_PKS5_S9_S3_SB_S6_S9_S3_SB_S9_S3_PS5_21rocsparse_index_base_SD_SD_SD_bbb,comdat
.Lfunc_end4:
	.size	_ZN9rocsparseL41csrgemm_numeric_fill_block_per_row_kernelILj256ELj32ELj512ELj137ELj32EiifEEvT5_PKS1_S3_NS_24const_host_device_scalarIT6_EEPKT4_S3_PKS5_S9_S3_SB_S6_S9_S3_SB_S9_S3_PS5_21rocsparse_index_base_SD_SD_SD_bbb, .Lfunc_end4-_ZN9rocsparseL41csrgemm_numeric_fill_block_per_row_kernelILj256ELj32ELj512ELj137ELj32EiifEEvT5_PKS1_S3_NS_24const_host_device_scalarIT6_EEPKT4_S3_PKS5_S9_S3_SB_S6_S9_S3_SB_S9_S3_PS5_21rocsparse_index_base_SD_SD_SD_bbb
                                        ; -- End function
	.set _ZN9rocsparseL41csrgemm_numeric_fill_block_per_row_kernelILj256ELj32ELj512ELj137ELj32EiifEEvT5_PKS1_S3_NS_24const_host_device_scalarIT6_EEPKT4_S3_PKS5_S9_S3_SB_S6_S9_S3_SB_S9_S3_PS5_21rocsparse_index_base_SD_SD_SD_bbb.num_vgpr, 22
	.set _ZN9rocsparseL41csrgemm_numeric_fill_block_per_row_kernelILj256ELj32ELj512ELj137ELj32EiifEEvT5_PKS1_S3_NS_24const_host_device_scalarIT6_EEPKT4_S3_PKS5_S9_S3_SB_S6_S9_S3_SB_S9_S3_PS5_21rocsparse_index_base_SD_SD_SD_bbb.num_agpr, 0
	.set _ZN9rocsparseL41csrgemm_numeric_fill_block_per_row_kernelILj256ELj32ELj512ELj137ELj32EiifEEvT5_PKS1_S3_NS_24const_host_device_scalarIT6_EEPKT4_S3_PKS5_S9_S3_SB_S6_S9_S3_SB_S9_S3_PS5_21rocsparse_index_base_SD_SD_SD_bbb.numbered_sgpr, 51
	.set _ZN9rocsparseL41csrgemm_numeric_fill_block_per_row_kernelILj256ELj32ELj512ELj137ELj32EiifEEvT5_PKS1_S3_NS_24const_host_device_scalarIT6_EEPKT4_S3_PKS5_S9_S3_SB_S6_S9_S3_SB_S9_S3_PS5_21rocsparse_index_base_SD_SD_SD_bbb.num_named_barrier, 0
	.set _ZN9rocsparseL41csrgemm_numeric_fill_block_per_row_kernelILj256ELj32ELj512ELj137ELj32EiifEEvT5_PKS1_S3_NS_24const_host_device_scalarIT6_EEPKT4_S3_PKS5_S9_S3_SB_S6_S9_S3_SB_S9_S3_PS5_21rocsparse_index_base_SD_SD_SD_bbb.private_seg_size, 0
	.set _ZN9rocsparseL41csrgemm_numeric_fill_block_per_row_kernelILj256ELj32ELj512ELj137ELj32EiifEEvT5_PKS1_S3_NS_24const_host_device_scalarIT6_EEPKT4_S3_PKS5_S9_S3_SB_S6_S9_S3_SB_S9_S3_PS5_21rocsparse_index_base_SD_SD_SD_bbb.uses_vcc, 1
	.set _ZN9rocsparseL41csrgemm_numeric_fill_block_per_row_kernelILj256ELj32ELj512ELj137ELj32EiifEEvT5_PKS1_S3_NS_24const_host_device_scalarIT6_EEPKT4_S3_PKS5_S9_S3_SB_S6_S9_S3_SB_S9_S3_PS5_21rocsparse_index_base_SD_SD_SD_bbb.uses_flat_scratch, 0
	.set _ZN9rocsparseL41csrgemm_numeric_fill_block_per_row_kernelILj256ELj32ELj512ELj137ELj32EiifEEvT5_PKS1_S3_NS_24const_host_device_scalarIT6_EEPKT4_S3_PKS5_S9_S3_SB_S6_S9_S3_SB_S9_S3_PS5_21rocsparse_index_base_SD_SD_SD_bbb.has_dyn_sized_stack, 0
	.set _ZN9rocsparseL41csrgemm_numeric_fill_block_per_row_kernelILj256ELj32ELj512ELj137ELj32EiifEEvT5_PKS1_S3_NS_24const_host_device_scalarIT6_EEPKT4_S3_PKS5_S9_S3_SB_S6_S9_S3_SB_S9_S3_PS5_21rocsparse_index_base_SD_SD_SD_bbb.has_recursion, 0
	.set _ZN9rocsparseL41csrgemm_numeric_fill_block_per_row_kernelILj256ELj32ELj512ELj137ELj32EiifEEvT5_PKS1_S3_NS_24const_host_device_scalarIT6_EEPKT4_S3_PKS5_S9_S3_SB_S6_S9_S3_SB_S9_S3_PS5_21rocsparse_index_base_SD_SD_SD_bbb.has_indirect_call, 0
	.section	.AMDGPU.csdata,"",@progbits
; Kernel info:
; codeLenInByte = 2776
; TotalNumSgprs: 57
; NumVgprs: 22
; NumAgprs: 0
; TotalNumVgprs: 22
; ScratchSize: 0
; MemoryBound: 0
; FloatMode: 240
; IeeeMode: 1
; LDSByteSize: 0 bytes/workgroup (compile time only)
; SGPRBlocks: 7
; VGPRBlocks: 2
; NumSGPRsForWavesPerEU: 57
; NumVGPRsForWavesPerEU: 22
; AccumOffset: 24
; Occupancy: 8
; WaveLimiterHint : 1
; COMPUTE_PGM_RSRC2:SCRATCH_EN: 0
; COMPUTE_PGM_RSRC2:USER_SGPR: 2
; COMPUTE_PGM_RSRC2:TRAP_HANDLER: 0
; COMPUTE_PGM_RSRC2:TGID_X_EN: 1
; COMPUTE_PGM_RSRC2:TGID_Y_EN: 0
; COMPUTE_PGM_RSRC2:TGID_Z_EN: 0
; COMPUTE_PGM_RSRC2:TIDIG_COMP_CNT: 0
; COMPUTE_PGM_RSRC3_GFX90A:ACCUM_OFFSET: 5
; COMPUTE_PGM_RSRC3_GFX90A:TG_SPLIT: 0
	.section	.text._ZN9rocsparseL41csrgemm_numeric_fill_block_per_row_kernelILj256ELj32ELj512ELj137ELj64EiifEEvT5_PKS1_S3_NS_24const_host_device_scalarIT6_EEPKT4_S3_PKS5_S9_S3_SB_S6_S9_S3_SB_S9_S3_PS5_21rocsparse_index_base_SD_SD_SD_bbb,"axG",@progbits,_ZN9rocsparseL41csrgemm_numeric_fill_block_per_row_kernelILj256ELj32ELj512ELj137ELj64EiifEEvT5_PKS1_S3_NS_24const_host_device_scalarIT6_EEPKT4_S3_PKS5_S9_S3_SB_S6_S9_S3_SB_S9_S3_PS5_21rocsparse_index_base_SD_SD_SD_bbb,comdat
	.globl	_ZN9rocsparseL41csrgemm_numeric_fill_block_per_row_kernelILj256ELj32ELj512ELj137ELj64EiifEEvT5_PKS1_S3_NS_24const_host_device_scalarIT6_EEPKT4_S3_PKS5_S9_S3_SB_S6_S9_S3_SB_S9_S3_PS5_21rocsparse_index_base_SD_SD_SD_bbb ; -- Begin function _ZN9rocsparseL41csrgemm_numeric_fill_block_per_row_kernelILj256ELj32ELj512ELj137ELj64EiifEEvT5_PKS1_S3_NS_24const_host_device_scalarIT6_EEPKT4_S3_PKS5_S9_S3_SB_S6_S9_S3_SB_S9_S3_PS5_21rocsparse_index_base_SD_SD_SD_bbb
	.p2align	8
	.type	_ZN9rocsparseL41csrgemm_numeric_fill_block_per_row_kernelILj256ELj32ELj512ELj137ELj64EiifEEvT5_PKS1_S3_NS_24const_host_device_scalarIT6_EEPKT4_S3_PKS5_S9_S3_SB_S6_S9_S3_SB_S9_S3_PS5_21rocsparse_index_base_SD_SD_SD_bbb,@function
_ZN9rocsparseL41csrgemm_numeric_fill_block_per_row_kernelILj256ELj32ELj512ELj137ELj64EiifEEvT5_PKS1_S3_NS_24const_host_device_scalarIT6_EEPKT4_S3_PKS5_S9_S3_SB_S6_S9_S3_SB_S9_S3_PS5_21rocsparse_index_base_SD_SD_SD_bbb: ; @_ZN9rocsparseL41csrgemm_numeric_fill_block_per_row_kernelILj256ELj32ELj512ELj137ELj64EiifEEvT5_PKS1_S3_NS_24const_host_device_scalarIT6_EEPKT4_S3_PKS5_S9_S3_SB_S6_S9_S3_SB_S9_S3_PS5_21rocsparse_index_base_SD_SD_SD_bbb
; %bb.0:
	s_load_dword s3, s[0:1], 0x98
	s_load_dwordx2 s[8:9], s[0:1], 0x18
	s_load_dwordx2 s[6:7], s[0:1], 0x50
	s_waitcnt lgkmcnt(0)
	s_bitcmp1_b32 s3, 0
	s_cselect_b64 s[4:5], -1, 0
	s_bitcmp1_b32 s3, 16
	s_cselect_b64 s[10:11], -1, 0
	s_xor_b64 s[12:13], s[4:5], -1
	s_or_b64 s[12:13], s[10:11], s[12:13]
	s_and_b64 vcc, exec, s[12:13]
	s_cbranch_vccnz .LBB5_2
; %bb.1:
	s_load_dword s8, s[8:9], 0x0
	s_waitcnt lgkmcnt(0)
	v_mov_b32_e32 v7, s8
	s_branch .LBB5_3
.LBB5_2:
	v_mov_b32_e32 v1, s8
	v_cndmask_b32_e64 v7, 0, v1, s[4:5]
.LBB5_3:
	s_load_dwordx4 s[20:23], s[0:1], 0x88
	s_bitcmp1_b32 s3, 8
	s_cselect_b64 s[8:9], -1, 0
	s_xor_b64 s[12:13], s[8:9], -1
	s_or_b64 s[10:11], s[10:11], s[12:13]
	s_and_b64 vcc, exec, s[10:11]
	s_cbranch_vccnz .LBB5_5
; %bb.4:
	s_load_dword s3, s[6:7], 0x0
	s_waitcnt lgkmcnt(0)
	v_mov_b32_e32 v6, s3
	s_branch .LBB5_6
.LBB5_5:
	v_mov_b32_e32 v1, s6
	v_cndmask_b32_e64 v6, 0, v1, s[8:9]
.LBB5_6:
	s_load_dwordx2 s[10:11], s[0:1], 0x80
	s_load_dwordx2 s[34:35], s[0:1], 0x70
	;; [unrolled: 1-line block ×3, first 2 shown]
	s_load_dwordx8 s[12:19], s[0:1], 0x20
	s_load_dwordx4 s[36:39], s[0:1], 0x8
	s_load_dword s33, s[0:1], 0x0
	s_movk_i32 s3, 0x200
	v_cmp_gt_u32_e64 s[6:7], s3, v0
	v_lshl_add_u32 v1, v0, 2, 0
	s_and_saveexec_b64 s[24:25], s[6:7]
	s_cbranch_execz .LBB5_9
; %bb.7:
	v_or_b32_e32 v2, 0xffffff00, v0
	v_lshl_add_u32 v3, v0, 2, 0
	s_mov_b64 s[26:27], 0
	s_waitcnt lgkmcnt(0)
	v_mov_b32_e32 v4, s33
	v_mov_b32_e32 v5, 0
.LBB5_8:                                ; =>This Inner Loop Header: Depth=1
	v_add_co_u32_e32 v2, vcc, 0x100, v2
	s_xor_b64 s[28:29], vcc, -1
	s_and_b64 s[28:29], exec, s[28:29]
	ds_write2st64_b32 v3, v4, v5 offset1:8
	s_or_b64 s[26:27], s[28:29], s[26:27]
	v_add_u32_e32 v3, 0x400, v3
	s_andn2_b64 exec, exec, s[26:27]
	s_cbranch_execnz .LBB5_8
.LBB5_9:
	s_or_b64 exec, exec, s[24:25]
	s_load_dwordx4 s[24:27], s[0:1], 0x60
	s_load_dwordx4 s[28:31], s[0:1], 0x40
	s_waitcnt lgkmcnt(0)
	s_barrier
	s_load_dword s0, s[36:37], 0x0
	s_mov_b32 s1, 0
	s_waitcnt lgkmcnt(0)
	s_add_i32 s0, s0, s2
	s_lshl_b64 s[0:1], s[0:1], 2
	s_add_u32 s0, s38, s0
	s_addc_u32 s1, s39, s1
	s_load_dword s36, s[0:1], 0x0
	s_and_b64 vcc, exec, s[4:5]
	s_cbranch_vccz .LBB5_27
; %bb.10:
	s_waitcnt lgkmcnt(0)
	s_ashr_i32 s37, s36, 31
	s_lshl_b64 s[0:1], s[36:37], 2
	s_add_u32 s0, s12, s0
	s_addc_u32 s1, s13, s1
	s_load_dwordx2 s[2:3], s[0:1], 0x0
	v_lshrrev_b32_e32 v2, 5, v0
	v_subrev_u32_e32 v2, s20, v2
	s_waitcnt lgkmcnt(0)
	s_sub_i32 s37, s3, s20
	v_add_u32_e32 v2, s2, v2
	v_cmp_gt_i32_e32 vcc, s37, v2
	s_and_saveexec_b64 s[0:1], vcc
	s_cbranch_execz .LBB5_26
; %bb.11:
	v_and_b32_e32 v3, 31, v0
	v_subrev_u32_e32 v8, s21, v3
	s_mov_b64 s[2:3], 0
	s_movk_i32 s50, 0x89
	s_branch .LBB5_13
.LBB5_12:                               ;   in Loop: Header=BB5_13 Depth=1
	s_or_b64 exec, exec, s[4:5]
	v_add_u32_e32 v2, 8, v2
	v_cmp_le_i32_e32 vcc, s37, v2
	s_or_b64 s[2:3], vcc, s[2:3]
	s_andn2_b64 exec, exec, s[2:3]
	s_cbranch_execz .LBB5_26
.LBB5_13:                               ; =>This Loop Header: Depth=1
                                        ;     Child Loop BB5_17 Depth 2
                                        ;       Child Loop BB5_20 Depth 3
	v_ashrrev_i32_e32 v3, 31, v2
	v_lshl_add_u64 v[4:5], v[2:3], 2, s[14:15]
	global_load_dword v4, v[4:5], off
	s_waitcnt vmcnt(0)
	v_subrev_u32_e32 v4, s20, v4
	v_ashrrev_i32_e32 v5, 31, v4
	v_lshl_add_u64 v[4:5], v[4:5], 2, s[18:19]
	global_load_dwordx2 v[4:5], v[4:5], off
	s_waitcnt vmcnt(0)
	v_subrev_u32_e32 v9, s21, v5
	v_add_u32_e32 v4, v4, v8
	v_cmp_lt_i32_e32 vcc, v4, v9
	s_and_saveexec_b64 s[4:5], vcc
	s_cbranch_execz .LBB5_12
; %bb.14:                               ;   in Loop: Header=BB5_13 Depth=1
	v_lshl_add_u64 v[10:11], v[2:3], 2, s[16:17]
	global_load_dword v3, v[10:11], off
	s_mov_b64 s[12:13], 0
	s_waitcnt vmcnt(0)
	v_mul_f32_e32 v3, v7, v3
	s_branch .LBB5_17
.LBB5_15:                               ;   in Loop: Header=BB5_17 Depth=2
	s_or_b64 exec, exec, s[42:43]
.LBB5_16:                               ;   in Loop: Header=BB5_17 Depth=2
	s_or_b64 exec, exec, s[38:39]
	s_waitcnt vmcnt(0)
	v_mul_f32_e32 v5, v3, v5
	v_lshl_add_u32 v10, v10, 2, 0
	ds_add_f32 v10, v5 offset:2048
	v_add_u32_e32 v4, 32, v4
	v_cmp_ge_i32_e32 vcc, v4, v9
	s_or_b64 s[12:13], vcc, s[12:13]
	s_andn2_b64 exec, exec, s[12:13]
	s_cbranch_execz .LBB5_12
.LBB5_17:                               ;   Parent Loop BB5_13 Depth=1
                                        ; =>  This Loop Header: Depth=2
                                        ;       Child Loop BB5_20 Depth 3
	v_ashrrev_i32_e32 v5, 31, v4
	v_lshlrev_b64 v[10:11], 2, v[4:5]
	v_lshl_add_u64 v[12:13], s[28:29], 0, v[10:11]
	global_load_dword v12, v[12:13], off
	v_lshl_add_u64 v[10:11], s[30:31], 0, v[10:11]
	global_load_dword v5, v[10:11], off
	s_waitcnt vmcnt(1)
	v_subrev_u32_e32 v11, s21, v12
	v_mul_lo_u32 v10, v11, s50
	v_and_b32_e32 v10, 0x1ff, v10
	v_lshl_add_u32 v12, v10, 2, 0
	ds_read_b32 v13, v12
	s_waitcnt lgkmcnt(0)
	v_cmp_ne_u32_e32 vcc, v13, v11
	s_and_saveexec_b64 s[38:39], vcc
	s_cbranch_execz .LBB5_16
; %bb.18:                               ;   in Loop: Header=BB5_17 Depth=2
	s_mov_b64 s[42:43], 0
	s_branch .LBB5_20
.LBB5_19:                               ;   in Loop: Header=BB5_20 Depth=3
	s_or_b64 exec, exec, s[48:49]
	s_and_b64 s[44:45], exec, s[46:47]
	s_or_b64 s[42:43], s[44:45], s[42:43]
	s_andn2_b64 exec, exec, s[42:43]
	s_cbranch_execz .LBB5_15
.LBB5_20:                               ;   Parent Loop BB5_13 Depth=1
                                        ;     Parent Loop BB5_17 Depth=2
                                        ; =>    This Inner Loop Header: Depth=3
	v_cmp_ne_u32_e32 vcc, s33, v13
	s_mov_b64 s[44:45], 0
	s_and_saveexec_b64 s[46:47], vcc
	s_xor_b64 s[46:47], exec, s[46:47]
	s_cbranch_execz .LBB5_22
; %bb.21:                               ;   in Loop: Header=BB5_20 Depth=3
	v_add_u32_e32 v10, 1, v10
	s_mov_b64 s[44:45], exec
	v_and_b32_e32 v10, 0x1ff, v10
                                        ; implicit-def: $vgpr12
	s_andn2_saveexec_b64 s[46:47], s[46:47]
	s_cbranch_execz .LBB5_24
	s_branch .LBB5_23
.LBB5_22:                               ;   in Loop: Header=BB5_20 Depth=3
	s_andn2_saveexec_b64 s[46:47], s[46:47]
	s_cbranch_execz .LBB5_24
.LBB5_23:                               ;   in Loop: Header=BB5_20 Depth=3
	v_mov_b32_e32 v13, s33
	ds_cmpst_rtn_b32 v12, v12, v13, v11
	s_andn2_b64 s[44:45], s[44:45], exec
	s_waitcnt lgkmcnt(0)
	v_cmp_ne_u32_e32 vcc, s33, v12
	s_and_b64 s[48:49], vcc, exec
	s_or_b64 s[44:45], s[44:45], s[48:49]
.LBB5_24:                               ;   in Loop: Header=BB5_20 Depth=3
	s_or_b64 exec, exec, s[46:47]
	s_mov_b64 s[46:47], -1
                                        ; implicit-def: $vgpr12
                                        ; implicit-def: $vgpr13
	s_and_saveexec_b64 s[48:49], s[44:45]
	s_cbranch_execz .LBB5_19
; %bb.25:                               ;   in Loop: Header=BB5_20 Depth=3
	v_lshl_add_u32 v12, v10, 2, 0
	ds_read_b32 v13, v12
	s_waitcnt lgkmcnt(0)
	v_cmp_eq_u32_e32 vcc, v13, v11
	s_orn2_b64 s[46:47], vcc, exec
	s_branch .LBB5_19
.LBB5_26:
	s_or_b64 exec, exec, s[0:1]
.LBB5_27:
	s_andn2_b64 vcc, exec, s[8:9]
	s_cbranch_vccnz .LBB5_42
; %bb.28:
	s_waitcnt lgkmcnt(0)
	s_ashr_i32 s37, s36, 31
	s_lshl_b64 s[0:1], s[36:37], 2
	s_add_u32 s0, s40, s0
	s_addc_u32 s1, s41, s1
	s_load_dwordx2 s[2:3], s[0:1], 0x0
	v_subrev_u32_e32 v2, s23, v0
	s_waitcnt lgkmcnt(0)
	s_sub_i32 s18, s3, s23
	v_add_u32_e32 v2, s2, v2
	v_cmp_gt_i32_e32 vcc, s18, v2
	s_and_saveexec_b64 s[0:1], vcc
	s_cbranch_execz .LBB5_41
; %bb.29:
	s_mov_b64 s[2:3], 0
	s_movk_i32 s19, 0x89
	s_branch .LBB5_32
.LBB5_30:                               ;   in Loop: Header=BB5_32 Depth=1
	s_or_b64 exec, exec, s[8:9]
.LBB5_31:                               ;   in Loop: Header=BB5_32 Depth=1
	s_or_b64 exec, exec, s[4:5]
	s_waitcnt vmcnt(0)
	v_mul_f32_e32 v3, v6, v3
	v_lshl_add_u32 v4, v4, 2, 0
	ds_add_f32 v4, v3 offset:2048
	v_add_u32_e32 v2, 0x100, v2
	v_cmp_le_i32_e32 vcc, s18, v2
	s_or_b64 s[2:3], vcc, s[2:3]
	s_andn2_b64 exec, exec, s[2:3]
	s_cbranch_execz .LBB5_41
.LBB5_32:                               ; =>This Loop Header: Depth=1
                                        ;     Child Loop BB5_35 Depth 2
	v_ashrrev_i32_e32 v3, 31, v2
	v_lshlrev_b64 v[4:5], 2, v[2:3]
	v_lshl_add_u64 v[8:9], s[24:25], 0, v[4:5]
	global_load_dword v7, v[8:9], off
	v_lshl_add_u64 v[4:5], s[26:27], 0, v[4:5]
	global_load_dword v3, v[4:5], off
	s_waitcnt vmcnt(1)
	v_subrev_u32_e32 v5, s23, v7
	v_mul_lo_u32 v4, v5, s19
	v_and_b32_e32 v4, 0x1ff, v4
	v_lshl_add_u32 v7, v4, 2, 0
	ds_read_b32 v8, v7
	s_waitcnt lgkmcnt(0)
	v_cmp_ne_u32_e32 vcc, v8, v5
	s_and_saveexec_b64 s[4:5], vcc
	s_cbranch_execz .LBB5_31
; %bb.33:                               ;   in Loop: Header=BB5_32 Depth=1
	s_mov_b64 s[8:9], 0
	s_branch .LBB5_35
.LBB5_34:                               ;   in Loop: Header=BB5_35 Depth=2
	s_or_b64 exec, exec, s[16:17]
	s_and_b64 s[12:13], exec, s[14:15]
	s_or_b64 s[8:9], s[12:13], s[8:9]
	s_andn2_b64 exec, exec, s[8:9]
	s_cbranch_execz .LBB5_30
.LBB5_35:                               ;   Parent Loop BB5_32 Depth=1
                                        ; =>  This Inner Loop Header: Depth=2
	v_cmp_ne_u32_e32 vcc, s33, v8
	s_mov_b64 s[12:13], 0
	s_and_saveexec_b64 s[14:15], vcc
	s_xor_b64 s[14:15], exec, s[14:15]
	s_cbranch_execz .LBB5_37
; %bb.36:                               ;   in Loop: Header=BB5_35 Depth=2
	v_add_u32_e32 v4, 1, v4
	s_mov_b64 s[12:13], exec
	v_and_b32_e32 v4, 0x1ff, v4
                                        ; implicit-def: $vgpr7
	s_andn2_saveexec_b64 s[14:15], s[14:15]
	s_cbranch_execz .LBB5_39
	s_branch .LBB5_38
.LBB5_37:                               ;   in Loop: Header=BB5_35 Depth=2
	s_andn2_saveexec_b64 s[14:15], s[14:15]
	s_cbranch_execz .LBB5_39
.LBB5_38:                               ;   in Loop: Header=BB5_35 Depth=2
	v_mov_b32_e32 v8, s33
	ds_cmpst_rtn_b32 v7, v7, v8, v5
	s_andn2_b64 s[12:13], s[12:13], exec
	s_waitcnt lgkmcnt(0)
	v_cmp_ne_u32_e32 vcc, s33, v7
	s_and_b64 s[16:17], vcc, exec
	s_or_b64 s[12:13], s[12:13], s[16:17]
.LBB5_39:                               ;   in Loop: Header=BB5_35 Depth=2
	s_or_b64 exec, exec, s[14:15]
	s_mov_b64 s[14:15], -1
                                        ; implicit-def: $vgpr7
                                        ; implicit-def: $vgpr8
	s_and_saveexec_b64 s[16:17], s[12:13]
	s_cbranch_execz .LBB5_34
; %bb.40:                               ;   in Loop: Header=BB5_35 Depth=2
	v_lshl_add_u32 v7, v4, 2, 0
	ds_read_b32 v8, v7
	s_waitcnt lgkmcnt(0)
	v_cmp_eq_u32_e32 vcc, v8, v5
	s_orn2_b64 s[14:15], vcc, exec
	s_branch .LBB5_34
.LBB5_41:
	s_or_b64 exec, exec, s[0:1]
.LBB5_42:
	s_waitcnt lgkmcnt(0)
	s_barrier
	s_and_saveexec_b64 s[8:9], s[6:7]
	s_cbranch_execz .LBB5_55
; %bb.43:
	v_mbcnt_lo_u32_b32 v2, -1, 0
	v_mbcnt_hi_u32_b32 v2, -1, v2
	v_lshrrev_b32_e32 v4, 4, v0
	v_sub_u32_e32 v2, 63, v2
	v_and_b32_e32 v4, 12, v4
	s_movk_i32 s0, 0xff
	s_movk_i32 s4, 0x7f
	;; [unrolled: 1-line block ×3, first 2 shown]
	v_mov_b32_e32 v6, 0
	v_lshrrev_b64 v[2:3], v2, -1
	v_add_u32_e32 v7, 0, v4
	v_cmp_eq_u32_e64 s[0:1], s0, v0
	v_cmp_lt_u32_e64 s[2:3], 63, v0
	v_cmp_lt_u32_e64 s[4:5], s4, v0
	;; [unrolled: 1-line block ×3, first 2 shown]
	v_or_b32_e32 v8, 0xffffff00, v0
	s_mov_b64 s[12:13], 0
	v_mov_b32_e32 v9, 0
	s_branch .LBB5_45
.LBB5_44:                               ;   in Loop: Header=BB5_45 Depth=1
	s_or_b64 exec, exec, s[14:15]
	s_waitcnt lgkmcnt(0)
	s_barrier
	ds_read_b32 v4, v6 offset:4108
	v_add_co_u32_e32 v8, vcc, 0x100, v8
	s_xor_b64 s[14:15], vcc, -1
	s_and_b64 s[14:15], exec, s[14:15]
	s_waitcnt lgkmcnt(0)
	v_add_u32_e32 v9, v4, v9
	s_or_b64 s[12:13], s[14:15], s[12:13]
	v_add_u32_e32 v1, 0x400, v1
	s_andn2_b64 exec, exec, s[12:13]
	s_cbranch_execz .LBB5_55
.LBB5_45:                               ; =>This Inner Loop Header: Depth=1
	ds_read2st64_b32 v[4:5], v1 offset1:8
	s_waitcnt lgkmcnt(0)
	s_barrier
	v_cmp_gt_i32_e32 vcc, s33, v4
	s_bcnt1_i32_b64 s14, vcc
	s_nop 0
	v_and_b32_e32 v11, vcc_lo, v2
	v_and_b32_e32 v10, vcc_hi, v3
	v_bcnt_u32_b32 v11, v11, 0
	v_bcnt_u32_b32 v10, v10, v11
	v_mov_b32_e32 v11, s14
	ds_write_b32 v7, v11 offset:4096
	s_waitcnt lgkmcnt(0)
	s_barrier
	s_and_saveexec_b64 s[14:15], s[2:3]
	s_cbranch_execz .LBB5_50
; %bb.46:                               ;   in Loop: Header=BB5_45 Depth=1
	ds_read_b32 v11, v6 offset:4096
	s_waitcnt lgkmcnt(0)
	v_add_u32_e32 v10, v11, v10
	s_or_b64 exec, exec, s[14:15]
	s_and_saveexec_b64 s[14:15], s[4:5]
	s_cbranch_execnz .LBB5_51
.LBB5_47:                               ;   in Loop: Header=BB5_45 Depth=1
	s_or_b64 exec, exec, s[14:15]
	s_and_saveexec_b64 s[14:15], s[6:7]
	s_cbranch_execz .LBB5_52
.LBB5_48:                               ;   in Loop: Header=BB5_45 Depth=1
	ds_read_b32 v11, v6 offset:4104
	s_waitcnt lgkmcnt(0)
	v_add_u32_e32 v10, v11, v10
	s_or_b64 exec, exec, s[14:15]
	s_and_saveexec_b64 s[14:15], vcc
	s_cbranch_execnz .LBB5_53
.LBB5_49:                               ;   in Loop: Header=BB5_45 Depth=1
	s_or_b64 exec, exec, s[14:15]
	s_and_saveexec_b64 s[14:15], s[0:1]
	s_cbranch_execz .LBB5_44
	s_branch .LBB5_54
.LBB5_50:                               ;   in Loop: Header=BB5_45 Depth=1
	s_or_b64 exec, exec, s[14:15]
	s_and_saveexec_b64 s[14:15], s[4:5]
	s_cbranch_execz .LBB5_47
.LBB5_51:                               ;   in Loop: Header=BB5_45 Depth=1
	ds_read_b32 v11, v6 offset:4100
	s_waitcnt lgkmcnt(0)
	v_add_u32_e32 v10, v11, v10
	s_or_b64 exec, exec, s[14:15]
	s_and_saveexec_b64 s[14:15], s[6:7]
	s_cbranch_execnz .LBB5_48
.LBB5_52:                               ;   in Loop: Header=BB5_45 Depth=1
	s_or_b64 exec, exec, s[14:15]
	s_and_saveexec_b64 s[14:15], vcc
	s_cbranch_execz .LBB5_49
.LBB5_53:                               ;   in Loop: Header=BB5_45 Depth=1
	v_add3_u32 v11, v9, -1, v10
	v_lshl_add_u32 v11, v11, 2, 0
	v_add_u32_e32 v12, v9, v10
	v_lshl_add_u32 v12, v12, 2, 0
	ds_write_b32 v11, v4
	ds_write_b32 v12, v5 offset:2044
	s_or_b64 exec, exec, s[14:15]
	s_and_saveexec_b64 s[14:15], s[0:1]
	s_cbranch_execz .LBB5_44
.LBB5_54:                               ;   in Loop: Header=BB5_45 Depth=1
	ds_write_b32 v6, v10 offset:4108
	s_branch .LBB5_44
.LBB5_55:
	s_or_b64 exec, exec, s[8:9]
	s_ashr_i32 s37, s36, 31
	s_lshl_b64 s[0:1], s[36:37], 2
	s_add_u32 s2, s34, s0
	s_addc_u32 s3, s35, s1
	s_load_dwordx2 s[0:1], s[2:3], 0x0
	s_waitcnt lgkmcnt(0)
	s_sub_i32 s16, s1, s0
	v_cmp_gt_i32_e32 vcc, s16, v0
	s_and_saveexec_b64 s[2:3], vcc
	s_cbranch_execz .LBB5_69
; %bb.56:
	s_sub_i32 s8, s0, s22
	v_sub_co_u32_e64 v1, s[0:1], s16, 2
	s_nop 0
	v_readfirstlane_b32 s2, v1
	s_lshr_b32 s2, s2, 1
	s_add_i32 s2, s2, 1
	s_xor_b64 s[0:1], s[0:1], -1
	s_and_b32 s17, s16, -2
	s_and_b32 s3, s2, 7
	s_and_b32 s18, s2, -8
	s_cmp_lg_u32 s3, 0
	v_cmp_lt_u32_e32 vcc, 13, v1
	s_cselect_b64 s[4:5], -1, 0
	s_cmp_lg_u32 s16, s17
	v_cndmask_b32_e64 v1, 0, 1, vcc
	s_cselect_b64 s[12:13], -1, 0
	s_lshl_b32 s19, s3, 3
	v_cndmask_b32_e64 v2, 0, 1, s[0:1]
	v_cmp_ne_u32_e64 s[2:3], 1, v1
	v_cndmask_b32_e64 v1, 0, 1, s[4:5]
	s_mov_b32 s9, 0
	s_mov_b64 s[14:15], 0
	v_cmp_ne_u32_e64 s[0:1], 1, v2
	v_cmp_ne_u32_e64 s[4:5], 1, v1
	s_branch .LBB5_58
.LBB5_57:                               ;   in Loop: Header=BB5_58 Depth=1
	v_add_u32_e32 v0, 0x100, v0
	v_ashrrev_i32_e32 v5, 31, v4
	v_cmp_le_i32_e32 vcc, s16, v0
	v_lshl_add_u64 v[4:5], v[4:5], 2, s[10:11]
	s_or_b64 s[14:15], vcc, s[14:15]
	s_waitcnt lgkmcnt(0)
	global_store_dword v[4:5], v3, off
	s_andn2_b64 exec, exec, s[14:15]
	s_cbranch_execz .LBB5_69
.LBB5_58:                               ; =>This Loop Header: Depth=1
                                        ;     Child Loop BB5_61 Depth 2
                                        ;     Child Loop BB5_64 Depth 2
	;; [unrolled: 1-line block ×3, first 2 shown]
	v_lshl_add_u32 v1, v0, 2, 0
	ds_read2st64_b32 v[2:3], v1 offset1:8
	s_and_b64 vcc, exec, s[0:1]
	v_mov_b32_e32 v4, s8
	s_mov_b32 s20, 0
	s_mov_b64 s[6:7], -1
	s_cbranch_vccnz .LBB5_66
; %bb.59:                               ;   in Loop: Header=BB5_58 Depth=1
	s_and_b64 vcc, exec, s[2:3]
	v_mov_b64_e32 v[4:5], s[8:9]
	s_cbranch_vccnz .LBB5_62
; %bb.60:                               ;   in Loop: Header=BB5_58 Depth=1
	s_mov_b32 s21, 0
	v_mov_b32_e32 v4, s8
	v_mov_b32_e32 v5, 0
	s_mov_b32 s22, s18
.LBB5_61:                               ;   Parent Loop BB5_58 Depth=1
                                        ; =>  This Inner Loop Header: Depth=2
	v_mov_b32_e32 v1, s21
	ds_read2_b32 v[6:7], v1 offset1:1
	ds_read2_b32 v[8:9], v1 offset0:2 offset1:3
	ds_read2_b32 v[10:11], v1 offset0:4 offset1:5
	;; [unrolled: 1-line block ×7, first 2 shown]
	s_waitcnt lgkmcnt(7)
	v_cmp_gt_i32_e32 vcc, v2, v7
	s_waitcnt lgkmcnt(5)
	v_cmp_gt_i32_e64 s[6:7], v2, v10
	s_add_i32 s20, s20, 16
	v_cndmask_b32_e64 v1, 0, 1, vcc
	v_cmp_gt_i32_e32 vcc, v2, v6
	v_cndmask_b32_e64 v7, 0, 1, s[6:7]
	v_cmp_gt_i32_e64 s[6:7], v2, v11
	v_cndmask_b32_e64 v6, 0, 1, vcc
	v_cmp_gt_i32_e32 vcc, v2, v9
	v_cndmask_b32_e64 v9, 0, 1, s[6:7]
	s_waitcnt lgkmcnt(3)
	v_cmp_gt_i32_e64 s[6:7], v2, v15
	v_addc_co_u32_e32 v1, vcc, v5, v1, vcc
	s_nop 0
	v_cndmask_b32_e64 v10, 0, 1, s[6:7]
	v_cmp_gt_i32_e64 s[6:7], v2, v14
	v_cmp_gt_i32_e32 vcc, v2, v12
	s_add_i32 s21, s21, 64
	v_cndmask_b32_e64 v11, 0, 1, s[6:7]
	s_waitcnt lgkmcnt(1)
	v_cmp_gt_i32_e64 s[6:7], v2, v18
	s_add_i32 s22, s22, -8
	s_cmp_lg_u32 s22, 0
	v_cndmask_b32_e64 v14, 0, 1, s[6:7]
	v_cmp_gt_i32_e64 s[6:7], v2, v19
	s_nop 1
	v_cndmask_b32_e64 v15, 0, 1, s[6:7]
	v_cmp_gt_i32_e64 s[6:7], v2, v8
	s_nop 1
	v_addc_co_u32_e64 v4, s[6:7], v4, v6, s[6:7]
	v_cmp_gt_i32_e64 s[6:7], v2, v13
	v_addc_co_u32_e32 v4, vcc, v4, v7, vcc
	s_nop 0
	v_addc_co_u32_e64 v1, s[6:7], v1, v9, s[6:7]
	v_cmp_gt_i32_e32 vcc, v2, v17
	v_cmp_gt_i32_e64 s[6:7], v2, v16
	s_nop 0
	v_addc_co_u32_e32 v1, vcc, v1, v10, vcc
	v_addc_co_u32_e64 v4, s[6:7], v4, v11, s[6:7]
	s_waitcnt lgkmcnt(0)
	v_cmp_gt_i32_e32 vcc, v2, v20
	v_cmp_gt_i32_e64 s[6:7], v2, v21
	s_nop 0
	v_addc_co_u32_e32 v4, vcc, v4, v14, vcc
	v_addc_co_u32_e64 v5, s[6:7], v1, v15, s[6:7]
	s_cbranch_scc1 .LBB5_61
.LBB5_62:                               ;   in Loop: Header=BB5_58 Depth=1
	s_and_b64 vcc, exec, s[4:5]
	s_cbranch_vccnz .LBB5_65
; %bb.63:                               ;   in Loop: Header=BB5_58 Depth=1
	s_lshl_b32 s6, s20, 2
	s_add_i32 s6, s6, 0
	s_mov_b32 s7, s19
.LBB5_64:                               ;   Parent Loop BB5_58 Depth=1
                                        ; =>  This Inner Loop Header: Depth=2
	v_mov_b32_e32 v1, s6
	ds_read2_b32 v[6:7], v1 offset1:1
	s_add_i32 s6, s6, 8
	s_add_i32 s7, s7, -8
	s_cmp_lg_u32 s7, 0
	s_waitcnt lgkmcnt(0)
	v_cmp_gt_i32_e32 vcc, v2, v7
	s_nop 1
	v_addc_co_u32_e32 v5, vcc, 0, v5, vcc
	v_cmp_gt_i32_e32 vcc, v2, v6
	s_nop 1
	v_addc_co_u32_e32 v4, vcc, 0, v4, vcc
	s_cbranch_scc1 .LBB5_64
.LBB5_65:                               ;   in Loop: Header=BB5_58 Depth=1
	v_add_u32_e32 v4, v4, v5
	s_mov_b32 s20, s17
	s_mov_b64 s[6:7], s[12:13]
.LBB5_66:                               ;   in Loop: Header=BB5_58 Depth=1
	s_and_b64 vcc, exec, s[6:7]
	s_cbranch_vccz .LBB5_57
; %bb.67:                               ;   in Loop: Header=BB5_58 Depth=1
	s_lshl_b32 s6, s20, 2
	s_add_i32 s6, s6, 0
.LBB5_68:                               ;   Parent Loop BB5_58 Depth=1
                                        ; =>  This Inner Loop Header: Depth=2
	v_mov_b32_e32 v1, s6
	ds_read_b32 v1, v1
	s_add_i32 s20, s20, 1
	s_add_i32 s6, s6, 4
	s_cmp_ge_i32 s20, s16
	s_waitcnt lgkmcnt(0)
	v_cmp_gt_i32_e32 vcc, v2, v1
	s_nop 1
	v_addc_co_u32_e32 v4, vcc, 0, v4, vcc
	s_cbranch_scc0 .LBB5_68
	s_branch .LBB5_57
.LBB5_69:
	s_endpgm
	.section	.rodata,"a",@progbits
	.p2align	6, 0x0
	.amdhsa_kernel _ZN9rocsparseL41csrgemm_numeric_fill_block_per_row_kernelILj256ELj32ELj512ELj137ELj64EiifEEvT5_PKS1_S3_NS_24const_host_device_scalarIT6_EEPKT4_S3_PKS5_S9_S3_SB_S6_S9_S3_SB_S9_S3_PS5_21rocsparse_index_base_SD_SD_SD_bbb
		.amdhsa_group_segment_fixed_size 0
		.amdhsa_private_segment_fixed_size 0
		.amdhsa_kernarg_size 156
		.amdhsa_user_sgpr_count 2
		.amdhsa_user_sgpr_dispatch_ptr 0
		.amdhsa_user_sgpr_queue_ptr 0
		.amdhsa_user_sgpr_kernarg_segment_ptr 1
		.amdhsa_user_sgpr_dispatch_id 0
		.amdhsa_user_sgpr_kernarg_preload_length 0
		.amdhsa_user_sgpr_kernarg_preload_offset 0
		.amdhsa_user_sgpr_private_segment_size 0
		.amdhsa_uses_dynamic_stack 0
		.amdhsa_enable_private_segment 0
		.amdhsa_system_sgpr_workgroup_id_x 1
		.amdhsa_system_sgpr_workgroup_id_y 0
		.amdhsa_system_sgpr_workgroup_id_z 0
		.amdhsa_system_sgpr_workgroup_info 0
		.amdhsa_system_vgpr_workitem_id 0
		.amdhsa_next_free_vgpr 22
		.amdhsa_next_free_sgpr 51
		.amdhsa_accum_offset 24
		.amdhsa_reserve_vcc 1
		.amdhsa_float_round_mode_32 0
		.amdhsa_float_round_mode_16_64 0
		.amdhsa_float_denorm_mode_32 3
		.amdhsa_float_denorm_mode_16_64 3
		.amdhsa_dx10_clamp 1
		.amdhsa_ieee_mode 1
		.amdhsa_fp16_overflow 0
		.amdhsa_tg_split 0
		.amdhsa_exception_fp_ieee_invalid_op 0
		.amdhsa_exception_fp_denorm_src 0
		.amdhsa_exception_fp_ieee_div_zero 0
		.amdhsa_exception_fp_ieee_overflow 0
		.amdhsa_exception_fp_ieee_underflow 0
		.amdhsa_exception_fp_ieee_inexact 0
		.amdhsa_exception_int_div_zero 0
	.end_amdhsa_kernel
	.section	.text._ZN9rocsparseL41csrgemm_numeric_fill_block_per_row_kernelILj256ELj32ELj512ELj137ELj64EiifEEvT5_PKS1_S3_NS_24const_host_device_scalarIT6_EEPKT4_S3_PKS5_S9_S3_SB_S6_S9_S3_SB_S9_S3_PS5_21rocsparse_index_base_SD_SD_SD_bbb,"axG",@progbits,_ZN9rocsparseL41csrgemm_numeric_fill_block_per_row_kernelILj256ELj32ELj512ELj137ELj64EiifEEvT5_PKS1_S3_NS_24const_host_device_scalarIT6_EEPKT4_S3_PKS5_S9_S3_SB_S6_S9_S3_SB_S9_S3_PS5_21rocsparse_index_base_SD_SD_SD_bbb,comdat
.Lfunc_end5:
	.size	_ZN9rocsparseL41csrgemm_numeric_fill_block_per_row_kernelILj256ELj32ELj512ELj137ELj64EiifEEvT5_PKS1_S3_NS_24const_host_device_scalarIT6_EEPKT4_S3_PKS5_S9_S3_SB_S6_S9_S3_SB_S9_S3_PS5_21rocsparse_index_base_SD_SD_SD_bbb, .Lfunc_end5-_ZN9rocsparseL41csrgemm_numeric_fill_block_per_row_kernelILj256ELj32ELj512ELj137ELj64EiifEEvT5_PKS1_S3_NS_24const_host_device_scalarIT6_EEPKT4_S3_PKS5_S9_S3_SB_S6_S9_S3_SB_S9_S3_PS5_21rocsparse_index_base_SD_SD_SD_bbb
                                        ; -- End function
	.set _ZN9rocsparseL41csrgemm_numeric_fill_block_per_row_kernelILj256ELj32ELj512ELj137ELj64EiifEEvT5_PKS1_S3_NS_24const_host_device_scalarIT6_EEPKT4_S3_PKS5_S9_S3_SB_S6_S9_S3_SB_S9_S3_PS5_21rocsparse_index_base_SD_SD_SD_bbb.num_vgpr, 22
	.set _ZN9rocsparseL41csrgemm_numeric_fill_block_per_row_kernelILj256ELj32ELj512ELj137ELj64EiifEEvT5_PKS1_S3_NS_24const_host_device_scalarIT6_EEPKT4_S3_PKS5_S9_S3_SB_S6_S9_S3_SB_S9_S3_PS5_21rocsparse_index_base_SD_SD_SD_bbb.num_agpr, 0
	.set _ZN9rocsparseL41csrgemm_numeric_fill_block_per_row_kernelILj256ELj32ELj512ELj137ELj64EiifEEvT5_PKS1_S3_NS_24const_host_device_scalarIT6_EEPKT4_S3_PKS5_S9_S3_SB_S6_S9_S3_SB_S9_S3_PS5_21rocsparse_index_base_SD_SD_SD_bbb.numbered_sgpr, 51
	.set _ZN9rocsparseL41csrgemm_numeric_fill_block_per_row_kernelILj256ELj32ELj512ELj137ELj64EiifEEvT5_PKS1_S3_NS_24const_host_device_scalarIT6_EEPKT4_S3_PKS5_S9_S3_SB_S6_S9_S3_SB_S9_S3_PS5_21rocsparse_index_base_SD_SD_SD_bbb.num_named_barrier, 0
	.set _ZN9rocsparseL41csrgemm_numeric_fill_block_per_row_kernelILj256ELj32ELj512ELj137ELj64EiifEEvT5_PKS1_S3_NS_24const_host_device_scalarIT6_EEPKT4_S3_PKS5_S9_S3_SB_S6_S9_S3_SB_S9_S3_PS5_21rocsparse_index_base_SD_SD_SD_bbb.private_seg_size, 0
	.set _ZN9rocsparseL41csrgemm_numeric_fill_block_per_row_kernelILj256ELj32ELj512ELj137ELj64EiifEEvT5_PKS1_S3_NS_24const_host_device_scalarIT6_EEPKT4_S3_PKS5_S9_S3_SB_S6_S9_S3_SB_S9_S3_PS5_21rocsparse_index_base_SD_SD_SD_bbb.uses_vcc, 1
	.set _ZN9rocsparseL41csrgemm_numeric_fill_block_per_row_kernelILj256ELj32ELj512ELj137ELj64EiifEEvT5_PKS1_S3_NS_24const_host_device_scalarIT6_EEPKT4_S3_PKS5_S9_S3_SB_S6_S9_S3_SB_S9_S3_PS5_21rocsparse_index_base_SD_SD_SD_bbb.uses_flat_scratch, 0
	.set _ZN9rocsparseL41csrgemm_numeric_fill_block_per_row_kernelILj256ELj32ELj512ELj137ELj64EiifEEvT5_PKS1_S3_NS_24const_host_device_scalarIT6_EEPKT4_S3_PKS5_S9_S3_SB_S6_S9_S3_SB_S9_S3_PS5_21rocsparse_index_base_SD_SD_SD_bbb.has_dyn_sized_stack, 0
	.set _ZN9rocsparseL41csrgemm_numeric_fill_block_per_row_kernelILj256ELj32ELj512ELj137ELj64EiifEEvT5_PKS1_S3_NS_24const_host_device_scalarIT6_EEPKT4_S3_PKS5_S9_S3_SB_S6_S9_S3_SB_S9_S3_PS5_21rocsparse_index_base_SD_SD_SD_bbb.has_recursion, 0
	.set _ZN9rocsparseL41csrgemm_numeric_fill_block_per_row_kernelILj256ELj32ELj512ELj137ELj64EiifEEvT5_PKS1_S3_NS_24const_host_device_scalarIT6_EEPKT4_S3_PKS5_S9_S3_SB_S6_S9_S3_SB_S9_S3_PS5_21rocsparse_index_base_SD_SD_SD_bbb.has_indirect_call, 0
	.section	.AMDGPU.csdata,"",@progbits
; Kernel info:
; codeLenInByte = 2576
; TotalNumSgprs: 57
; NumVgprs: 22
; NumAgprs: 0
; TotalNumVgprs: 22
; ScratchSize: 0
; MemoryBound: 0
; FloatMode: 240
; IeeeMode: 1
; LDSByteSize: 0 bytes/workgroup (compile time only)
; SGPRBlocks: 7
; VGPRBlocks: 2
; NumSGPRsForWavesPerEU: 57
; NumVGPRsForWavesPerEU: 22
; AccumOffset: 24
; Occupancy: 8
; WaveLimiterHint : 1
; COMPUTE_PGM_RSRC2:SCRATCH_EN: 0
; COMPUTE_PGM_RSRC2:USER_SGPR: 2
; COMPUTE_PGM_RSRC2:TRAP_HANDLER: 0
; COMPUTE_PGM_RSRC2:TGID_X_EN: 1
; COMPUTE_PGM_RSRC2:TGID_Y_EN: 0
; COMPUTE_PGM_RSRC2:TGID_Z_EN: 0
; COMPUTE_PGM_RSRC2:TIDIG_COMP_CNT: 0
; COMPUTE_PGM_RSRC3_GFX90A:ACCUM_OFFSET: 5
; COMPUTE_PGM_RSRC3_GFX90A:TG_SPLIT: 0
	.section	.text._ZN9rocsparseL41csrgemm_numeric_fill_block_per_row_kernelILj512ELj32ELj1024ELj137ELj32EiifEEvT5_PKS1_S3_NS_24const_host_device_scalarIT6_EEPKT4_S3_PKS5_S9_S3_SB_S6_S9_S3_SB_S9_S3_PS5_21rocsparse_index_base_SD_SD_SD_bbb,"axG",@progbits,_ZN9rocsparseL41csrgemm_numeric_fill_block_per_row_kernelILj512ELj32ELj1024ELj137ELj32EiifEEvT5_PKS1_S3_NS_24const_host_device_scalarIT6_EEPKT4_S3_PKS5_S9_S3_SB_S6_S9_S3_SB_S9_S3_PS5_21rocsparse_index_base_SD_SD_SD_bbb,comdat
	.globl	_ZN9rocsparseL41csrgemm_numeric_fill_block_per_row_kernelILj512ELj32ELj1024ELj137ELj32EiifEEvT5_PKS1_S3_NS_24const_host_device_scalarIT6_EEPKT4_S3_PKS5_S9_S3_SB_S6_S9_S3_SB_S9_S3_PS5_21rocsparse_index_base_SD_SD_SD_bbb ; -- Begin function _ZN9rocsparseL41csrgemm_numeric_fill_block_per_row_kernelILj512ELj32ELj1024ELj137ELj32EiifEEvT5_PKS1_S3_NS_24const_host_device_scalarIT6_EEPKT4_S3_PKS5_S9_S3_SB_S6_S9_S3_SB_S9_S3_PS5_21rocsparse_index_base_SD_SD_SD_bbb
	.p2align	8
	.type	_ZN9rocsparseL41csrgemm_numeric_fill_block_per_row_kernelILj512ELj32ELj1024ELj137ELj32EiifEEvT5_PKS1_S3_NS_24const_host_device_scalarIT6_EEPKT4_S3_PKS5_S9_S3_SB_S6_S9_S3_SB_S9_S3_PS5_21rocsparse_index_base_SD_SD_SD_bbb,@function
_ZN9rocsparseL41csrgemm_numeric_fill_block_per_row_kernelILj512ELj32ELj1024ELj137ELj32EiifEEvT5_PKS1_S3_NS_24const_host_device_scalarIT6_EEPKT4_S3_PKS5_S9_S3_SB_S6_S9_S3_SB_S9_S3_PS5_21rocsparse_index_base_SD_SD_SD_bbb: ; @_ZN9rocsparseL41csrgemm_numeric_fill_block_per_row_kernelILj512ELj32ELj1024ELj137ELj32EiifEEvT5_PKS1_S3_NS_24const_host_device_scalarIT6_EEPKT4_S3_PKS5_S9_S3_SB_S6_S9_S3_SB_S9_S3_PS5_21rocsparse_index_base_SD_SD_SD_bbb
; %bb.0:
	s_load_dword s3, s[0:1], 0x98
	s_load_dwordx4 s[36:39], s[0:1], 0x88
	s_load_dwordx2 s[4:5], s[0:1], 0x18
	s_load_dwordx2 s[16:17], s[0:1], 0x50
	s_waitcnt lgkmcnt(0)
	s_bitcmp1_b32 s3, 0
	s_cselect_b64 s[6:7], -1, 0
	s_bitcmp1_b32 s3, 16
	s_cselect_b64 s[18:19], -1, 0
	s_xor_b64 s[8:9], s[6:7], -1
	s_or_b64 s[8:9], s[18:19], s[8:9]
	s_and_b64 vcc, exec, s[8:9]
	s_cbranch_vccnz .LBB6_2
; %bb.1:
	s_load_dword s4, s[4:5], 0x0
	s_waitcnt lgkmcnt(0)
	v_mov_b32_e32 v9, s4
	s_branch .LBB6_3
.LBB6_2:
	v_mov_b32_e32 v1, s4
	v_cndmask_b32_e64 v9, 0, v1, s[6:7]
.LBB6_3:
	s_load_dwordx2 s[34:35], s[0:1], 0x80
	s_load_dwordx2 s[40:41], s[0:1], 0x70
	;; [unrolled: 1-line block ×3, first 2 shown]
	s_load_dwordx4 s[24:27], s[0:1], 0x8
	s_load_dwordx8 s[8:15], s[0:1], 0x20
	s_bitcmp1_b32 s3, 8
	s_cselect_b64 s[4:5], -1, 0
	s_xor_b64 s[20:21], s[4:5], -1
	s_or_b64 s[18:19], s[18:19], s[20:21]
	s_and_b64 vcc, exec, s[18:19]
	s_cbranch_vccnz .LBB6_5
; %bb.4:
	s_load_dword s3, s[16:17], 0x0
	s_waitcnt lgkmcnt(0)
	v_mov_b32_e32 v7, s3
	s_branch .LBB6_6
.LBB6_5:
	v_mov_b32_e32 v1, s16
	v_cndmask_b32_e64 v7, 0, v1, s[4:5]
.LBB6_6:
	s_load_dwordx4 s[20:23], s[0:1], 0x40
	s_load_dword s33, s[0:1], 0x0
	s_load_dwordx4 s[16:19], s[0:1], 0x60
	v_or_b32_e32 v1, 0xfffffe00, v0
	v_lshl_add_u32 v6, v0, 2, 0
	s_mov_b64 s[0:1], 0
	s_waitcnt lgkmcnt(0)
	v_mov_b32_e32 v2, s33
	v_mov_b32_e32 v3, 0
	;; [unrolled: 1-line block ×4, first 2 shown]
.LBB6_7:                                ; =>This Inner Loop Header: Depth=1
	v_add_co_u32_e32 v5, vcc, 0x200, v5
	s_xor_b64 s[30:31], vcc, -1
	s_and_b64 s[30:31], exec, s[30:31]
	ds_write2st64_b32 v4, v2, v3 offset1:16
	s_or_b64 s[0:1], s[30:31], s[0:1]
	v_add_u32_e32 v4, 0x800, v4
	s_andn2_b64 exec, exec, s[0:1]
	s_cbranch_execnz .LBB6_7
; %bb.8:
	s_or_b64 exec, exec, s[0:1]
	s_waitcnt lgkmcnt(0)
	s_barrier
	s_load_dword s0, s[24:25], 0x0
	s_mov_b32 s1, 0
	v_lshrrev_b32_e32 v8, 5, v0
	s_waitcnt lgkmcnt(0)
	s_add_i32 s0, s0, s2
	s_lshl_b64 s[0:1], s[0:1], 2
	s_add_u32 s0, s26, s0
	s_addc_u32 s1, s27, s1
	s_load_dword s42, s[0:1], 0x0
	s_and_b64 vcc, exec, s[6:7]
	s_cbranch_vccz .LBB6_26
; %bb.9:
	s_waitcnt lgkmcnt(0)
	s_ashr_i32 s43, s42, 31
	s_lshl_b64 s[0:1], s[42:43], 2
	s_add_u32 s0, s8, s0
	s_addc_u32 s1, s9, s1
	s_load_dwordx2 s[2:3], s[0:1], 0x0
	v_subrev_u32_e32 v2, s36, v8
	s_waitcnt lgkmcnt(0)
	s_sub_i32 s43, s3, s36
	v_add_u32_e32 v2, s2, v2
	v_cmp_gt_i32_e32 vcc, s43, v2
	s_and_saveexec_b64 s[0:1], vcc
	s_cbranch_execz .LBB6_25
; %bb.10:
	v_and_b32_e32 v3, 31, v0
	v_subrev_u32_e32 v10, s37, v3
	s_mov_b64 s[2:3], 0
	s_movk_i32 s48, 0x89
	s_branch .LBB6_12
.LBB6_11:                               ;   in Loop: Header=BB6_12 Depth=1
	s_or_b64 exec, exec, s[6:7]
	v_add_u32_e32 v2, 16, v2
	v_cmp_le_i32_e32 vcc, s43, v2
	s_or_b64 s[2:3], vcc, s[2:3]
	s_andn2_b64 exec, exec, s[2:3]
	s_cbranch_execz .LBB6_25
.LBB6_12:                               ; =>This Loop Header: Depth=1
                                        ;     Child Loop BB6_16 Depth 2
                                        ;       Child Loop BB6_19 Depth 3
	v_ashrrev_i32_e32 v3, 31, v2
	v_lshl_add_u64 v[4:5], v[2:3], 2, s[10:11]
	global_load_dword v4, v[4:5], off
	s_waitcnt vmcnt(0)
	v_subrev_u32_e32 v4, s36, v4
	v_ashrrev_i32_e32 v5, 31, v4
	v_lshl_add_u64 v[4:5], v[4:5], 2, s[14:15]
	global_load_dwordx2 v[4:5], v[4:5], off
	s_waitcnt vmcnt(0)
	v_subrev_u32_e32 v11, s37, v5
	v_add_u32_e32 v4, v4, v10
	v_cmp_lt_i32_e32 vcc, v4, v11
	s_and_saveexec_b64 s[6:7], vcc
	s_cbranch_execz .LBB6_11
; %bb.13:                               ;   in Loop: Header=BB6_12 Depth=1
	v_lshl_add_u64 v[12:13], v[2:3], 2, s[12:13]
	global_load_dword v3, v[12:13], off
	s_mov_b64 s[8:9], 0
	s_waitcnt vmcnt(0)
	v_mul_f32_e32 v3, v9, v3
	s_branch .LBB6_16
.LBB6_14:                               ;   in Loop: Header=BB6_16 Depth=2
	s_or_b64 exec, exec, s[26:27]
.LBB6_15:                               ;   in Loop: Header=BB6_16 Depth=2
	s_or_b64 exec, exec, s[24:25]
	s_waitcnt vmcnt(0)
	v_mul_f32_e32 v5, v3, v5
	v_lshl_add_u32 v12, v12, 2, 0
	ds_add_f32 v12, v5 offset:4096
	v_add_u32_e32 v4, 32, v4
	v_cmp_ge_i32_e32 vcc, v4, v11
	s_or_b64 s[8:9], vcc, s[8:9]
	s_andn2_b64 exec, exec, s[8:9]
	s_cbranch_execz .LBB6_11
.LBB6_16:                               ;   Parent Loop BB6_12 Depth=1
                                        ; =>  This Loop Header: Depth=2
                                        ;       Child Loop BB6_19 Depth 3
	v_ashrrev_i32_e32 v5, 31, v4
	v_lshlrev_b64 v[12:13], 2, v[4:5]
	v_lshl_add_u64 v[14:15], s[20:21], 0, v[12:13]
	global_load_dword v14, v[14:15], off
	v_lshl_add_u64 v[12:13], s[22:23], 0, v[12:13]
	global_load_dword v5, v[12:13], off
	s_waitcnt vmcnt(1)
	v_subrev_u32_e32 v13, s37, v14
	v_mul_lo_u32 v12, v13, s48
	v_and_b32_e32 v12, 0x3ff, v12
	v_lshl_add_u32 v14, v12, 2, 0
	ds_read_b32 v15, v14
	s_waitcnt lgkmcnt(0)
	v_cmp_ne_u32_e32 vcc, v15, v13
	s_and_saveexec_b64 s[24:25], vcc
	s_cbranch_execz .LBB6_15
; %bb.17:                               ;   in Loop: Header=BB6_16 Depth=2
	s_mov_b64 s[26:27], 0
	s_branch .LBB6_19
.LBB6_18:                               ;   in Loop: Header=BB6_19 Depth=3
	s_or_b64 exec, exec, s[46:47]
	s_and_b64 s[30:31], exec, s[44:45]
	s_or_b64 s[26:27], s[30:31], s[26:27]
	s_andn2_b64 exec, exec, s[26:27]
	s_cbranch_execz .LBB6_14
.LBB6_19:                               ;   Parent Loop BB6_12 Depth=1
                                        ;     Parent Loop BB6_16 Depth=2
                                        ; =>    This Inner Loop Header: Depth=3
	v_cmp_ne_u32_e32 vcc, s33, v15
	s_mov_b64 s[30:31], 0
	s_and_saveexec_b64 s[44:45], vcc
	s_xor_b64 s[44:45], exec, s[44:45]
	s_cbranch_execz .LBB6_21
; %bb.20:                               ;   in Loop: Header=BB6_19 Depth=3
	v_add_u32_e32 v12, 1, v12
	s_mov_b64 s[30:31], exec
	v_and_b32_e32 v12, 0x3ff, v12
                                        ; implicit-def: $vgpr14
	s_andn2_saveexec_b64 s[44:45], s[44:45]
	s_cbranch_execz .LBB6_23
	s_branch .LBB6_22
.LBB6_21:                               ;   in Loop: Header=BB6_19 Depth=3
	s_andn2_saveexec_b64 s[44:45], s[44:45]
	s_cbranch_execz .LBB6_23
.LBB6_22:                               ;   in Loop: Header=BB6_19 Depth=3
	v_mov_b32_e32 v15, s33
	ds_cmpst_rtn_b32 v14, v14, v15, v13
	s_andn2_b64 s[30:31], s[30:31], exec
	s_waitcnt lgkmcnt(0)
	v_cmp_ne_u32_e32 vcc, s33, v14
	s_and_b64 s[46:47], vcc, exec
	s_or_b64 s[30:31], s[30:31], s[46:47]
.LBB6_23:                               ;   in Loop: Header=BB6_19 Depth=3
	s_or_b64 exec, exec, s[44:45]
	s_mov_b64 s[44:45], -1
                                        ; implicit-def: $vgpr14
                                        ; implicit-def: $vgpr15
	s_and_saveexec_b64 s[46:47], s[30:31]
	s_cbranch_execz .LBB6_18
; %bb.24:                               ;   in Loop: Header=BB6_19 Depth=3
	v_lshl_add_u32 v14, v12, 2, 0
	ds_read_b32 v15, v14
	s_waitcnt lgkmcnt(0)
	v_cmp_eq_u32_e32 vcc, v15, v13
	s_orn2_b64 s[44:45], vcc, exec
	s_branch .LBB6_18
.LBB6_25:
	s_or_b64 exec, exec, s[0:1]
.LBB6_26:
	s_andn2_b64 vcc, exec, s[4:5]
	s_cbranch_vccnz .LBB6_41
; %bb.27:
	s_waitcnt lgkmcnt(0)
	s_ashr_i32 s43, s42, 31
	s_lshl_b64 s[0:1], s[42:43], 2
	s_add_u32 s0, s28, s0
	s_addc_u32 s1, s29, s1
	s_load_dwordx2 s[2:3], s[0:1], 0x0
	v_subrev_u32_e32 v2, s39, v0
	s_waitcnt lgkmcnt(0)
	s_sub_i32 s14, s3, s39
	v_add_u32_e32 v2, s2, v2
	v_cmp_gt_i32_e32 vcc, s14, v2
	s_and_saveexec_b64 s[0:1], vcc
	s_cbranch_execz .LBB6_40
; %bb.28:
	s_mov_b64 s[2:3], 0
	s_movk_i32 s15, 0x89
	s_branch .LBB6_31
.LBB6_29:                               ;   in Loop: Header=BB6_31 Depth=1
	s_or_b64 exec, exec, s[6:7]
.LBB6_30:                               ;   in Loop: Header=BB6_31 Depth=1
	s_or_b64 exec, exec, s[4:5]
	s_waitcnt vmcnt(0)
	v_mul_f32_e32 v3, v7, v3
	v_lshl_add_u32 v4, v4, 2, 0
	ds_add_f32 v4, v3 offset:4096
	v_add_u32_e32 v2, 0x200, v2
	v_cmp_le_i32_e32 vcc, s14, v2
	s_or_b64 s[2:3], vcc, s[2:3]
	s_andn2_b64 exec, exec, s[2:3]
	s_cbranch_execz .LBB6_40
.LBB6_31:                               ; =>This Loop Header: Depth=1
                                        ;     Child Loop BB6_34 Depth 2
	v_ashrrev_i32_e32 v3, 31, v2
	v_lshlrev_b64 v[4:5], 2, v[2:3]
	v_lshl_add_u64 v[10:11], s[16:17], 0, v[4:5]
	global_load_dword v9, v[10:11], off
	v_lshl_add_u64 v[4:5], s[18:19], 0, v[4:5]
	global_load_dword v3, v[4:5], off
	s_waitcnt vmcnt(1)
	v_subrev_u32_e32 v5, s39, v9
	v_mul_lo_u32 v4, v5, s15
	v_and_b32_e32 v4, 0x3ff, v4
	v_lshl_add_u32 v9, v4, 2, 0
	ds_read_b32 v10, v9
	s_waitcnt lgkmcnt(0)
	v_cmp_ne_u32_e32 vcc, v10, v5
	s_and_saveexec_b64 s[4:5], vcc
	s_cbranch_execz .LBB6_30
; %bb.32:                               ;   in Loop: Header=BB6_31 Depth=1
	s_mov_b64 s[6:7], 0
	s_branch .LBB6_34
.LBB6_33:                               ;   in Loop: Header=BB6_34 Depth=2
	s_or_b64 exec, exec, s[12:13]
	s_and_b64 s[8:9], exec, s[10:11]
	s_or_b64 s[6:7], s[8:9], s[6:7]
	s_andn2_b64 exec, exec, s[6:7]
	s_cbranch_execz .LBB6_29
.LBB6_34:                               ;   Parent Loop BB6_31 Depth=1
                                        ; =>  This Inner Loop Header: Depth=2
	v_cmp_ne_u32_e32 vcc, s33, v10
	s_mov_b64 s[8:9], 0
	s_and_saveexec_b64 s[10:11], vcc
	s_xor_b64 s[10:11], exec, s[10:11]
	s_cbranch_execz .LBB6_36
; %bb.35:                               ;   in Loop: Header=BB6_34 Depth=2
	v_add_u32_e32 v4, 1, v4
	s_mov_b64 s[8:9], exec
	v_and_b32_e32 v4, 0x3ff, v4
                                        ; implicit-def: $vgpr9
	s_andn2_saveexec_b64 s[10:11], s[10:11]
	s_cbranch_execz .LBB6_38
	s_branch .LBB6_37
.LBB6_36:                               ;   in Loop: Header=BB6_34 Depth=2
	s_andn2_saveexec_b64 s[10:11], s[10:11]
	s_cbranch_execz .LBB6_38
.LBB6_37:                               ;   in Loop: Header=BB6_34 Depth=2
	v_mov_b32_e32 v10, s33
	ds_cmpst_rtn_b32 v9, v9, v10, v5
	s_andn2_b64 s[8:9], s[8:9], exec
	s_waitcnt lgkmcnt(0)
	v_cmp_ne_u32_e32 vcc, s33, v9
	s_and_b64 s[12:13], vcc, exec
	s_or_b64 s[8:9], s[8:9], s[12:13]
.LBB6_38:                               ;   in Loop: Header=BB6_34 Depth=2
	s_or_b64 exec, exec, s[10:11]
	s_mov_b64 s[10:11], -1
                                        ; implicit-def: $vgpr9
                                        ; implicit-def: $vgpr10
	s_and_saveexec_b64 s[12:13], s[8:9]
	s_cbranch_execz .LBB6_33
; %bb.39:                               ;   in Loop: Header=BB6_34 Depth=2
	v_lshl_add_u32 v9, v4, 2, 0
	ds_read_b32 v10, v9
	s_waitcnt lgkmcnt(0)
	v_cmp_eq_u32_e32 vcc, v10, v5
	s_orn2_b64 s[10:11], vcc, exec
	s_branch .LBB6_33
.LBB6_40:
	s_or_b64 exec, exec, s[0:1]
.LBB6_41:
	v_mbcnt_lo_u32_b32 v2, -1, 0
	v_mbcnt_hi_u32_b32 v2, -1, v2
	v_sub_u32_e32 v2, 63, v2
	s_movk_i32 s0, 0x1ff
	s_movk_i32 s6, 0x5f
	;; [unrolled: 1-line block ×14, first 2 shown]
	v_mov_b32_e32 v7, 0
	v_lshrrev_b64 v[2:3], v2, -1
	v_lshl_add_u32 v8, v8, 2, 0
	v_cmp_eq_u32_e64 s[0:1], s0, v0
	v_cmp_lt_u32_e64 s[2:3], 31, v0
	v_cmp_lt_u32_e64 s[4:5], 63, v0
	v_cmp_lt_u32_e64 s[6:7], s6, v0
	v_cmp_lt_u32_e64 s[8:9], s8, v0
	v_cmp_lt_u32_e64 s[10:11], s10, v0
	v_cmp_lt_u32_e64 s[12:13], s12, v0
	v_cmp_lt_u32_e64 s[14:15], s14, v0
	v_cmp_lt_u32_e64 s[16:17], s16, v0
	v_cmp_lt_u32_e64 s[18:19], s18, v0
	v_cmp_lt_u32_e64 s[20:21], s20, v0
	v_cmp_lt_u32_e64 s[22:23], s22, v0
	v_cmp_lt_u32_e64 s[24:25], s24, v0
	v_cmp_lt_u32_e64 s[26:27], s26, v0
	v_cmp_lt_u32_e64 s[28:29], s28, v0
	v_cmp_lt_u32_e64 s[30:31], s30, v0
	s_mov_b64 s[36:37], 0
	v_mov_b32_e32 v9, 0
	s_waitcnt lgkmcnt(0)
	s_barrier
	s_branch .LBB6_43
.LBB6_42:                               ;   in Loop: Header=BB6_43 Depth=1
	s_or_b64 exec, exec, s[44:45]
	s_waitcnt lgkmcnt(0)
	s_barrier
	ds_read_b32 v4, v7 offset:8252
	v_add_co_u32_e32 v1, vcc, 0x200, v1
	s_xor_b64 s[44:45], vcc, -1
	s_and_b64 s[44:45], exec, s[44:45]
	s_waitcnt lgkmcnt(0)
	v_add_u32_e32 v9, v4, v9
	s_or_b64 s[36:37], s[44:45], s[36:37]
	v_add_u32_e32 v6, 0x800, v6
	s_andn2_b64 exec, exec, s[36:37]
	s_cbranch_execz .LBB6_77
.LBB6_43:                               ; =>This Inner Loop Header: Depth=1
	ds_read2st64_b32 v[4:5], v6 offset1:16
	s_waitcnt lgkmcnt(0)
	s_barrier
	v_cmp_gt_i32_e32 vcc, s33, v4
	s_bcnt1_i32_b64 s39, vcc
	s_nop 0
	v_and_b32_e32 v11, vcc_lo, v2
	v_and_b32_e32 v10, vcc_hi, v3
	v_bcnt_u32_b32 v11, v11, 0
	v_bcnt_u32_b32 v10, v10, v11
	v_mov_b32_e32 v11, s39
	ds_write_b32 v8, v11 offset:8192
	s_waitcnt lgkmcnt(0)
	s_barrier
	s_and_saveexec_b64 s[44:45], s[2:3]
	s_cbranch_execz .LBB6_60
; %bb.44:                               ;   in Loop: Header=BB6_43 Depth=1
	ds_read_b32 v11, v7 offset:8192
	s_waitcnt lgkmcnt(0)
	v_add_u32_e32 v10, v11, v10
	s_or_b64 exec, exec, s[44:45]
	s_and_saveexec_b64 s[44:45], s[4:5]
	s_cbranch_execnz .LBB6_61
.LBB6_45:                               ;   in Loop: Header=BB6_43 Depth=1
	s_or_b64 exec, exec, s[44:45]
	s_and_saveexec_b64 s[44:45], s[6:7]
	s_cbranch_execz .LBB6_62
.LBB6_46:                               ;   in Loop: Header=BB6_43 Depth=1
	ds_read_b32 v11, v7 offset:8200
	s_waitcnt lgkmcnt(0)
	v_add_u32_e32 v10, v11, v10
	s_or_b64 exec, exec, s[44:45]
	s_and_saveexec_b64 s[44:45], s[8:9]
	s_cbranch_execnz .LBB6_63
.LBB6_47:                               ;   in Loop: Header=BB6_43 Depth=1
	s_or_b64 exec, exec, s[44:45]
	s_and_saveexec_b64 s[44:45], s[10:11]
	s_cbranch_execz .LBB6_64
.LBB6_48:                               ;   in Loop: Header=BB6_43 Depth=1
	ds_read_b32 v11, v7 offset:8208
	s_waitcnt lgkmcnt(0)
	v_add_u32_e32 v10, v11, v10
	s_or_b64 exec, exec, s[44:45]
	s_and_saveexec_b64 s[44:45], s[12:13]
	s_cbranch_execnz .LBB6_65
.LBB6_49:                               ;   in Loop: Header=BB6_43 Depth=1
	s_or_b64 exec, exec, s[44:45]
	s_and_saveexec_b64 s[44:45], s[14:15]
	s_cbranch_execz .LBB6_66
.LBB6_50:                               ;   in Loop: Header=BB6_43 Depth=1
	ds_read_b32 v11, v7 offset:8216
	s_waitcnt lgkmcnt(0)
	v_add_u32_e32 v10, v11, v10
	s_or_b64 exec, exec, s[44:45]
	s_and_saveexec_b64 s[44:45], s[16:17]
	s_cbranch_execnz .LBB6_67
.LBB6_51:                               ;   in Loop: Header=BB6_43 Depth=1
	s_or_b64 exec, exec, s[44:45]
	s_and_saveexec_b64 s[44:45], s[18:19]
	s_cbranch_execz .LBB6_68
.LBB6_52:                               ;   in Loop: Header=BB6_43 Depth=1
	ds_read_b32 v11, v7 offset:8224
	s_waitcnt lgkmcnt(0)
	v_add_u32_e32 v10, v11, v10
	s_or_b64 exec, exec, s[44:45]
	s_and_saveexec_b64 s[44:45], s[20:21]
	s_cbranch_execnz .LBB6_69
.LBB6_53:                               ;   in Loop: Header=BB6_43 Depth=1
	s_or_b64 exec, exec, s[44:45]
	s_and_saveexec_b64 s[44:45], s[22:23]
	s_cbranch_execz .LBB6_70
.LBB6_54:                               ;   in Loop: Header=BB6_43 Depth=1
	ds_read_b32 v11, v7 offset:8232
	s_waitcnt lgkmcnt(0)
	v_add_u32_e32 v10, v11, v10
	s_or_b64 exec, exec, s[44:45]
	s_and_saveexec_b64 s[44:45], s[24:25]
	s_cbranch_execnz .LBB6_71
.LBB6_55:                               ;   in Loop: Header=BB6_43 Depth=1
	s_or_b64 exec, exec, s[44:45]
	s_and_saveexec_b64 s[44:45], s[26:27]
	s_cbranch_execz .LBB6_72
.LBB6_56:                               ;   in Loop: Header=BB6_43 Depth=1
	ds_read_b32 v11, v7 offset:8240
	s_waitcnt lgkmcnt(0)
	v_add_u32_e32 v10, v11, v10
	s_or_b64 exec, exec, s[44:45]
	s_and_saveexec_b64 s[44:45], s[28:29]
	s_cbranch_execnz .LBB6_73
.LBB6_57:                               ;   in Loop: Header=BB6_43 Depth=1
	s_or_b64 exec, exec, s[44:45]
	s_and_saveexec_b64 s[44:45], s[30:31]
	s_cbranch_execz .LBB6_74
.LBB6_58:                               ;   in Loop: Header=BB6_43 Depth=1
	ds_read_b32 v11, v7 offset:8248
	s_waitcnt lgkmcnt(0)
	v_add_u32_e32 v10, v11, v10
	s_or_b64 exec, exec, s[44:45]
	s_and_saveexec_b64 s[44:45], vcc
	s_cbranch_execnz .LBB6_75
.LBB6_59:                               ;   in Loop: Header=BB6_43 Depth=1
	s_or_b64 exec, exec, s[44:45]
	s_and_saveexec_b64 s[44:45], s[0:1]
	s_cbranch_execz .LBB6_42
	s_branch .LBB6_76
.LBB6_60:                               ;   in Loop: Header=BB6_43 Depth=1
	s_or_b64 exec, exec, s[44:45]
	s_and_saveexec_b64 s[44:45], s[4:5]
	s_cbranch_execz .LBB6_45
.LBB6_61:                               ;   in Loop: Header=BB6_43 Depth=1
	ds_read_b32 v11, v7 offset:8196
	s_waitcnt lgkmcnt(0)
	v_add_u32_e32 v10, v11, v10
	s_or_b64 exec, exec, s[44:45]
	s_and_saveexec_b64 s[44:45], s[6:7]
	s_cbranch_execnz .LBB6_46
.LBB6_62:                               ;   in Loop: Header=BB6_43 Depth=1
	s_or_b64 exec, exec, s[44:45]
	s_and_saveexec_b64 s[44:45], s[8:9]
	s_cbranch_execz .LBB6_47
.LBB6_63:                               ;   in Loop: Header=BB6_43 Depth=1
	ds_read_b32 v11, v7 offset:8204
	s_waitcnt lgkmcnt(0)
	v_add_u32_e32 v10, v11, v10
	s_or_b64 exec, exec, s[44:45]
	s_and_saveexec_b64 s[44:45], s[10:11]
	s_cbranch_execnz .LBB6_48
.LBB6_64:                               ;   in Loop: Header=BB6_43 Depth=1
	s_or_b64 exec, exec, s[44:45]
	s_and_saveexec_b64 s[44:45], s[12:13]
	s_cbranch_execz .LBB6_49
.LBB6_65:                               ;   in Loop: Header=BB6_43 Depth=1
	ds_read_b32 v11, v7 offset:8212
	s_waitcnt lgkmcnt(0)
	v_add_u32_e32 v10, v11, v10
	s_or_b64 exec, exec, s[44:45]
	s_and_saveexec_b64 s[44:45], s[14:15]
	s_cbranch_execnz .LBB6_50
.LBB6_66:                               ;   in Loop: Header=BB6_43 Depth=1
	s_or_b64 exec, exec, s[44:45]
	s_and_saveexec_b64 s[44:45], s[16:17]
	s_cbranch_execz .LBB6_51
.LBB6_67:                               ;   in Loop: Header=BB6_43 Depth=1
	ds_read_b32 v11, v7 offset:8220
	s_waitcnt lgkmcnt(0)
	v_add_u32_e32 v10, v11, v10
	s_or_b64 exec, exec, s[44:45]
	s_and_saveexec_b64 s[44:45], s[18:19]
	s_cbranch_execnz .LBB6_52
.LBB6_68:                               ;   in Loop: Header=BB6_43 Depth=1
	s_or_b64 exec, exec, s[44:45]
	s_and_saveexec_b64 s[44:45], s[20:21]
	s_cbranch_execz .LBB6_53
.LBB6_69:                               ;   in Loop: Header=BB6_43 Depth=1
	ds_read_b32 v11, v7 offset:8228
	s_waitcnt lgkmcnt(0)
	v_add_u32_e32 v10, v11, v10
	s_or_b64 exec, exec, s[44:45]
	s_and_saveexec_b64 s[44:45], s[22:23]
	s_cbranch_execnz .LBB6_54
.LBB6_70:                               ;   in Loop: Header=BB6_43 Depth=1
	s_or_b64 exec, exec, s[44:45]
	s_and_saveexec_b64 s[44:45], s[24:25]
	s_cbranch_execz .LBB6_55
.LBB6_71:                               ;   in Loop: Header=BB6_43 Depth=1
	ds_read_b32 v11, v7 offset:8236
	s_waitcnt lgkmcnt(0)
	v_add_u32_e32 v10, v11, v10
	s_or_b64 exec, exec, s[44:45]
	s_and_saveexec_b64 s[44:45], s[26:27]
	s_cbranch_execnz .LBB6_56
.LBB6_72:                               ;   in Loop: Header=BB6_43 Depth=1
	s_or_b64 exec, exec, s[44:45]
	s_and_saveexec_b64 s[44:45], s[28:29]
	s_cbranch_execz .LBB6_57
.LBB6_73:                               ;   in Loop: Header=BB6_43 Depth=1
	ds_read_b32 v11, v7 offset:8244
	s_waitcnt lgkmcnt(0)
	v_add_u32_e32 v10, v11, v10
	s_or_b64 exec, exec, s[44:45]
	s_and_saveexec_b64 s[44:45], s[30:31]
	s_cbranch_execnz .LBB6_58
.LBB6_74:                               ;   in Loop: Header=BB6_43 Depth=1
	s_or_b64 exec, exec, s[44:45]
	s_and_saveexec_b64 s[44:45], vcc
	s_cbranch_execz .LBB6_59
.LBB6_75:                               ;   in Loop: Header=BB6_43 Depth=1
	v_add3_u32 v11, v9, -1, v10
	v_lshl_add_u32 v11, v11, 2, 0
	v_add_u32_e32 v12, v9, v10
	v_lshl_add_u32 v12, v12, 2, 0
	ds_write_b32 v11, v4
	ds_write_b32 v12, v5 offset:4092
	s_or_b64 exec, exec, s[44:45]
	s_and_saveexec_b64 s[44:45], s[0:1]
	s_cbranch_execz .LBB6_42
.LBB6_76:                               ;   in Loop: Header=BB6_43 Depth=1
	ds_write_b32 v7, v10 offset:8252
	s_branch .LBB6_42
.LBB6_77:
	s_or_b64 exec, exec, s[36:37]
	s_ashr_i32 s43, s42, 31
	s_lshl_b64 s[0:1], s[42:43], 2
	s_add_u32 s2, s40, s0
	s_addc_u32 s3, s41, s1
	s_load_dwordx2 s[0:1], s[2:3], 0x0
	s_waitcnt lgkmcnt(0)
	s_sub_i32 s14, s1, s0
	v_cmp_gt_i32_e32 vcc, s14, v0
	s_and_saveexec_b64 s[2:3], vcc
	s_cbranch_execz .LBB6_91
; %bb.78:
	s_sub_i32 s8, s0, s38
	v_sub_co_u32_e64 v1, s[0:1], s14, 2
	s_nop 0
	v_readfirstlane_b32 s2, v1
	s_lshr_b32 s2, s2, 1
	s_add_i32 s2, s2, 1
	s_xor_b64 s[0:1], s[0:1], -1
	s_and_b32 s15, s14, -2
	s_and_b32 s3, s2, 7
	s_and_b32 s16, s2, -8
	s_cmp_lg_u32 s3, 0
	v_cmp_lt_u32_e32 vcc, 13, v1
	s_cselect_b64 s[4:5], -1, 0
	s_cmp_lg_u32 s14, s15
	v_cndmask_b32_e64 v1, 0, 1, vcc
	s_cselect_b64 s[10:11], -1, 0
	s_lshl_b32 s17, s3, 3
	v_cndmask_b32_e64 v2, 0, 1, s[0:1]
	v_cmp_ne_u32_e64 s[2:3], 1, v1
	v_cndmask_b32_e64 v1, 0, 1, s[4:5]
	s_mov_b32 s9, 0
	s_mov_b64 s[12:13], 0
	v_cmp_ne_u32_e64 s[0:1], 1, v2
	v_cmp_ne_u32_e64 s[4:5], 1, v1
	s_branch .LBB6_80
.LBB6_79:                               ;   in Loop: Header=BB6_80 Depth=1
	v_add_u32_e32 v0, 0x200, v0
	v_ashrrev_i32_e32 v5, 31, v4
	v_cmp_le_i32_e32 vcc, s14, v0
	v_lshl_add_u64 v[4:5], v[4:5], 2, s[34:35]
	s_or_b64 s[12:13], vcc, s[12:13]
	s_waitcnt lgkmcnt(0)
	global_store_dword v[4:5], v3, off
	s_andn2_b64 exec, exec, s[12:13]
	s_cbranch_execz .LBB6_91
.LBB6_80:                               ; =>This Loop Header: Depth=1
                                        ;     Child Loop BB6_83 Depth 2
                                        ;     Child Loop BB6_86 Depth 2
	;; [unrolled: 1-line block ×3, first 2 shown]
	v_lshl_add_u32 v1, v0, 2, 0
	ds_read2st64_b32 v[2:3], v1 offset1:16
	s_and_b64 vcc, exec, s[0:1]
	v_mov_b32_e32 v4, s8
	s_mov_b32 s18, 0
	s_mov_b64 s[6:7], -1
	s_cbranch_vccnz .LBB6_88
; %bb.81:                               ;   in Loop: Header=BB6_80 Depth=1
	s_and_b64 vcc, exec, s[2:3]
	v_mov_b64_e32 v[4:5], s[8:9]
	s_cbranch_vccnz .LBB6_84
; %bb.82:                               ;   in Loop: Header=BB6_80 Depth=1
	s_mov_b32 s19, 0
	v_mov_b32_e32 v4, s8
	v_mov_b32_e32 v5, 0
	s_mov_b32 s20, s16
.LBB6_83:                               ;   Parent Loop BB6_80 Depth=1
                                        ; =>  This Inner Loop Header: Depth=2
	v_mov_b32_e32 v1, s19
	ds_read2_b32 v[6:7], v1 offset1:1
	ds_read2_b32 v[8:9], v1 offset0:2 offset1:3
	ds_read2_b32 v[10:11], v1 offset0:4 offset1:5
	;; [unrolled: 1-line block ×7, first 2 shown]
	s_waitcnt lgkmcnt(7)
	v_cmp_gt_i32_e32 vcc, v2, v7
	s_waitcnt lgkmcnt(5)
	v_cmp_gt_i32_e64 s[6:7], v2, v10
	s_add_i32 s18, s18, 16
	v_cndmask_b32_e64 v1, 0, 1, vcc
	v_cmp_gt_i32_e32 vcc, v2, v6
	v_cndmask_b32_e64 v7, 0, 1, s[6:7]
	v_cmp_gt_i32_e64 s[6:7], v2, v11
	v_cndmask_b32_e64 v6, 0, 1, vcc
	v_cmp_gt_i32_e32 vcc, v2, v9
	v_cndmask_b32_e64 v9, 0, 1, s[6:7]
	s_waitcnt lgkmcnt(3)
	v_cmp_gt_i32_e64 s[6:7], v2, v15
	v_addc_co_u32_e32 v1, vcc, v5, v1, vcc
	s_nop 0
	v_cndmask_b32_e64 v10, 0, 1, s[6:7]
	v_cmp_gt_i32_e64 s[6:7], v2, v14
	v_cmp_gt_i32_e32 vcc, v2, v12
	s_add_i32 s19, s19, 64
	v_cndmask_b32_e64 v11, 0, 1, s[6:7]
	s_waitcnt lgkmcnt(1)
	v_cmp_gt_i32_e64 s[6:7], v2, v18
	s_add_i32 s20, s20, -8
	s_cmp_lg_u32 s20, 0
	v_cndmask_b32_e64 v14, 0, 1, s[6:7]
	v_cmp_gt_i32_e64 s[6:7], v2, v19
	s_nop 1
	v_cndmask_b32_e64 v15, 0, 1, s[6:7]
	v_cmp_gt_i32_e64 s[6:7], v2, v8
	s_nop 1
	v_addc_co_u32_e64 v4, s[6:7], v4, v6, s[6:7]
	v_cmp_gt_i32_e64 s[6:7], v2, v13
	v_addc_co_u32_e32 v4, vcc, v4, v7, vcc
	s_nop 0
	v_addc_co_u32_e64 v1, s[6:7], v1, v9, s[6:7]
	v_cmp_gt_i32_e32 vcc, v2, v17
	v_cmp_gt_i32_e64 s[6:7], v2, v16
	s_nop 0
	v_addc_co_u32_e32 v1, vcc, v1, v10, vcc
	v_addc_co_u32_e64 v4, s[6:7], v4, v11, s[6:7]
	s_waitcnt lgkmcnt(0)
	v_cmp_gt_i32_e32 vcc, v2, v20
	v_cmp_gt_i32_e64 s[6:7], v2, v21
	s_nop 0
	v_addc_co_u32_e32 v4, vcc, v4, v14, vcc
	v_addc_co_u32_e64 v5, s[6:7], v1, v15, s[6:7]
	s_cbranch_scc1 .LBB6_83
.LBB6_84:                               ;   in Loop: Header=BB6_80 Depth=1
	s_and_b64 vcc, exec, s[4:5]
	s_cbranch_vccnz .LBB6_87
; %bb.85:                               ;   in Loop: Header=BB6_80 Depth=1
	s_lshl_b32 s6, s18, 2
	s_add_i32 s6, s6, 0
	s_mov_b32 s7, s17
.LBB6_86:                               ;   Parent Loop BB6_80 Depth=1
                                        ; =>  This Inner Loop Header: Depth=2
	v_mov_b32_e32 v1, s6
	ds_read2_b32 v[6:7], v1 offset1:1
	s_add_i32 s6, s6, 8
	s_add_i32 s7, s7, -8
	s_cmp_lg_u32 s7, 0
	s_waitcnt lgkmcnt(0)
	v_cmp_gt_i32_e32 vcc, v2, v7
	s_nop 1
	v_addc_co_u32_e32 v5, vcc, 0, v5, vcc
	v_cmp_gt_i32_e32 vcc, v2, v6
	s_nop 1
	v_addc_co_u32_e32 v4, vcc, 0, v4, vcc
	s_cbranch_scc1 .LBB6_86
.LBB6_87:                               ;   in Loop: Header=BB6_80 Depth=1
	v_add_u32_e32 v4, v4, v5
	s_mov_b32 s18, s15
	s_mov_b64 s[6:7], s[10:11]
.LBB6_88:                               ;   in Loop: Header=BB6_80 Depth=1
	s_and_b64 vcc, exec, s[6:7]
	s_cbranch_vccz .LBB6_79
; %bb.89:                               ;   in Loop: Header=BB6_80 Depth=1
	s_lshl_b32 s6, s18, 2
	s_add_i32 s6, s6, 0
.LBB6_90:                               ;   Parent Loop BB6_80 Depth=1
                                        ; =>  This Inner Loop Header: Depth=2
	v_mov_b32_e32 v1, s6
	ds_read_b32 v1, v1
	s_add_i32 s18, s18, 1
	s_add_i32 s6, s6, 4
	s_cmp_ge_i32 s18, s14
	s_waitcnt lgkmcnt(0)
	v_cmp_gt_i32_e32 vcc, v2, v1
	s_nop 1
	v_addc_co_u32_e32 v4, vcc, 0, v4, vcc
	s_cbranch_scc0 .LBB6_90
	s_branch .LBB6_79
.LBB6_91:
	s_endpgm
	.section	.rodata,"a",@progbits
	.p2align	6, 0x0
	.amdhsa_kernel _ZN9rocsparseL41csrgemm_numeric_fill_block_per_row_kernelILj512ELj32ELj1024ELj137ELj32EiifEEvT5_PKS1_S3_NS_24const_host_device_scalarIT6_EEPKT4_S3_PKS5_S9_S3_SB_S6_S9_S3_SB_S9_S3_PS5_21rocsparse_index_base_SD_SD_SD_bbb
		.amdhsa_group_segment_fixed_size 0
		.amdhsa_private_segment_fixed_size 0
		.amdhsa_kernarg_size 156
		.amdhsa_user_sgpr_count 2
		.amdhsa_user_sgpr_dispatch_ptr 0
		.amdhsa_user_sgpr_queue_ptr 0
		.amdhsa_user_sgpr_kernarg_segment_ptr 1
		.amdhsa_user_sgpr_dispatch_id 0
		.amdhsa_user_sgpr_kernarg_preload_length 0
		.amdhsa_user_sgpr_kernarg_preload_offset 0
		.amdhsa_user_sgpr_private_segment_size 0
		.amdhsa_uses_dynamic_stack 0
		.amdhsa_enable_private_segment 0
		.amdhsa_system_sgpr_workgroup_id_x 1
		.amdhsa_system_sgpr_workgroup_id_y 0
		.amdhsa_system_sgpr_workgroup_id_z 0
		.amdhsa_system_sgpr_workgroup_info 0
		.amdhsa_system_vgpr_workitem_id 0
		.amdhsa_next_free_vgpr 22
		.amdhsa_next_free_sgpr 49
		.amdhsa_accum_offset 24
		.amdhsa_reserve_vcc 1
		.amdhsa_float_round_mode_32 0
		.amdhsa_float_round_mode_16_64 0
		.amdhsa_float_denorm_mode_32 3
		.amdhsa_float_denorm_mode_16_64 3
		.amdhsa_dx10_clamp 1
		.amdhsa_ieee_mode 1
		.amdhsa_fp16_overflow 0
		.amdhsa_tg_split 0
		.amdhsa_exception_fp_ieee_invalid_op 0
		.amdhsa_exception_fp_denorm_src 0
		.amdhsa_exception_fp_ieee_div_zero 0
		.amdhsa_exception_fp_ieee_overflow 0
		.amdhsa_exception_fp_ieee_underflow 0
		.amdhsa_exception_fp_ieee_inexact 0
		.amdhsa_exception_int_div_zero 0
	.end_amdhsa_kernel
	.section	.text._ZN9rocsparseL41csrgemm_numeric_fill_block_per_row_kernelILj512ELj32ELj1024ELj137ELj32EiifEEvT5_PKS1_S3_NS_24const_host_device_scalarIT6_EEPKT4_S3_PKS5_S9_S3_SB_S6_S9_S3_SB_S9_S3_PS5_21rocsparse_index_base_SD_SD_SD_bbb,"axG",@progbits,_ZN9rocsparseL41csrgemm_numeric_fill_block_per_row_kernelILj512ELj32ELj1024ELj137ELj32EiifEEvT5_PKS1_S3_NS_24const_host_device_scalarIT6_EEPKT4_S3_PKS5_S9_S3_SB_S6_S9_S3_SB_S9_S3_PS5_21rocsparse_index_base_SD_SD_SD_bbb,comdat
.Lfunc_end6:
	.size	_ZN9rocsparseL41csrgemm_numeric_fill_block_per_row_kernelILj512ELj32ELj1024ELj137ELj32EiifEEvT5_PKS1_S3_NS_24const_host_device_scalarIT6_EEPKT4_S3_PKS5_S9_S3_SB_S6_S9_S3_SB_S9_S3_PS5_21rocsparse_index_base_SD_SD_SD_bbb, .Lfunc_end6-_ZN9rocsparseL41csrgemm_numeric_fill_block_per_row_kernelILj512ELj32ELj1024ELj137ELj32EiifEEvT5_PKS1_S3_NS_24const_host_device_scalarIT6_EEPKT4_S3_PKS5_S9_S3_SB_S6_S9_S3_SB_S9_S3_PS5_21rocsparse_index_base_SD_SD_SD_bbb
                                        ; -- End function
	.set _ZN9rocsparseL41csrgemm_numeric_fill_block_per_row_kernelILj512ELj32ELj1024ELj137ELj32EiifEEvT5_PKS1_S3_NS_24const_host_device_scalarIT6_EEPKT4_S3_PKS5_S9_S3_SB_S6_S9_S3_SB_S9_S3_PS5_21rocsparse_index_base_SD_SD_SD_bbb.num_vgpr, 22
	.set _ZN9rocsparseL41csrgemm_numeric_fill_block_per_row_kernelILj512ELj32ELj1024ELj137ELj32EiifEEvT5_PKS1_S3_NS_24const_host_device_scalarIT6_EEPKT4_S3_PKS5_S9_S3_SB_S6_S9_S3_SB_S9_S3_PS5_21rocsparse_index_base_SD_SD_SD_bbb.num_agpr, 0
	.set _ZN9rocsparseL41csrgemm_numeric_fill_block_per_row_kernelILj512ELj32ELj1024ELj137ELj32EiifEEvT5_PKS1_S3_NS_24const_host_device_scalarIT6_EEPKT4_S3_PKS5_S9_S3_SB_S6_S9_S3_SB_S9_S3_PS5_21rocsparse_index_base_SD_SD_SD_bbb.numbered_sgpr, 49
	.set _ZN9rocsparseL41csrgemm_numeric_fill_block_per_row_kernelILj512ELj32ELj1024ELj137ELj32EiifEEvT5_PKS1_S3_NS_24const_host_device_scalarIT6_EEPKT4_S3_PKS5_S9_S3_SB_S6_S9_S3_SB_S9_S3_PS5_21rocsparse_index_base_SD_SD_SD_bbb.num_named_barrier, 0
	.set _ZN9rocsparseL41csrgemm_numeric_fill_block_per_row_kernelILj512ELj32ELj1024ELj137ELj32EiifEEvT5_PKS1_S3_NS_24const_host_device_scalarIT6_EEPKT4_S3_PKS5_S9_S3_SB_S6_S9_S3_SB_S9_S3_PS5_21rocsparse_index_base_SD_SD_SD_bbb.private_seg_size, 0
	.set _ZN9rocsparseL41csrgemm_numeric_fill_block_per_row_kernelILj512ELj32ELj1024ELj137ELj32EiifEEvT5_PKS1_S3_NS_24const_host_device_scalarIT6_EEPKT4_S3_PKS5_S9_S3_SB_S6_S9_S3_SB_S9_S3_PS5_21rocsparse_index_base_SD_SD_SD_bbb.uses_vcc, 1
	.set _ZN9rocsparseL41csrgemm_numeric_fill_block_per_row_kernelILj512ELj32ELj1024ELj137ELj32EiifEEvT5_PKS1_S3_NS_24const_host_device_scalarIT6_EEPKT4_S3_PKS5_S9_S3_SB_S6_S9_S3_SB_S9_S3_PS5_21rocsparse_index_base_SD_SD_SD_bbb.uses_flat_scratch, 0
	.set _ZN9rocsparseL41csrgemm_numeric_fill_block_per_row_kernelILj512ELj32ELj1024ELj137ELj32EiifEEvT5_PKS1_S3_NS_24const_host_device_scalarIT6_EEPKT4_S3_PKS5_S9_S3_SB_S6_S9_S3_SB_S9_S3_PS5_21rocsparse_index_base_SD_SD_SD_bbb.has_dyn_sized_stack, 0
	.set _ZN9rocsparseL41csrgemm_numeric_fill_block_per_row_kernelILj512ELj32ELj1024ELj137ELj32EiifEEvT5_PKS1_S3_NS_24const_host_device_scalarIT6_EEPKT4_S3_PKS5_S9_S3_SB_S6_S9_S3_SB_S9_S3_PS5_21rocsparse_index_base_SD_SD_SD_bbb.has_recursion, 0
	.set _ZN9rocsparseL41csrgemm_numeric_fill_block_per_row_kernelILj512ELj32ELj1024ELj137ELj32EiifEEvT5_PKS1_S3_NS_24const_host_device_scalarIT6_EEPKT4_S3_PKS5_S9_S3_SB_S6_S9_S3_SB_S9_S3_PS5_21rocsparse_index_base_SD_SD_SD_bbb.has_indirect_call, 0
	.section	.AMDGPU.csdata,"",@progbits
; Kernel info:
; codeLenInByte = 3156
; TotalNumSgprs: 55
; NumVgprs: 22
; NumAgprs: 0
; TotalNumVgprs: 22
; ScratchSize: 0
; MemoryBound: 0
; FloatMode: 240
; IeeeMode: 1
; LDSByteSize: 0 bytes/workgroup (compile time only)
; SGPRBlocks: 6
; VGPRBlocks: 2
; NumSGPRsForWavesPerEU: 55
; NumVGPRsForWavesPerEU: 22
; AccumOffset: 24
; Occupancy: 8
; WaveLimiterHint : 1
; COMPUTE_PGM_RSRC2:SCRATCH_EN: 0
; COMPUTE_PGM_RSRC2:USER_SGPR: 2
; COMPUTE_PGM_RSRC2:TRAP_HANDLER: 0
; COMPUTE_PGM_RSRC2:TGID_X_EN: 1
; COMPUTE_PGM_RSRC2:TGID_Y_EN: 0
; COMPUTE_PGM_RSRC2:TGID_Z_EN: 0
; COMPUTE_PGM_RSRC2:TIDIG_COMP_CNT: 0
; COMPUTE_PGM_RSRC3_GFX90A:ACCUM_OFFSET: 5
; COMPUTE_PGM_RSRC3_GFX90A:TG_SPLIT: 0
	.section	.text._ZN9rocsparseL41csrgemm_numeric_fill_block_per_row_kernelILj512ELj32ELj1024ELj137ELj64EiifEEvT5_PKS1_S3_NS_24const_host_device_scalarIT6_EEPKT4_S3_PKS5_S9_S3_SB_S6_S9_S3_SB_S9_S3_PS5_21rocsparse_index_base_SD_SD_SD_bbb,"axG",@progbits,_ZN9rocsparseL41csrgemm_numeric_fill_block_per_row_kernelILj512ELj32ELj1024ELj137ELj64EiifEEvT5_PKS1_S3_NS_24const_host_device_scalarIT6_EEPKT4_S3_PKS5_S9_S3_SB_S6_S9_S3_SB_S9_S3_PS5_21rocsparse_index_base_SD_SD_SD_bbb,comdat
	.globl	_ZN9rocsparseL41csrgemm_numeric_fill_block_per_row_kernelILj512ELj32ELj1024ELj137ELj64EiifEEvT5_PKS1_S3_NS_24const_host_device_scalarIT6_EEPKT4_S3_PKS5_S9_S3_SB_S6_S9_S3_SB_S9_S3_PS5_21rocsparse_index_base_SD_SD_SD_bbb ; -- Begin function _ZN9rocsparseL41csrgemm_numeric_fill_block_per_row_kernelILj512ELj32ELj1024ELj137ELj64EiifEEvT5_PKS1_S3_NS_24const_host_device_scalarIT6_EEPKT4_S3_PKS5_S9_S3_SB_S6_S9_S3_SB_S9_S3_PS5_21rocsparse_index_base_SD_SD_SD_bbb
	.p2align	8
	.type	_ZN9rocsparseL41csrgemm_numeric_fill_block_per_row_kernelILj512ELj32ELj1024ELj137ELj64EiifEEvT5_PKS1_S3_NS_24const_host_device_scalarIT6_EEPKT4_S3_PKS5_S9_S3_SB_S6_S9_S3_SB_S9_S3_PS5_21rocsparse_index_base_SD_SD_SD_bbb,@function
_ZN9rocsparseL41csrgemm_numeric_fill_block_per_row_kernelILj512ELj32ELj1024ELj137ELj64EiifEEvT5_PKS1_S3_NS_24const_host_device_scalarIT6_EEPKT4_S3_PKS5_S9_S3_SB_S6_S9_S3_SB_S9_S3_PS5_21rocsparse_index_base_SD_SD_SD_bbb: ; @_ZN9rocsparseL41csrgemm_numeric_fill_block_per_row_kernelILj512ELj32ELj1024ELj137ELj64EiifEEvT5_PKS1_S3_NS_24const_host_device_scalarIT6_EEPKT4_S3_PKS5_S9_S3_SB_S6_S9_S3_SB_S9_S3_PS5_21rocsparse_index_base_SD_SD_SD_bbb
; %bb.0:
	s_load_dword s3, s[0:1], 0x98
	s_load_dwordx4 s[16:19], s[0:1], 0x88
	s_load_dwordx2 s[4:5], s[0:1], 0x18
	s_load_dwordx2 s[20:21], s[0:1], 0x50
	s_waitcnt lgkmcnt(0)
	s_bitcmp1_b32 s3, 0
	s_cselect_b64 s[6:7], -1, 0
	s_bitcmp1_b32 s3, 16
	s_cselect_b64 s[22:23], -1, 0
	s_xor_b64 s[8:9], s[6:7], -1
	s_or_b64 s[8:9], s[22:23], s[8:9]
	s_and_b64 vcc, exec, s[8:9]
	s_cbranch_vccnz .LBB7_2
; %bb.1:
	s_load_dword s4, s[4:5], 0x0
	s_waitcnt lgkmcnt(0)
	v_mov_b32_e32 v8, s4
	s_branch .LBB7_3
.LBB7_2:
	v_mov_b32_e32 v1, s4
	v_cndmask_b32_e64 v8, 0, v1, s[6:7]
.LBB7_3:
	s_load_dwordx2 s[34:35], s[0:1], 0x80
	s_load_dwordx2 s[36:37], s[0:1], 0x70
	s_load_dwordx2 s[38:39], s[0:1], 0x58
	s_load_dwordx4 s[28:31], s[0:1], 0x8
	s_load_dwordx8 s[8:15], s[0:1], 0x20
	s_bitcmp1_b32 s3, 8
	s_cselect_b64 s[4:5], -1, 0
	s_xor_b64 s[24:25], s[4:5], -1
	s_or_b64 s[22:23], s[22:23], s[24:25]
	s_and_b64 vcc, exec, s[22:23]
	s_cbranch_vccnz .LBB7_5
; %bb.4:
	s_load_dword s3, s[20:21], 0x0
	s_waitcnt lgkmcnt(0)
	v_mov_b32_e32 v7, s3
	s_branch .LBB7_6
.LBB7_5:
	v_mov_b32_e32 v1, s20
	v_cndmask_b32_e64 v7, 0, v1, s[4:5]
.LBB7_6:
	s_load_dwordx4 s[24:27], s[0:1], 0x40
	s_load_dword s33, s[0:1], 0x0
	s_load_dwordx4 s[20:23], s[0:1], 0x60
	v_or_b32_e32 v1, 0xfffffe00, v0
	v_lshl_add_u32 v6, v0, 2, 0
	s_mov_b64 s[0:1], 0
	s_waitcnt lgkmcnt(0)
	v_mov_b32_e32 v2, s33
	v_mov_b32_e32 v3, 0
	;; [unrolled: 1-line block ×4, first 2 shown]
.LBB7_7:                                ; =>This Inner Loop Header: Depth=1
	v_add_co_u32_e32 v5, vcc, 0x200, v5
	s_xor_b64 s[40:41], vcc, -1
	s_and_b64 s[40:41], exec, s[40:41]
	ds_write2st64_b32 v4, v2, v3 offset1:16
	s_or_b64 s[0:1], s[40:41], s[0:1]
	v_add_u32_e32 v4, 0x800, v4
	s_andn2_b64 exec, exec, s[0:1]
	s_cbranch_execnz .LBB7_7
; %bb.8:
	s_or_b64 exec, exec, s[0:1]
	s_waitcnt lgkmcnt(0)
	s_barrier
	s_load_dword s0, s[28:29], 0x0
	s_mov_b32 s1, 0
	s_waitcnt lgkmcnt(0)
	s_add_i32 s0, s0, s2
	s_lshl_b64 s[0:1], s[0:1], 2
	s_add_u32 s0, s30, s0
	s_addc_u32 s1, s31, s1
	s_load_dword s28, s[0:1], 0x0
	s_and_b64 vcc, exec, s[6:7]
	s_cbranch_vccz .LBB7_26
; %bb.9:
	s_waitcnt lgkmcnt(0)
	s_ashr_i32 s29, s28, 31
	s_lshl_b64 s[0:1], s[28:29], 2
	s_add_u32 s0, s8, s0
	s_addc_u32 s1, s9, s1
	s_load_dwordx2 s[2:3], s[0:1], 0x0
	v_lshrrev_b32_e32 v2, 5, v0
	v_subrev_u32_e32 v2, s16, v2
	s_waitcnt lgkmcnt(0)
	s_sub_i32 s29, s3, s16
	v_add_u32_e32 v2, s2, v2
	v_cmp_gt_i32_e32 vcc, s29, v2
	s_and_saveexec_b64 s[0:1], vcc
	s_cbranch_execz .LBB7_25
; %bb.10:
	v_and_b32_e32 v3, 31, v0
	v_subrev_u32_e32 v9, s17, v3
	s_mov_b64 s[2:3], 0
	s_movk_i32 s48, 0x89
	s_branch .LBB7_12
.LBB7_11:                               ;   in Loop: Header=BB7_12 Depth=1
	s_or_b64 exec, exec, s[6:7]
	v_add_u32_e32 v2, 16, v2
	v_cmp_le_i32_e32 vcc, s29, v2
	s_or_b64 s[2:3], vcc, s[2:3]
	s_andn2_b64 exec, exec, s[2:3]
	s_cbranch_execz .LBB7_25
.LBB7_12:                               ; =>This Loop Header: Depth=1
                                        ;     Child Loop BB7_16 Depth 2
                                        ;       Child Loop BB7_19 Depth 3
	v_ashrrev_i32_e32 v3, 31, v2
	v_lshl_add_u64 v[4:5], v[2:3], 2, s[10:11]
	global_load_dword v4, v[4:5], off
	s_waitcnt vmcnt(0)
	v_subrev_u32_e32 v4, s16, v4
	v_ashrrev_i32_e32 v5, 31, v4
	v_lshl_add_u64 v[4:5], v[4:5], 2, s[14:15]
	global_load_dwordx2 v[4:5], v[4:5], off
	s_waitcnt vmcnt(0)
	v_subrev_u32_e32 v10, s17, v5
	v_add_u32_e32 v4, v4, v9
	v_cmp_lt_i32_e32 vcc, v4, v10
	s_and_saveexec_b64 s[6:7], vcc
	s_cbranch_execz .LBB7_11
; %bb.13:                               ;   in Loop: Header=BB7_12 Depth=1
	v_lshl_add_u64 v[12:13], v[2:3], 2, s[12:13]
	global_load_dword v3, v[12:13], off
	s_mov_b64 s[8:9], 0
	s_waitcnt vmcnt(0)
	v_mul_f32_e32 v3, v8, v3
	s_branch .LBB7_16
.LBB7_14:                               ;   in Loop: Header=BB7_16 Depth=2
	s_or_b64 exec, exec, s[40:41]
.LBB7_15:                               ;   in Loop: Header=BB7_16 Depth=2
	s_or_b64 exec, exec, s[30:31]
	s_waitcnt vmcnt(0)
	v_mul_f32_e32 v5, v3, v5
	v_lshl_add_u32 v11, v11, 2, 0
	ds_add_f32 v11, v5 offset:4096
	v_add_u32_e32 v4, 32, v4
	v_cmp_ge_i32_e32 vcc, v4, v10
	s_or_b64 s[8:9], vcc, s[8:9]
	s_andn2_b64 exec, exec, s[8:9]
	s_cbranch_execz .LBB7_11
.LBB7_16:                               ;   Parent Loop BB7_12 Depth=1
                                        ; =>  This Loop Header: Depth=2
                                        ;       Child Loop BB7_19 Depth 3
	v_ashrrev_i32_e32 v5, 31, v4
	v_lshlrev_b64 v[12:13], 2, v[4:5]
	v_lshl_add_u64 v[14:15], s[24:25], 0, v[12:13]
	global_load_dword v11, v[14:15], off
	v_lshl_add_u64 v[12:13], s[26:27], 0, v[12:13]
	global_load_dword v5, v[12:13], off
	s_waitcnt vmcnt(1)
	v_subrev_u32_e32 v12, s17, v11
	v_mul_lo_u32 v11, v12, s48
	v_and_b32_e32 v11, 0x3ff, v11
	v_lshl_add_u32 v13, v11, 2, 0
	ds_read_b32 v14, v13
	s_waitcnt lgkmcnt(0)
	v_cmp_ne_u32_e32 vcc, v14, v12
	s_and_saveexec_b64 s[30:31], vcc
	s_cbranch_execz .LBB7_15
; %bb.17:                               ;   in Loop: Header=BB7_16 Depth=2
	s_mov_b64 s[40:41], 0
	s_branch .LBB7_19
.LBB7_18:                               ;   in Loop: Header=BB7_19 Depth=3
	s_or_b64 exec, exec, s[46:47]
	s_and_b64 s[42:43], exec, s[44:45]
	s_or_b64 s[40:41], s[42:43], s[40:41]
	s_andn2_b64 exec, exec, s[40:41]
	s_cbranch_execz .LBB7_14
.LBB7_19:                               ;   Parent Loop BB7_12 Depth=1
                                        ;     Parent Loop BB7_16 Depth=2
                                        ; =>    This Inner Loop Header: Depth=3
	v_cmp_ne_u32_e32 vcc, s33, v14
	s_mov_b64 s[42:43], 0
	s_and_saveexec_b64 s[44:45], vcc
	s_xor_b64 s[44:45], exec, s[44:45]
	s_cbranch_execz .LBB7_21
; %bb.20:                               ;   in Loop: Header=BB7_19 Depth=3
	v_add_u32_e32 v11, 1, v11
	s_mov_b64 s[42:43], exec
	v_and_b32_e32 v11, 0x3ff, v11
                                        ; implicit-def: $vgpr13
	s_andn2_saveexec_b64 s[44:45], s[44:45]
	s_cbranch_execz .LBB7_23
	s_branch .LBB7_22
.LBB7_21:                               ;   in Loop: Header=BB7_19 Depth=3
	s_andn2_saveexec_b64 s[44:45], s[44:45]
	s_cbranch_execz .LBB7_23
.LBB7_22:                               ;   in Loop: Header=BB7_19 Depth=3
	v_mov_b32_e32 v14, s33
	ds_cmpst_rtn_b32 v13, v13, v14, v12
	s_andn2_b64 s[42:43], s[42:43], exec
	s_waitcnt lgkmcnt(0)
	v_cmp_ne_u32_e32 vcc, s33, v13
	s_and_b64 s[46:47], vcc, exec
	s_or_b64 s[42:43], s[42:43], s[46:47]
.LBB7_23:                               ;   in Loop: Header=BB7_19 Depth=3
	s_or_b64 exec, exec, s[44:45]
	s_mov_b64 s[44:45], -1
                                        ; implicit-def: $vgpr13
                                        ; implicit-def: $vgpr14
	s_and_saveexec_b64 s[46:47], s[42:43]
	s_cbranch_execz .LBB7_18
; %bb.24:                               ;   in Loop: Header=BB7_19 Depth=3
	v_lshl_add_u32 v13, v11, 2, 0
	ds_read_b32 v14, v13
	s_waitcnt lgkmcnt(0)
	v_cmp_eq_u32_e32 vcc, v14, v12
	s_orn2_b64 s[44:45], vcc, exec
	s_branch .LBB7_18
.LBB7_25:
	s_or_b64 exec, exec, s[0:1]
.LBB7_26:
	s_andn2_b64 vcc, exec, s[4:5]
	s_cbranch_vccnz .LBB7_41
; %bb.27:
	s_waitcnt lgkmcnt(0)
	s_ashr_i32 s29, s28, 31
	s_lshl_b64 s[0:1], s[28:29], 2
	s_add_u32 s0, s38, s0
	s_addc_u32 s1, s39, s1
	s_load_dwordx2 s[2:3], s[0:1], 0x0
	v_subrev_u32_e32 v2, s19, v0
	s_waitcnt lgkmcnt(0)
	s_sub_i32 s14, s3, s19
	v_add_u32_e32 v2, s2, v2
	v_cmp_gt_i32_e32 vcc, s14, v2
	s_and_saveexec_b64 s[0:1], vcc
	s_cbranch_execz .LBB7_40
; %bb.28:
	s_mov_b64 s[2:3], 0
	s_movk_i32 s15, 0x89
	s_branch .LBB7_31
.LBB7_29:                               ;   in Loop: Header=BB7_31 Depth=1
	s_or_b64 exec, exec, s[6:7]
.LBB7_30:                               ;   in Loop: Header=BB7_31 Depth=1
	s_or_b64 exec, exec, s[4:5]
	s_waitcnt vmcnt(0)
	v_mul_f32_e32 v3, v7, v3
	v_lshl_add_u32 v4, v4, 2, 0
	ds_add_f32 v4, v3 offset:4096
	v_add_u32_e32 v2, 0x200, v2
	v_cmp_le_i32_e32 vcc, s14, v2
	s_or_b64 s[2:3], vcc, s[2:3]
	s_andn2_b64 exec, exec, s[2:3]
	s_cbranch_execz .LBB7_40
.LBB7_31:                               ; =>This Loop Header: Depth=1
                                        ;     Child Loop BB7_34 Depth 2
	v_ashrrev_i32_e32 v3, 31, v2
	v_lshlrev_b64 v[4:5], 2, v[2:3]
	v_lshl_add_u64 v[8:9], s[20:21], 0, v[4:5]
	global_load_dword v8, v[8:9], off
	v_lshl_add_u64 v[4:5], s[22:23], 0, v[4:5]
	global_load_dword v3, v[4:5], off
	s_waitcnt vmcnt(1)
	v_subrev_u32_e32 v5, s19, v8
	v_mul_lo_u32 v4, v5, s15
	v_and_b32_e32 v4, 0x3ff, v4
	v_lshl_add_u32 v8, v4, 2, 0
	ds_read_b32 v9, v8
	s_waitcnt lgkmcnt(0)
	v_cmp_ne_u32_e32 vcc, v9, v5
	s_and_saveexec_b64 s[4:5], vcc
	s_cbranch_execz .LBB7_30
; %bb.32:                               ;   in Loop: Header=BB7_31 Depth=1
	s_mov_b64 s[6:7], 0
	s_branch .LBB7_34
.LBB7_33:                               ;   in Loop: Header=BB7_34 Depth=2
	s_or_b64 exec, exec, s[12:13]
	s_and_b64 s[8:9], exec, s[10:11]
	s_or_b64 s[6:7], s[8:9], s[6:7]
	s_andn2_b64 exec, exec, s[6:7]
	s_cbranch_execz .LBB7_29
.LBB7_34:                               ;   Parent Loop BB7_31 Depth=1
                                        ; =>  This Inner Loop Header: Depth=2
	v_cmp_ne_u32_e32 vcc, s33, v9
	s_mov_b64 s[8:9], 0
	s_and_saveexec_b64 s[10:11], vcc
	s_xor_b64 s[10:11], exec, s[10:11]
	s_cbranch_execz .LBB7_36
; %bb.35:                               ;   in Loop: Header=BB7_34 Depth=2
	v_add_u32_e32 v4, 1, v4
	s_mov_b64 s[8:9], exec
	v_and_b32_e32 v4, 0x3ff, v4
                                        ; implicit-def: $vgpr8
	s_andn2_saveexec_b64 s[10:11], s[10:11]
	s_cbranch_execz .LBB7_38
	s_branch .LBB7_37
.LBB7_36:                               ;   in Loop: Header=BB7_34 Depth=2
	s_andn2_saveexec_b64 s[10:11], s[10:11]
	s_cbranch_execz .LBB7_38
.LBB7_37:                               ;   in Loop: Header=BB7_34 Depth=2
	v_mov_b32_e32 v9, s33
	ds_cmpst_rtn_b32 v8, v8, v9, v5
	s_andn2_b64 s[8:9], s[8:9], exec
	s_waitcnt lgkmcnt(0)
	v_cmp_ne_u32_e32 vcc, s33, v8
	s_and_b64 s[12:13], vcc, exec
	s_or_b64 s[8:9], s[8:9], s[12:13]
.LBB7_38:                               ;   in Loop: Header=BB7_34 Depth=2
	s_or_b64 exec, exec, s[10:11]
	s_mov_b64 s[10:11], -1
                                        ; implicit-def: $vgpr8
                                        ; implicit-def: $vgpr9
	s_and_saveexec_b64 s[12:13], s[8:9]
	s_cbranch_execz .LBB7_33
; %bb.39:                               ;   in Loop: Header=BB7_34 Depth=2
	v_lshl_add_u32 v8, v4, 2, 0
	ds_read_b32 v9, v8
	s_waitcnt lgkmcnt(0)
	v_cmp_eq_u32_e32 vcc, v9, v5
	s_orn2_b64 s[10:11], vcc, exec
	s_branch .LBB7_33
.LBB7_40:
	s_or_b64 exec, exec, s[0:1]
.LBB7_41:
	v_mbcnt_lo_u32_b32 v2, -1, 0
	v_mbcnt_hi_u32_b32 v2, -1, v2
	v_lshrrev_b32_e32 v4, 4, v0
	v_sub_u32_e32 v2, 63, v2
	v_and_b32_e32 v4, 28, v4
	s_movk_i32 s0, 0x1ff
	s_movk_i32 s4, 0x7f
	;; [unrolled: 1-line block ×7, first 2 shown]
	v_mov_b32_e32 v7, 0
	v_lshrrev_b64 v[2:3], v2, -1
	v_add_u32_e32 v8, 0, v4
	v_cmp_eq_u32_e64 s[0:1], s0, v0
	v_cmp_lt_u32_e64 s[2:3], 63, v0
	v_cmp_lt_u32_e64 s[4:5], s4, v0
	;; [unrolled: 1-line block ×7, first 2 shown]
	s_mov_b64 s[16:17], 0
	v_mov_b32_e32 v9, 0
	s_waitcnt lgkmcnt(0)
	s_barrier
	s_branch .LBB7_43
.LBB7_42:                               ;   in Loop: Header=BB7_43 Depth=1
	s_or_b64 exec, exec, s[20:21]
	s_waitcnt lgkmcnt(0)
	s_barrier
	ds_read_b32 v4, v7 offset:8220
	v_add_co_u32_e32 v1, vcc, 0x200, v1
	s_xor_b64 s[20:21], vcc, -1
	s_and_b64 s[20:21], exec, s[20:21]
	s_waitcnt lgkmcnt(0)
	v_add_u32_e32 v9, v4, v9
	s_or_b64 s[16:17], s[20:21], s[16:17]
	v_add_u32_e32 v6, 0x800, v6
	s_andn2_b64 exec, exec, s[16:17]
	s_cbranch_execz .LBB7_61
.LBB7_43:                               ; =>This Inner Loop Header: Depth=1
	ds_read2st64_b32 v[4:5], v6 offset1:16
	s_waitcnt lgkmcnt(0)
	s_barrier
	v_cmp_gt_i32_e32 vcc, s33, v4
	s_bcnt1_i32_b64 s19, vcc
	s_nop 0
	v_and_b32_e32 v11, vcc_lo, v2
	v_and_b32_e32 v10, vcc_hi, v3
	v_bcnt_u32_b32 v11, v11, 0
	v_bcnt_u32_b32 v10, v10, v11
	v_mov_b32_e32 v11, s19
	ds_write_b32 v8, v11 offset:8192
	s_waitcnt lgkmcnt(0)
	s_barrier
	s_and_saveexec_b64 s[20:21], s[2:3]
	s_cbranch_execz .LBB7_52
; %bb.44:                               ;   in Loop: Header=BB7_43 Depth=1
	ds_read_b32 v11, v7 offset:8192
	s_waitcnt lgkmcnt(0)
	v_add_u32_e32 v10, v11, v10
	s_or_b64 exec, exec, s[20:21]
	s_and_saveexec_b64 s[20:21], s[4:5]
	s_cbranch_execnz .LBB7_53
.LBB7_45:                               ;   in Loop: Header=BB7_43 Depth=1
	s_or_b64 exec, exec, s[20:21]
	s_and_saveexec_b64 s[20:21], s[6:7]
	s_cbranch_execz .LBB7_54
.LBB7_46:                               ;   in Loop: Header=BB7_43 Depth=1
	ds_read_b32 v11, v7 offset:8200
	s_waitcnt lgkmcnt(0)
	v_add_u32_e32 v10, v11, v10
	s_or_b64 exec, exec, s[20:21]
	s_and_saveexec_b64 s[20:21], s[8:9]
	s_cbranch_execnz .LBB7_55
.LBB7_47:                               ;   in Loop: Header=BB7_43 Depth=1
	s_or_b64 exec, exec, s[20:21]
	s_and_saveexec_b64 s[20:21], s[10:11]
	s_cbranch_execz .LBB7_56
.LBB7_48:                               ;   in Loop: Header=BB7_43 Depth=1
	ds_read_b32 v11, v7 offset:8208
	s_waitcnt lgkmcnt(0)
	v_add_u32_e32 v10, v11, v10
	s_or_b64 exec, exec, s[20:21]
	s_and_saveexec_b64 s[20:21], s[12:13]
	s_cbranch_execnz .LBB7_57
.LBB7_49:                               ;   in Loop: Header=BB7_43 Depth=1
	s_or_b64 exec, exec, s[20:21]
	s_and_saveexec_b64 s[20:21], s[14:15]
	s_cbranch_execz .LBB7_58
.LBB7_50:                               ;   in Loop: Header=BB7_43 Depth=1
	ds_read_b32 v11, v7 offset:8216
	s_waitcnt lgkmcnt(0)
	v_add_u32_e32 v10, v11, v10
	s_or_b64 exec, exec, s[20:21]
	s_and_saveexec_b64 s[20:21], vcc
	s_cbranch_execnz .LBB7_59
.LBB7_51:                               ;   in Loop: Header=BB7_43 Depth=1
	s_or_b64 exec, exec, s[20:21]
	s_and_saveexec_b64 s[20:21], s[0:1]
	s_cbranch_execz .LBB7_42
	s_branch .LBB7_60
.LBB7_52:                               ;   in Loop: Header=BB7_43 Depth=1
	s_or_b64 exec, exec, s[20:21]
	s_and_saveexec_b64 s[20:21], s[4:5]
	s_cbranch_execz .LBB7_45
.LBB7_53:                               ;   in Loop: Header=BB7_43 Depth=1
	ds_read_b32 v11, v7 offset:8196
	s_waitcnt lgkmcnt(0)
	v_add_u32_e32 v10, v11, v10
	s_or_b64 exec, exec, s[20:21]
	s_and_saveexec_b64 s[20:21], s[6:7]
	s_cbranch_execnz .LBB7_46
.LBB7_54:                               ;   in Loop: Header=BB7_43 Depth=1
	s_or_b64 exec, exec, s[20:21]
	s_and_saveexec_b64 s[20:21], s[8:9]
	s_cbranch_execz .LBB7_47
.LBB7_55:                               ;   in Loop: Header=BB7_43 Depth=1
	ds_read_b32 v11, v7 offset:8204
	s_waitcnt lgkmcnt(0)
	v_add_u32_e32 v10, v11, v10
	s_or_b64 exec, exec, s[20:21]
	s_and_saveexec_b64 s[20:21], s[10:11]
	s_cbranch_execnz .LBB7_48
.LBB7_56:                               ;   in Loop: Header=BB7_43 Depth=1
	s_or_b64 exec, exec, s[20:21]
	s_and_saveexec_b64 s[20:21], s[12:13]
	s_cbranch_execz .LBB7_49
.LBB7_57:                               ;   in Loop: Header=BB7_43 Depth=1
	ds_read_b32 v11, v7 offset:8212
	s_waitcnt lgkmcnt(0)
	v_add_u32_e32 v10, v11, v10
	s_or_b64 exec, exec, s[20:21]
	s_and_saveexec_b64 s[20:21], s[14:15]
	s_cbranch_execnz .LBB7_50
.LBB7_58:                               ;   in Loop: Header=BB7_43 Depth=1
	s_or_b64 exec, exec, s[20:21]
	s_and_saveexec_b64 s[20:21], vcc
	s_cbranch_execz .LBB7_51
.LBB7_59:                               ;   in Loop: Header=BB7_43 Depth=1
	v_add3_u32 v11, v9, -1, v10
	v_lshl_add_u32 v11, v11, 2, 0
	v_add_u32_e32 v12, v9, v10
	v_lshl_add_u32 v12, v12, 2, 0
	ds_write_b32 v11, v4
	ds_write_b32 v12, v5 offset:4092
	s_or_b64 exec, exec, s[20:21]
	s_and_saveexec_b64 s[20:21], s[0:1]
	s_cbranch_execz .LBB7_42
.LBB7_60:                               ;   in Loop: Header=BB7_43 Depth=1
	ds_write_b32 v7, v10 offset:8220
	s_branch .LBB7_42
.LBB7_61:
	s_or_b64 exec, exec, s[16:17]
	s_ashr_i32 s29, s28, 31
	s_lshl_b64 s[0:1], s[28:29], 2
	s_add_u32 s2, s36, s0
	s_addc_u32 s3, s37, s1
	s_load_dwordx2 s[0:1], s[2:3], 0x0
	s_waitcnt lgkmcnt(0)
	s_sub_i32 s14, s1, s0
	v_cmp_gt_i32_e32 vcc, s14, v0
	s_and_saveexec_b64 s[2:3], vcc
	s_cbranch_execz .LBB7_75
; %bb.62:
	s_sub_i32 s8, s0, s18
	v_sub_co_u32_e64 v1, s[0:1], s14, 2
	s_nop 0
	v_readfirstlane_b32 s2, v1
	s_lshr_b32 s2, s2, 1
	s_add_i32 s2, s2, 1
	s_xor_b64 s[0:1], s[0:1], -1
	s_and_b32 s15, s14, -2
	s_and_b32 s3, s2, 7
	s_and_b32 s16, s2, -8
	s_cmp_lg_u32 s3, 0
	v_cmp_lt_u32_e32 vcc, 13, v1
	s_cselect_b64 s[4:5], -1, 0
	s_cmp_lg_u32 s14, s15
	v_cndmask_b32_e64 v1, 0, 1, vcc
	s_cselect_b64 s[10:11], -1, 0
	s_lshl_b32 s17, s3, 3
	v_cndmask_b32_e64 v2, 0, 1, s[0:1]
	v_cmp_ne_u32_e64 s[2:3], 1, v1
	v_cndmask_b32_e64 v1, 0, 1, s[4:5]
	s_mov_b32 s9, 0
	s_mov_b64 s[12:13], 0
	v_cmp_ne_u32_e64 s[0:1], 1, v2
	v_cmp_ne_u32_e64 s[4:5], 1, v1
	s_branch .LBB7_64
.LBB7_63:                               ;   in Loop: Header=BB7_64 Depth=1
	v_add_u32_e32 v0, 0x200, v0
	v_ashrrev_i32_e32 v5, 31, v4
	v_cmp_le_i32_e32 vcc, s14, v0
	v_lshl_add_u64 v[4:5], v[4:5], 2, s[34:35]
	s_or_b64 s[12:13], vcc, s[12:13]
	s_waitcnt lgkmcnt(0)
	global_store_dword v[4:5], v3, off
	s_andn2_b64 exec, exec, s[12:13]
	s_cbranch_execz .LBB7_75
.LBB7_64:                               ; =>This Loop Header: Depth=1
                                        ;     Child Loop BB7_67 Depth 2
                                        ;     Child Loop BB7_70 Depth 2
	;; [unrolled: 1-line block ×3, first 2 shown]
	v_lshl_add_u32 v1, v0, 2, 0
	ds_read2st64_b32 v[2:3], v1 offset1:16
	s_and_b64 vcc, exec, s[0:1]
	v_mov_b32_e32 v4, s8
	s_mov_b32 s18, 0
	s_mov_b64 s[6:7], -1
	s_cbranch_vccnz .LBB7_72
; %bb.65:                               ;   in Loop: Header=BB7_64 Depth=1
	s_and_b64 vcc, exec, s[2:3]
	v_mov_b64_e32 v[4:5], s[8:9]
	s_cbranch_vccnz .LBB7_68
; %bb.66:                               ;   in Loop: Header=BB7_64 Depth=1
	s_mov_b32 s19, 0
	v_mov_b32_e32 v4, s8
	v_mov_b32_e32 v5, 0
	s_mov_b32 s20, s16
.LBB7_67:                               ;   Parent Loop BB7_64 Depth=1
                                        ; =>  This Inner Loop Header: Depth=2
	v_mov_b32_e32 v1, s19
	ds_read2_b32 v[6:7], v1 offset1:1
	ds_read2_b32 v[8:9], v1 offset0:2 offset1:3
	ds_read2_b32 v[10:11], v1 offset0:4 offset1:5
	;; [unrolled: 1-line block ×7, first 2 shown]
	s_waitcnt lgkmcnt(7)
	v_cmp_gt_i32_e32 vcc, v2, v7
	s_waitcnt lgkmcnt(5)
	v_cmp_gt_i32_e64 s[6:7], v2, v10
	s_add_i32 s18, s18, 16
	v_cndmask_b32_e64 v1, 0, 1, vcc
	v_cmp_gt_i32_e32 vcc, v2, v6
	v_cndmask_b32_e64 v7, 0, 1, s[6:7]
	v_cmp_gt_i32_e64 s[6:7], v2, v11
	v_cndmask_b32_e64 v6, 0, 1, vcc
	v_cmp_gt_i32_e32 vcc, v2, v9
	v_cndmask_b32_e64 v9, 0, 1, s[6:7]
	s_waitcnt lgkmcnt(3)
	v_cmp_gt_i32_e64 s[6:7], v2, v15
	v_addc_co_u32_e32 v1, vcc, v5, v1, vcc
	s_nop 0
	v_cndmask_b32_e64 v10, 0, 1, s[6:7]
	v_cmp_gt_i32_e64 s[6:7], v2, v14
	v_cmp_gt_i32_e32 vcc, v2, v12
	s_add_i32 s19, s19, 64
	v_cndmask_b32_e64 v11, 0, 1, s[6:7]
	s_waitcnt lgkmcnt(1)
	v_cmp_gt_i32_e64 s[6:7], v2, v18
	s_add_i32 s20, s20, -8
	s_cmp_lg_u32 s20, 0
	v_cndmask_b32_e64 v14, 0, 1, s[6:7]
	v_cmp_gt_i32_e64 s[6:7], v2, v19
	s_nop 1
	v_cndmask_b32_e64 v15, 0, 1, s[6:7]
	v_cmp_gt_i32_e64 s[6:7], v2, v8
	s_nop 1
	v_addc_co_u32_e64 v4, s[6:7], v4, v6, s[6:7]
	v_cmp_gt_i32_e64 s[6:7], v2, v13
	v_addc_co_u32_e32 v4, vcc, v4, v7, vcc
	s_nop 0
	v_addc_co_u32_e64 v1, s[6:7], v1, v9, s[6:7]
	v_cmp_gt_i32_e32 vcc, v2, v17
	v_cmp_gt_i32_e64 s[6:7], v2, v16
	s_nop 0
	v_addc_co_u32_e32 v1, vcc, v1, v10, vcc
	v_addc_co_u32_e64 v4, s[6:7], v4, v11, s[6:7]
	s_waitcnt lgkmcnt(0)
	v_cmp_gt_i32_e32 vcc, v2, v20
	v_cmp_gt_i32_e64 s[6:7], v2, v21
	s_nop 0
	v_addc_co_u32_e32 v4, vcc, v4, v14, vcc
	v_addc_co_u32_e64 v5, s[6:7], v1, v15, s[6:7]
	s_cbranch_scc1 .LBB7_67
.LBB7_68:                               ;   in Loop: Header=BB7_64 Depth=1
	s_and_b64 vcc, exec, s[4:5]
	s_cbranch_vccnz .LBB7_71
; %bb.69:                               ;   in Loop: Header=BB7_64 Depth=1
	s_lshl_b32 s6, s18, 2
	s_add_i32 s6, s6, 0
	s_mov_b32 s7, s17
.LBB7_70:                               ;   Parent Loop BB7_64 Depth=1
                                        ; =>  This Inner Loop Header: Depth=2
	v_mov_b32_e32 v1, s6
	ds_read2_b32 v[6:7], v1 offset1:1
	s_add_i32 s6, s6, 8
	s_add_i32 s7, s7, -8
	s_cmp_lg_u32 s7, 0
	s_waitcnt lgkmcnt(0)
	v_cmp_gt_i32_e32 vcc, v2, v7
	s_nop 1
	v_addc_co_u32_e32 v5, vcc, 0, v5, vcc
	v_cmp_gt_i32_e32 vcc, v2, v6
	s_nop 1
	v_addc_co_u32_e32 v4, vcc, 0, v4, vcc
	s_cbranch_scc1 .LBB7_70
.LBB7_71:                               ;   in Loop: Header=BB7_64 Depth=1
	v_add_u32_e32 v4, v4, v5
	s_mov_b32 s18, s15
	s_mov_b64 s[6:7], s[10:11]
.LBB7_72:                               ;   in Loop: Header=BB7_64 Depth=1
	s_and_b64 vcc, exec, s[6:7]
	s_cbranch_vccz .LBB7_63
; %bb.73:                               ;   in Loop: Header=BB7_64 Depth=1
	s_lshl_b32 s6, s18, 2
	s_add_i32 s6, s6, 0
.LBB7_74:                               ;   Parent Loop BB7_64 Depth=1
                                        ; =>  This Inner Loop Header: Depth=2
	v_mov_b32_e32 v1, s6
	ds_read_b32 v1, v1
	s_add_i32 s18, s18, 1
	s_add_i32 s6, s6, 4
	s_cmp_ge_i32 s18, s14
	s_waitcnt lgkmcnt(0)
	v_cmp_gt_i32_e32 vcc, v2, v1
	s_nop 1
	v_addc_co_u32_e32 v4, vcc, 0, v4, vcc
	s_cbranch_scc0 .LBB7_74
	s_branch .LBB7_63
.LBB7_75:
	s_endpgm
	.section	.rodata,"a",@progbits
	.p2align	6, 0x0
	.amdhsa_kernel _ZN9rocsparseL41csrgemm_numeric_fill_block_per_row_kernelILj512ELj32ELj1024ELj137ELj64EiifEEvT5_PKS1_S3_NS_24const_host_device_scalarIT6_EEPKT4_S3_PKS5_S9_S3_SB_S6_S9_S3_SB_S9_S3_PS5_21rocsparse_index_base_SD_SD_SD_bbb
		.amdhsa_group_segment_fixed_size 0
		.amdhsa_private_segment_fixed_size 0
		.amdhsa_kernarg_size 156
		.amdhsa_user_sgpr_count 2
		.amdhsa_user_sgpr_dispatch_ptr 0
		.amdhsa_user_sgpr_queue_ptr 0
		.amdhsa_user_sgpr_kernarg_segment_ptr 1
		.amdhsa_user_sgpr_dispatch_id 0
		.amdhsa_user_sgpr_kernarg_preload_length 0
		.amdhsa_user_sgpr_kernarg_preload_offset 0
		.amdhsa_user_sgpr_private_segment_size 0
		.amdhsa_uses_dynamic_stack 0
		.amdhsa_enable_private_segment 0
		.amdhsa_system_sgpr_workgroup_id_x 1
		.amdhsa_system_sgpr_workgroup_id_y 0
		.amdhsa_system_sgpr_workgroup_id_z 0
		.amdhsa_system_sgpr_workgroup_info 0
		.amdhsa_system_vgpr_workitem_id 0
		.amdhsa_next_free_vgpr 22
		.amdhsa_next_free_sgpr 49
		.amdhsa_accum_offset 24
		.amdhsa_reserve_vcc 1
		.amdhsa_float_round_mode_32 0
		.amdhsa_float_round_mode_16_64 0
		.amdhsa_float_denorm_mode_32 3
		.amdhsa_float_denorm_mode_16_64 3
		.amdhsa_dx10_clamp 1
		.amdhsa_ieee_mode 1
		.amdhsa_fp16_overflow 0
		.amdhsa_tg_split 0
		.amdhsa_exception_fp_ieee_invalid_op 0
		.amdhsa_exception_fp_denorm_src 0
		.amdhsa_exception_fp_ieee_div_zero 0
		.amdhsa_exception_fp_ieee_overflow 0
		.amdhsa_exception_fp_ieee_underflow 0
		.amdhsa_exception_fp_ieee_inexact 0
		.amdhsa_exception_int_div_zero 0
	.end_amdhsa_kernel
	.section	.text._ZN9rocsparseL41csrgemm_numeric_fill_block_per_row_kernelILj512ELj32ELj1024ELj137ELj64EiifEEvT5_PKS1_S3_NS_24const_host_device_scalarIT6_EEPKT4_S3_PKS5_S9_S3_SB_S6_S9_S3_SB_S9_S3_PS5_21rocsparse_index_base_SD_SD_SD_bbb,"axG",@progbits,_ZN9rocsparseL41csrgemm_numeric_fill_block_per_row_kernelILj512ELj32ELj1024ELj137ELj64EiifEEvT5_PKS1_S3_NS_24const_host_device_scalarIT6_EEPKT4_S3_PKS5_S9_S3_SB_S6_S9_S3_SB_S9_S3_PS5_21rocsparse_index_base_SD_SD_SD_bbb,comdat
.Lfunc_end7:
	.size	_ZN9rocsparseL41csrgemm_numeric_fill_block_per_row_kernelILj512ELj32ELj1024ELj137ELj64EiifEEvT5_PKS1_S3_NS_24const_host_device_scalarIT6_EEPKT4_S3_PKS5_S9_S3_SB_S6_S9_S3_SB_S9_S3_PS5_21rocsparse_index_base_SD_SD_SD_bbb, .Lfunc_end7-_ZN9rocsparseL41csrgemm_numeric_fill_block_per_row_kernelILj512ELj32ELj1024ELj137ELj64EiifEEvT5_PKS1_S3_NS_24const_host_device_scalarIT6_EEPKT4_S3_PKS5_S9_S3_SB_S6_S9_S3_SB_S9_S3_PS5_21rocsparse_index_base_SD_SD_SD_bbb
                                        ; -- End function
	.set _ZN9rocsparseL41csrgemm_numeric_fill_block_per_row_kernelILj512ELj32ELj1024ELj137ELj64EiifEEvT5_PKS1_S3_NS_24const_host_device_scalarIT6_EEPKT4_S3_PKS5_S9_S3_SB_S6_S9_S3_SB_S9_S3_PS5_21rocsparse_index_base_SD_SD_SD_bbb.num_vgpr, 22
	.set _ZN9rocsparseL41csrgemm_numeric_fill_block_per_row_kernelILj512ELj32ELj1024ELj137ELj64EiifEEvT5_PKS1_S3_NS_24const_host_device_scalarIT6_EEPKT4_S3_PKS5_S9_S3_SB_S6_S9_S3_SB_S9_S3_PS5_21rocsparse_index_base_SD_SD_SD_bbb.num_agpr, 0
	.set _ZN9rocsparseL41csrgemm_numeric_fill_block_per_row_kernelILj512ELj32ELj1024ELj137ELj64EiifEEvT5_PKS1_S3_NS_24const_host_device_scalarIT6_EEPKT4_S3_PKS5_S9_S3_SB_S6_S9_S3_SB_S9_S3_PS5_21rocsparse_index_base_SD_SD_SD_bbb.numbered_sgpr, 49
	.set _ZN9rocsparseL41csrgemm_numeric_fill_block_per_row_kernelILj512ELj32ELj1024ELj137ELj64EiifEEvT5_PKS1_S3_NS_24const_host_device_scalarIT6_EEPKT4_S3_PKS5_S9_S3_SB_S6_S9_S3_SB_S9_S3_PS5_21rocsparse_index_base_SD_SD_SD_bbb.num_named_barrier, 0
	.set _ZN9rocsparseL41csrgemm_numeric_fill_block_per_row_kernelILj512ELj32ELj1024ELj137ELj64EiifEEvT5_PKS1_S3_NS_24const_host_device_scalarIT6_EEPKT4_S3_PKS5_S9_S3_SB_S6_S9_S3_SB_S9_S3_PS5_21rocsparse_index_base_SD_SD_SD_bbb.private_seg_size, 0
	.set _ZN9rocsparseL41csrgemm_numeric_fill_block_per_row_kernelILj512ELj32ELj1024ELj137ELj64EiifEEvT5_PKS1_S3_NS_24const_host_device_scalarIT6_EEPKT4_S3_PKS5_S9_S3_SB_S6_S9_S3_SB_S9_S3_PS5_21rocsparse_index_base_SD_SD_SD_bbb.uses_vcc, 1
	.set _ZN9rocsparseL41csrgemm_numeric_fill_block_per_row_kernelILj512ELj32ELj1024ELj137ELj64EiifEEvT5_PKS1_S3_NS_24const_host_device_scalarIT6_EEPKT4_S3_PKS5_S9_S3_SB_S6_S9_S3_SB_S9_S3_PS5_21rocsparse_index_base_SD_SD_SD_bbb.uses_flat_scratch, 0
	.set _ZN9rocsparseL41csrgemm_numeric_fill_block_per_row_kernelILj512ELj32ELj1024ELj137ELj64EiifEEvT5_PKS1_S3_NS_24const_host_device_scalarIT6_EEPKT4_S3_PKS5_S9_S3_SB_S6_S9_S3_SB_S9_S3_PS5_21rocsparse_index_base_SD_SD_SD_bbb.has_dyn_sized_stack, 0
	.set _ZN9rocsparseL41csrgemm_numeric_fill_block_per_row_kernelILj512ELj32ELj1024ELj137ELj64EiifEEvT5_PKS1_S3_NS_24const_host_device_scalarIT6_EEPKT4_S3_PKS5_S9_S3_SB_S6_S9_S3_SB_S9_S3_PS5_21rocsparse_index_base_SD_SD_SD_bbb.has_recursion, 0
	.set _ZN9rocsparseL41csrgemm_numeric_fill_block_per_row_kernelILj512ELj32ELj1024ELj137ELj64EiifEEvT5_PKS1_S3_NS_24const_host_device_scalarIT6_EEPKT4_S3_PKS5_S9_S3_SB_S6_S9_S3_SB_S9_S3_PS5_21rocsparse_index_base_SD_SD_SD_bbb.has_indirect_call, 0
	.section	.AMDGPU.csdata,"",@progbits
; Kernel info:
; codeLenInByte = 2748
; TotalNumSgprs: 55
; NumVgprs: 22
; NumAgprs: 0
; TotalNumVgprs: 22
; ScratchSize: 0
; MemoryBound: 0
; FloatMode: 240
; IeeeMode: 1
; LDSByteSize: 0 bytes/workgroup (compile time only)
; SGPRBlocks: 6
; VGPRBlocks: 2
; NumSGPRsForWavesPerEU: 55
; NumVGPRsForWavesPerEU: 22
; AccumOffset: 24
; Occupancy: 8
; WaveLimiterHint : 1
; COMPUTE_PGM_RSRC2:SCRATCH_EN: 0
; COMPUTE_PGM_RSRC2:USER_SGPR: 2
; COMPUTE_PGM_RSRC2:TRAP_HANDLER: 0
; COMPUTE_PGM_RSRC2:TGID_X_EN: 1
; COMPUTE_PGM_RSRC2:TGID_Y_EN: 0
; COMPUTE_PGM_RSRC2:TGID_Z_EN: 0
; COMPUTE_PGM_RSRC2:TIDIG_COMP_CNT: 0
; COMPUTE_PGM_RSRC3_GFX90A:ACCUM_OFFSET: 5
; COMPUTE_PGM_RSRC3_GFX90A:TG_SPLIT: 0
	.section	.text._ZN9rocsparseL41csrgemm_numeric_fill_block_per_row_kernelILj1024ELj32ELj2048ELj137ELj32EiifEEvT5_PKS1_S3_NS_24const_host_device_scalarIT6_EEPKT4_S3_PKS5_S9_S3_SB_S6_S9_S3_SB_S9_S3_PS5_21rocsparse_index_base_SD_SD_SD_bbb,"axG",@progbits,_ZN9rocsparseL41csrgemm_numeric_fill_block_per_row_kernelILj1024ELj32ELj2048ELj137ELj32EiifEEvT5_PKS1_S3_NS_24const_host_device_scalarIT6_EEPKT4_S3_PKS5_S9_S3_SB_S6_S9_S3_SB_S9_S3_PS5_21rocsparse_index_base_SD_SD_SD_bbb,comdat
	.globl	_ZN9rocsparseL41csrgemm_numeric_fill_block_per_row_kernelILj1024ELj32ELj2048ELj137ELj32EiifEEvT5_PKS1_S3_NS_24const_host_device_scalarIT6_EEPKT4_S3_PKS5_S9_S3_SB_S6_S9_S3_SB_S9_S3_PS5_21rocsparse_index_base_SD_SD_SD_bbb ; -- Begin function _ZN9rocsparseL41csrgemm_numeric_fill_block_per_row_kernelILj1024ELj32ELj2048ELj137ELj32EiifEEvT5_PKS1_S3_NS_24const_host_device_scalarIT6_EEPKT4_S3_PKS5_S9_S3_SB_S6_S9_S3_SB_S9_S3_PS5_21rocsparse_index_base_SD_SD_SD_bbb
	.p2align	8
	.type	_ZN9rocsparseL41csrgemm_numeric_fill_block_per_row_kernelILj1024ELj32ELj2048ELj137ELj32EiifEEvT5_PKS1_S3_NS_24const_host_device_scalarIT6_EEPKT4_S3_PKS5_S9_S3_SB_S6_S9_S3_SB_S9_S3_PS5_21rocsparse_index_base_SD_SD_SD_bbb,@function
_ZN9rocsparseL41csrgemm_numeric_fill_block_per_row_kernelILj1024ELj32ELj2048ELj137ELj32EiifEEvT5_PKS1_S3_NS_24const_host_device_scalarIT6_EEPKT4_S3_PKS5_S9_S3_SB_S6_S9_S3_SB_S9_S3_PS5_21rocsparse_index_base_SD_SD_SD_bbb: ; @_ZN9rocsparseL41csrgemm_numeric_fill_block_per_row_kernelILj1024ELj32ELj2048ELj137ELj32EiifEEvT5_PKS1_S3_NS_24const_host_device_scalarIT6_EEPKT4_S3_PKS5_S9_S3_SB_S6_S9_S3_SB_S9_S3_PS5_21rocsparse_index_base_SD_SD_SD_bbb
; %bb.0:
	s_load_dword s3, s[0:1], 0x98
	s_load_dwordx4 s[64:67], s[0:1], 0x88
	s_load_dwordx2 s[4:5], s[0:1], 0x18
	s_load_dwordx2 s[16:17], s[0:1], 0x50
	s_waitcnt lgkmcnt(0)
	s_bitcmp1_b32 s3, 0
	s_cselect_b64 s[6:7], -1, 0
	s_bitcmp1_b32 s3, 16
	s_cselect_b64 s[18:19], -1, 0
	s_xor_b64 s[8:9], s[6:7], -1
	s_or_b64 s[8:9], s[18:19], s[8:9]
	s_and_b64 vcc, exec, s[8:9]
	s_cbranch_vccnz .LBB8_2
; %bb.1:
	s_load_dword s4, s[4:5], 0x0
	s_waitcnt lgkmcnt(0)
	v_mov_b32_e32 v9, s4
	s_branch .LBB8_3
.LBB8_2:
	v_mov_b32_e32 v1, s4
	v_cndmask_b32_e64 v9, 0, v1, s[6:7]
.LBB8_3:
	s_load_dwordx2 s[68:69], s[0:1], 0x80
	s_load_dwordx2 s[70:71], s[0:1], 0x70
	;; [unrolled: 1-line block ×3, first 2 shown]
	s_load_dwordx4 s[24:27], s[0:1], 0x8
	s_load_dwordx8 s[8:15], s[0:1], 0x20
	s_bitcmp1_b32 s3, 8
	s_cselect_b64 s[4:5], -1, 0
	s_xor_b64 s[20:21], s[4:5], -1
	s_or_b64 s[18:19], s[18:19], s[20:21]
	s_and_b64 vcc, exec, s[18:19]
	s_cbranch_vccnz .LBB8_5
; %bb.4:
	s_load_dword s3, s[16:17], 0x0
	s_waitcnt lgkmcnt(0)
	v_mov_b32_e32 v7, s3
	s_branch .LBB8_6
.LBB8_5:
	v_mov_b32_e32 v1, s16
	v_cndmask_b32_e64 v7, 0, v1, s[4:5]
.LBB8_6:
	s_load_dwordx4 s[20:23], s[0:1], 0x40
	s_load_dword s33, s[0:1], 0x0
	s_load_dwordx4 s[16:19], s[0:1], 0x60
	v_or_b32_e32 v1, 0xfffffc00, v0
	v_lshl_add_u32 v6, v0, 2, 0
	s_mov_b64 s[0:1], 0
	s_waitcnt lgkmcnt(0)
	v_mov_b32_e32 v2, s33
	v_mov_b32_e32 v3, 0
	v_mov_b32_e32 v4, v6
	v_mov_b32_e32 v5, v1
.LBB8_7:                                ; =>This Inner Loop Header: Depth=1
	v_add_co_u32_e32 v5, vcc, 0x400, v5
	s_xor_b64 s[30:31], vcc, -1
	s_and_b64 s[30:31], exec, s[30:31]
	ds_write2st64_b32 v4, v2, v3 offset1:32
	s_or_b64 s[0:1], s[30:31], s[0:1]
	v_add_u32_e32 v4, 0x1000, v4
	s_andn2_b64 exec, exec, s[0:1]
	s_cbranch_execnz .LBB8_7
; %bb.8:
	s_or_b64 exec, exec, s[0:1]
	s_waitcnt lgkmcnt(0)
	s_barrier
	s_load_dword s0, s[24:25], 0x0
	s_mov_b32 s1, 0
	v_lshrrev_b32_e32 v8, 5, v0
	s_waitcnt lgkmcnt(0)
	s_add_i32 s0, s0, s2
	s_lshl_b64 s[0:1], s[0:1], 2
	s_add_u32 s0, s26, s0
	s_addc_u32 s1, s27, s1
	s_load_dword s72, s[0:1], 0x0
	s_and_b64 vcc, exec, s[6:7]
	s_cbranch_vccz .LBB8_26
; %bb.9:
	s_waitcnt lgkmcnt(0)
	s_ashr_i32 s73, s72, 31
	s_lshl_b64 s[0:1], s[72:73], 2
	s_add_u32 s0, s8, s0
	s_addc_u32 s1, s9, s1
	s_load_dwordx2 s[2:3], s[0:1], 0x0
	v_subrev_u32_e32 v2, s64, v8
	s_waitcnt lgkmcnt(0)
	s_sub_i32 s38, s3, s64
	v_add_u32_e32 v2, s2, v2
	v_cmp_gt_i32_e32 vcc, s38, v2
	s_and_saveexec_b64 s[0:1], vcc
	s_cbranch_execz .LBB8_25
; %bb.10:
	v_and_b32_e32 v3, 31, v0
	v_subrev_u32_e32 v10, s65, v3
	s_mov_b64 s[2:3], 0
	s_movk_i32 s39, 0x89
	s_branch .LBB8_12
.LBB8_11:                               ;   in Loop: Header=BB8_12 Depth=1
	s_or_b64 exec, exec, s[6:7]
	v_add_u32_e32 v2, 32, v2
	v_cmp_le_i32_e32 vcc, s38, v2
	s_or_b64 s[2:3], vcc, s[2:3]
	s_andn2_b64 exec, exec, s[2:3]
	s_cbranch_execz .LBB8_25
.LBB8_12:                               ; =>This Loop Header: Depth=1
                                        ;     Child Loop BB8_16 Depth 2
                                        ;       Child Loop BB8_19 Depth 3
	v_ashrrev_i32_e32 v3, 31, v2
	v_lshl_add_u64 v[4:5], v[2:3], 2, s[10:11]
	global_load_dword v4, v[4:5], off
	s_waitcnt vmcnt(0)
	v_subrev_u32_e32 v4, s64, v4
	v_ashrrev_i32_e32 v5, 31, v4
	v_lshl_add_u64 v[4:5], v[4:5], 2, s[14:15]
	global_load_dwordx2 v[4:5], v[4:5], off
	s_waitcnt vmcnt(0)
	v_subrev_u32_e32 v11, s65, v5
	v_add_u32_e32 v4, v4, v10
	v_cmp_lt_i32_e32 vcc, v4, v11
	s_and_saveexec_b64 s[6:7], vcc
	s_cbranch_execz .LBB8_11
; %bb.13:                               ;   in Loop: Header=BB8_12 Depth=1
	v_lshl_add_u64 v[12:13], v[2:3], 2, s[12:13]
	global_load_dword v3, v[12:13], off
	s_mov_b64 s[8:9], 0
	s_waitcnt vmcnt(0)
	v_mul_f32_e32 v3, v9, v3
	s_branch .LBB8_16
.LBB8_14:                               ;   in Loop: Header=BB8_16 Depth=2
	s_or_b64 exec, exec, s[26:27]
.LBB8_15:                               ;   in Loop: Header=BB8_16 Depth=2
	s_or_b64 exec, exec, s[24:25]
	s_waitcnt vmcnt(0)
	v_mul_f32_e32 v5, v3, v5
	v_lshl_add_u32 v12, v12, 2, 0
	ds_add_f32 v12, v5 offset:8192
	v_add_u32_e32 v4, 32, v4
	v_cmp_ge_i32_e32 vcc, v4, v11
	s_or_b64 s[8:9], vcc, s[8:9]
	s_andn2_b64 exec, exec, s[8:9]
	s_cbranch_execz .LBB8_11
.LBB8_16:                               ;   Parent Loop BB8_12 Depth=1
                                        ; =>  This Loop Header: Depth=2
                                        ;       Child Loop BB8_19 Depth 3
	v_ashrrev_i32_e32 v5, 31, v4
	v_lshlrev_b64 v[12:13], 2, v[4:5]
	v_lshl_add_u64 v[14:15], s[20:21], 0, v[12:13]
	global_load_dword v14, v[14:15], off
	v_lshl_add_u64 v[12:13], s[22:23], 0, v[12:13]
	global_load_dword v5, v[12:13], off
	s_waitcnt vmcnt(1)
	v_subrev_u32_e32 v13, s65, v14
	v_mul_lo_u32 v12, v13, s39
	v_and_b32_e32 v12, 0x7ff, v12
	v_lshl_add_u32 v14, v12, 2, 0
	ds_read_b32 v15, v14
	s_waitcnt lgkmcnt(0)
	v_cmp_ne_u32_e32 vcc, v15, v13
	s_and_saveexec_b64 s[24:25], vcc
	s_cbranch_execz .LBB8_15
; %bb.17:                               ;   in Loop: Header=BB8_16 Depth=2
	s_mov_b64 s[26:27], 0
	s_branch .LBB8_19
.LBB8_18:                               ;   in Loop: Header=BB8_19 Depth=3
	s_or_b64 exec, exec, s[36:37]
	s_and_b64 s[30:31], exec, s[34:35]
	s_or_b64 s[26:27], s[30:31], s[26:27]
	s_andn2_b64 exec, exec, s[26:27]
	s_cbranch_execz .LBB8_14
.LBB8_19:                               ;   Parent Loop BB8_12 Depth=1
                                        ;     Parent Loop BB8_16 Depth=2
                                        ; =>    This Inner Loop Header: Depth=3
	v_cmp_ne_u32_e32 vcc, s33, v15
	s_mov_b64 s[30:31], 0
	s_and_saveexec_b64 s[34:35], vcc
	s_xor_b64 s[34:35], exec, s[34:35]
	s_cbranch_execz .LBB8_21
; %bb.20:                               ;   in Loop: Header=BB8_19 Depth=3
	v_add_u32_e32 v12, 1, v12
	s_mov_b64 s[30:31], exec
	v_and_b32_e32 v12, 0x7ff, v12
                                        ; implicit-def: $vgpr14
	s_andn2_saveexec_b64 s[34:35], s[34:35]
	s_cbranch_execz .LBB8_23
	s_branch .LBB8_22
.LBB8_21:                               ;   in Loop: Header=BB8_19 Depth=3
	s_andn2_saveexec_b64 s[34:35], s[34:35]
	s_cbranch_execz .LBB8_23
.LBB8_22:                               ;   in Loop: Header=BB8_19 Depth=3
	v_mov_b32_e32 v15, s33
	ds_cmpst_rtn_b32 v14, v14, v15, v13
	s_andn2_b64 s[30:31], s[30:31], exec
	s_waitcnt lgkmcnt(0)
	v_cmp_ne_u32_e32 vcc, s33, v14
	s_and_b64 s[36:37], vcc, exec
	s_or_b64 s[30:31], s[30:31], s[36:37]
.LBB8_23:                               ;   in Loop: Header=BB8_19 Depth=3
	s_or_b64 exec, exec, s[34:35]
	s_mov_b64 s[34:35], -1
                                        ; implicit-def: $vgpr14
                                        ; implicit-def: $vgpr15
	s_and_saveexec_b64 s[36:37], s[30:31]
	s_cbranch_execz .LBB8_18
; %bb.24:                               ;   in Loop: Header=BB8_19 Depth=3
	v_lshl_add_u32 v14, v12, 2, 0
	ds_read_b32 v15, v14
	s_waitcnt lgkmcnt(0)
	v_cmp_eq_u32_e32 vcc, v15, v13
	s_orn2_b64 s[34:35], vcc, exec
	s_branch .LBB8_18
.LBB8_25:
	s_or_b64 exec, exec, s[0:1]
.LBB8_26:
	s_andn2_b64 vcc, exec, s[4:5]
	s_cbranch_vccnz .LBB8_41
; %bb.27:
	s_waitcnt lgkmcnt(0)
	s_ashr_i32 s73, s72, 31
	s_lshl_b64 s[0:1], s[72:73], 2
	s_add_u32 s0, s28, s0
	s_addc_u32 s1, s29, s1
	s_load_dwordx2 s[2:3], s[0:1], 0x0
	v_subrev_u32_e32 v2, s67, v0
	s_waitcnt lgkmcnt(0)
	s_sub_i32 s14, s3, s67
	v_add_u32_e32 v2, s2, v2
	v_cmp_gt_i32_e32 vcc, s14, v2
	s_and_saveexec_b64 s[0:1], vcc
	s_cbranch_execz .LBB8_40
; %bb.28:
	s_mov_b64 s[2:3], 0
	s_movk_i32 s15, 0x89
	s_branch .LBB8_31
.LBB8_29:                               ;   in Loop: Header=BB8_31 Depth=1
	s_or_b64 exec, exec, s[6:7]
.LBB8_30:                               ;   in Loop: Header=BB8_31 Depth=1
	s_or_b64 exec, exec, s[4:5]
	s_waitcnt vmcnt(0)
	v_mul_f32_e32 v3, v7, v3
	v_lshl_add_u32 v4, v4, 2, 0
	ds_add_f32 v4, v3 offset:8192
	v_add_u32_e32 v2, 0x400, v2
	v_cmp_le_i32_e32 vcc, s14, v2
	s_or_b64 s[2:3], vcc, s[2:3]
	s_andn2_b64 exec, exec, s[2:3]
	s_cbranch_execz .LBB8_40
.LBB8_31:                               ; =>This Loop Header: Depth=1
                                        ;     Child Loop BB8_34 Depth 2
	v_ashrrev_i32_e32 v3, 31, v2
	v_lshlrev_b64 v[4:5], 2, v[2:3]
	v_lshl_add_u64 v[10:11], s[16:17], 0, v[4:5]
	global_load_dword v9, v[10:11], off
	v_lshl_add_u64 v[4:5], s[18:19], 0, v[4:5]
	global_load_dword v3, v[4:5], off
	s_waitcnt vmcnt(1)
	v_subrev_u32_e32 v5, s67, v9
	v_mul_lo_u32 v4, v5, s15
	v_and_b32_e32 v4, 0x7ff, v4
	v_lshl_add_u32 v9, v4, 2, 0
	ds_read_b32 v10, v9
	s_waitcnt lgkmcnt(0)
	v_cmp_ne_u32_e32 vcc, v10, v5
	s_and_saveexec_b64 s[4:5], vcc
	s_cbranch_execz .LBB8_30
; %bb.32:                               ;   in Loop: Header=BB8_31 Depth=1
	s_mov_b64 s[6:7], 0
	s_branch .LBB8_34
.LBB8_33:                               ;   in Loop: Header=BB8_34 Depth=2
	s_or_b64 exec, exec, s[12:13]
	s_and_b64 s[8:9], exec, s[10:11]
	s_or_b64 s[6:7], s[8:9], s[6:7]
	s_andn2_b64 exec, exec, s[6:7]
	s_cbranch_execz .LBB8_29
.LBB8_34:                               ;   Parent Loop BB8_31 Depth=1
                                        ; =>  This Inner Loop Header: Depth=2
	v_cmp_ne_u32_e32 vcc, s33, v10
	s_mov_b64 s[8:9], 0
	s_and_saveexec_b64 s[10:11], vcc
	s_xor_b64 s[10:11], exec, s[10:11]
	s_cbranch_execz .LBB8_36
; %bb.35:                               ;   in Loop: Header=BB8_34 Depth=2
	v_add_u32_e32 v4, 1, v4
	s_mov_b64 s[8:9], exec
	v_and_b32_e32 v4, 0x7ff, v4
                                        ; implicit-def: $vgpr9
	s_andn2_saveexec_b64 s[10:11], s[10:11]
	s_cbranch_execz .LBB8_38
	s_branch .LBB8_37
.LBB8_36:                               ;   in Loop: Header=BB8_34 Depth=2
	s_andn2_saveexec_b64 s[10:11], s[10:11]
	s_cbranch_execz .LBB8_38
.LBB8_37:                               ;   in Loop: Header=BB8_34 Depth=2
	v_mov_b32_e32 v10, s33
	ds_cmpst_rtn_b32 v9, v9, v10, v5
	s_andn2_b64 s[8:9], s[8:9], exec
	s_waitcnt lgkmcnt(0)
	v_cmp_ne_u32_e32 vcc, s33, v9
	s_and_b64 s[12:13], vcc, exec
	s_or_b64 s[8:9], s[8:9], s[12:13]
.LBB8_38:                               ;   in Loop: Header=BB8_34 Depth=2
	s_or_b64 exec, exec, s[10:11]
	s_mov_b64 s[10:11], -1
                                        ; implicit-def: $vgpr9
                                        ; implicit-def: $vgpr10
	s_and_saveexec_b64 s[12:13], s[8:9]
	s_cbranch_execz .LBB8_33
; %bb.39:                               ;   in Loop: Header=BB8_34 Depth=2
	v_lshl_add_u32 v9, v4, 2, 0
	ds_read_b32 v10, v9
	s_waitcnt lgkmcnt(0)
	v_cmp_eq_u32_e32 vcc, v10, v5
	s_orn2_b64 s[10:11], vcc, exec
	s_branch .LBB8_33
.LBB8_40:
	s_or_b64 exec, exec, s[0:1]
.LBB8_41:
	v_mbcnt_lo_u32_b32 v2, -1, 0
	v_mbcnt_hi_u32_b32 v2, -1, v2
	v_sub_u32_e32 v2, 63, v2
	s_movk_i32 s0, 0x3ff
	s_movk_i32 s6, 0x5f
	;; [unrolled: 1-line block ×30, first 2 shown]
	v_mov_b32_e32 v7, 0
	v_lshrrev_b64 v[2:3], v2, -1
	v_lshl_add_u32 v8, v8, 2, 0
	v_cmp_eq_u32_e64 s[0:1], s0, v0
	v_cmp_lt_u32_e64 s[2:3], 31, v0
	v_cmp_lt_u32_e64 s[4:5], 63, v0
	;; [unrolled: 1-line block ×31, first 2 shown]
	s_mov_b64 s[74:75], 0
	v_mov_b32_e32 v9, 0
	s_waitcnt lgkmcnt(0)
	s_barrier
	s_branch .LBB8_43
.LBB8_42:                               ;   in Loop: Header=BB8_43 Depth=1
	s_or_b64 exec, exec, s[76:77]
	s_waitcnt lgkmcnt(0)
	s_barrier
	ds_read_b32 v4, v7 offset:16508
	v_add_co_u32_e32 v1, vcc, 0x400, v1
	s_xor_b64 s[76:77], vcc, -1
	s_and_b64 s[76:77], exec, s[76:77]
	s_waitcnt lgkmcnt(0)
	v_add_u32_e32 v9, v4, v9
	s_or_b64 s[74:75], s[76:77], s[74:75]
	v_add_u32_e32 v6, 0x1000, v6
	s_andn2_b64 exec, exec, s[74:75]
	s_cbranch_execz .LBB8_109
.LBB8_43:                               ; =>This Inner Loop Header: Depth=1
	ds_read2st64_b32 v[4:5], v6 offset1:32
	s_waitcnt lgkmcnt(0)
	s_barrier
	v_cmp_gt_i32_e32 vcc, s33, v4
	s_bcnt1_i32_b64 s67, vcc
	s_nop 0
	v_and_b32_e32 v11, vcc_lo, v2
	v_and_b32_e32 v10, vcc_hi, v3
	v_bcnt_u32_b32 v11, v11, 0
	v_bcnt_u32_b32 v10, v10, v11
	v_mov_b32_e32 v11, s67
	ds_write_b32 v8, v11 offset:16384
	s_waitcnt lgkmcnt(0)
	s_barrier
	s_and_saveexec_b64 s[76:77], s[2:3]
	s_cbranch_execz .LBB8_76
; %bb.44:                               ;   in Loop: Header=BB8_43 Depth=1
	ds_read_b32 v11, v7 offset:16384
	s_waitcnt lgkmcnt(0)
	v_add_u32_e32 v10, v11, v10
	s_or_b64 exec, exec, s[76:77]
	s_and_saveexec_b64 s[76:77], s[4:5]
	s_cbranch_execnz .LBB8_77
.LBB8_45:                               ;   in Loop: Header=BB8_43 Depth=1
	s_or_b64 exec, exec, s[76:77]
	s_and_saveexec_b64 s[76:77], s[6:7]
	s_cbranch_execz .LBB8_78
.LBB8_46:                               ;   in Loop: Header=BB8_43 Depth=1
	ds_read_b32 v11, v7 offset:16392
	s_waitcnt lgkmcnt(0)
	v_add_u32_e32 v10, v11, v10
	s_or_b64 exec, exec, s[76:77]
	s_and_saveexec_b64 s[76:77], s[8:9]
	s_cbranch_execnz .LBB8_79
.LBB8_47:                               ;   in Loop: Header=BB8_43 Depth=1
	s_or_b64 exec, exec, s[76:77]
	s_and_saveexec_b64 s[76:77], s[10:11]
	s_cbranch_execz .LBB8_80
.LBB8_48:                               ;   in Loop: Header=BB8_43 Depth=1
	ds_read_b32 v11, v7 offset:16400
	s_waitcnt lgkmcnt(0)
	v_add_u32_e32 v10, v11, v10
	s_or_b64 exec, exec, s[76:77]
	s_and_saveexec_b64 s[76:77], s[12:13]
	s_cbranch_execnz .LBB8_81
.LBB8_49:                               ;   in Loop: Header=BB8_43 Depth=1
	s_or_b64 exec, exec, s[76:77]
	s_and_saveexec_b64 s[76:77], s[14:15]
	s_cbranch_execz .LBB8_82
.LBB8_50:                               ;   in Loop: Header=BB8_43 Depth=1
	ds_read_b32 v11, v7 offset:16408
	s_waitcnt lgkmcnt(0)
	v_add_u32_e32 v10, v11, v10
	s_or_b64 exec, exec, s[76:77]
	s_and_saveexec_b64 s[76:77], s[16:17]
	s_cbranch_execnz .LBB8_83
.LBB8_51:                               ;   in Loop: Header=BB8_43 Depth=1
	s_or_b64 exec, exec, s[76:77]
	s_and_saveexec_b64 s[76:77], s[18:19]
	s_cbranch_execz .LBB8_84
.LBB8_52:                               ;   in Loop: Header=BB8_43 Depth=1
	ds_read_b32 v11, v7 offset:16416
	s_waitcnt lgkmcnt(0)
	v_add_u32_e32 v10, v11, v10
	s_or_b64 exec, exec, s[76:77]
	s_and_saveexec_b64 s[76:77], s[20:21]
	s_cbranch_execnz .LBB8_85
.LBB8_53:                               ;   in Loop: Header=BB8_43 Depth=1
	s_or_b64 exec, exec, s[76:77]
	s_and_saveexec_b64 s[76:77], s[22:23]
	s_cbranch_execz .LBB8_86
.LBB8_54:                               ;   in Loop: Header=BB8_43 Depth=1
	ds_read_b32 v11, v7 offset:16424
	s_waitcnt lgkmcnt(0)
	v_add_u32_e32 v10, v11, v10
	s_or_b64 exec, exec, s[76:77]
	s_and_saveexec_b64 s[76:77], s[24:25]
	s_cbranch_execnz .LBB8_87
.LBB8_55:                               ;   in Loop: Header=BB8_43 Depth=1
	s_or_b64 exec, exec, s[76:77]
	s_and_saveexec_b64 s[76:77], s[26:27]
	s_cbranch_execz .LBB8_88
.LBB8_56:                               ;   in Loop: Header=BB8_43 Depth=1
	ds_read_b32 v11, v7 offset:16432
	s_waitcnt lgkmcnt(0)
	v_add_u32_e32 v10, v11, v10
	s_or_b64 exec, exec, s[76:77]
	s_and_saveexec_b64 s[76:77], s[28:29]
	s_cbranch_execnz .LBB8_89
.LBB8_57:                               ;   in Loop: Header=BB8_43 Depth=1
	s_or_b64 exec, exec, s[76:77]
	s_and_saveexec_b64 s[76:77], s[30:31]
	s_cbranch_execz .LBB8_90
.LBB8_58:                               ;   in Loop: Header=BB8_43 Depth=1
	ds_read_b32 v11, v7 offset:16440
	s_waitcnt lgkmcnt(0)
	v_add_u32_e32 v10, v11, v10
	s_or_b64 exec, exec, s[76:77]
	s_and_saveexec_b64 s[76:77], s[34:35]
	s_cbranch_execnz .LBB8_91
.LBB8_59:                               ;   in Loop: Header=BB8_43 Depth=1
	s_or_b64 exec, exec, s[76:77]
	s_and_saveexec_b64 s[76:77], s[36:37]
	s_cbranch_execz .LBB8_92
.LBB8_60:                               ;   in Loop: Header=BB8_43 Depth=1
	ds_read_b32 v11, v7 offset:16448
	s_waitcnt lgkmcnt(0)
	v_add_u32_e32 v10, v11, v10
	s_or_b64 exec, exec, s[76:77]
	s_and_saveexec_b64 s[76:77], s[38:39]
	s_cbranch_execnz .LBB8_93
.LBB8_61:                               ;   in Loop: Header=BB8_43 Depth=1
	s_or_b64 exec, exec, s[76:77]
	s_and_saveexec_b64 s[76:77], s[40:41]
	s_cbranch_execz .LBB8_94
.LBB8_62:                               ;   in Loop: Header=BB8_43 Depth=1
	ds_read_b32 v11, v7 offset:16456
	s_waitcnt lgkmcnt(0)
	v_add_u32_e32 v10, v11, v10
	s_or_b64 exec, exec, s[76:77]
	s_and_saveexec_b64 s[76:77], s[42:43]
	s_cbranch_execnz .LBB8_95
.LBB8_63:                               ;   in Loop: Header=BB8_43 Depth=1
	s_or_b64 exec, exec, s[76:77]
	s_and_saveexec_b64 s[76:77], s[44:45]
	s_cbranch_execz .LBB8_96
.LBB8_64:                               ;   in Loop: Header=BB8_43 Depth=1
	ds_read_b32 v11, v7 offset:16464
	s_waitcnt lgkmcnt(0)
	v_add_u32_e32 v10, v11, v10
	s_or_b64 exec, exec, s[76:77]
	s_and_saveexec_b64 s[76:77], s[46:47]
	s_cbranch_execnz .LBB8_97
.LBB8_65:                               ;   in Loop: Header=BB8_43 Depth=1
	s_or_b64 exec, exec, s[76:77]
	s_and_saveexec_b64 s[76:77], s[48:49]
	s_cbranch_execz .LBB8_98
.LBB8_66:                               ;   in Loop: Header=BB8_43 Depth=1
	ds_read_b32 v11, v7 offset:16472
	s_waitcnt lgkmcnt(0)
	v_add_u32_e32 v10, v11, v10
	s_or_b64 exec, exec, s[76:77]
	s_and_saveexec_b64 s[76:77], s[50:51]
	s_cbranch_execnz .LBB8_99
.LBB8_67:                               ;   in Loop: Header=BB8_43 Depth=1
	s_or_b64 exec, exec, s[76:77]
	s_and_saveexec_b64 s[76:77], s[52:53]
	s_cbranch_execz .LBB8_100
.LBB8_68:                               ;   in Loop: Header=BB8_43 Depth=1
	ds_read_b32 v11, v7 offset:16480
	s_waitcnt lgkmcnt(0)
	v_add_u32_e32 v10, v11, v10
	s_or_b64 exec, exec, s[76:77]
	s_and_saveexec_b64 s[76:77], s[54:55]
	s_cbranch_execnz .LBB8_101
.LBB8_69:                               ;   in Loop: Header=BB8_43 Depth=1
	s_or_b64 exec, exec, s[76:77]
	s_and_saveexec_b64 s[76:77], s[56:57]
	s_cbranch_execz .LBB8_102
.LBB8_70:                               ;   in Loop: Header=BB8_43 Depth=1
	ds_read_b32 v11, v7 offset:16488
	s_waitcnt lgkmcnt(0)
	v_add_u32_e32 v10, v11, v10
	s_or_b64 exec, exec, s[76:77]
	s_and_saveexec_b64 s[76:77], s[58:59]
	s_cbranch_execnz .LBB8_103
.LBB8_71:                               ;   in Loop: Header=BB8_43 Depth=1
	s_or_b64 exec, exec, s[76:77]
	s_and_saveexec_b64 s[76:77], s[60:61]
	s_cbranch_execz .LBB8_104
.LBB8_72:                               ;   in Loop: Header=BB8_43 Depth=1
	ds_read_b32 v11, v7 offset:16496
	s_waitcnt lgkmcnt(0)
	v_add_u32_e32 v10, v11, v10
	s_or_b64 exec, exec, s[76:77]
	s_and_saveexec_b64 s[76:77], s[62:63]
	s_cbranch_execnz .LBB8_105
.LBB8_73:                               ;   in Loop: Header=BB8_43 Depth=1
	s_or_b64 exec, exec, s[76:77]
	s_and_saveexec_b64 s[76:77], s[64:65]
	s_cbranch_execz .LBB8_106
.LBB8_74:                               ;   in Loop: Header=BB8_43 Depth=1
	ds_read_b32 v11, v7 offset:16504
	s_waitcnt lgkmcnt(0)
	v_add_u32_e32 v10, v11, v10
	s_or_b64 exec, exec, s[76:77]
	s_and_saveexec_b64 s[76:77], vcc
	s_cbranch_execnz .LBB8_107
.LBB8_75:                               ;   in Loop: Header=BB8_43 Depth=1
	s_or_b64 exec, exec, s[76:77]
	s_and_saveexec_b64 s[76:77], s[0:1]
	s_cbranch_execz .LBB8_42
	s_branch .LBB8_108
.LBB8_76:                               ;   in Loop: Header=BB8_43 Depth=1
	s_or_b64 exec, exec, s[76:77]
	s_and_saveexec_b64 s[76:77], s[4:5]
	s_cbranch_execz .LBB8_45
.LBB8_77:                               ;   in Loop: Header=BB8_43 Depth=1
	ds_read_b32 v11, v7 offset:16388
	s_waitcnt lgkmcnt(0)
	v_add_u32_e32 v10, v11, v10
	s_or_b64 exec, exec, s[76:77]
	s_and_saveexec_b64 s[76:77], s[6:7]
	s_cbranch_execnz .LBB8_46
.LBB8_78:                               ;   in Loop: Header=BB8_43 Depth=1
	s_or_b64 exec, exec, s[76:77]
	s_and_saveexec_b64 s[76:77], s[8:9]
	s_cbranch_execz .LBB8_47
.LBB8_79:                               ;   in Loop: Header=BB8_43 Depth=1
	ds_read_b32 v11, v7 offset:16396
	s_waitcnt lgkmcnt(0)
	v_add_u32_e32 v10, v11, v10
	s_or_b64 exec, exec, s[76:77]
	s_and_saveexec_b64 s[76:77], s[10:11]
	s_cbranch_execnz .LBB8_48
.LBB8_80:                               ;   in Loop: Header=BB8_43 Depth=1
	s_or_b64 exec, exec, s[76:77]
	s_and_saveexec_b64 s[76:77], s[12:13]
	s_cbranch_execz .LBB8_49
.LBB8_81:                               ;   in Loop: Header=BB8_43 Depth=1
	ds_read_b32 v11, v7 offset:16404
	s_waitcnt lgkmcnt(0)
	v_add_u32_e32 v10, v11, v10
	s_or_b64 exec, exec, s[76:77]
	s_and_saveexec_b64 s[76:77], s[14:15]
	s_cbranch_execnz .LBB8_50
.LBB8_82:                               ;   in Loop: Header=BB8_43 Depth=1
	s_or_b64 exec, exec, s[76:77]
	s_and_saveexec_b64 s[76:77], s[16:17]
	s_cbranch_execz .LBB8_51
.LBB8_83:                               ;   in Loop: Header=BB8_43 Depth=1
	ds_read_b32 v11, v7 offset:16412
	s_waitcnt lgkmcnt(0)
	v_add_u32_e32 v10, v11, v10
	s_or_b64 exec, exec, s[76:77]
	s_and_saveexec_b64 s[76:77], s[18:19]
	s_cbranch_execnz .LBB8_52
.LBB8_84:                               ;   in Loop: Header=BB8_43 Depth=1
	s_or_b64 exec, exec, s[76:77]
	s_and_saveexec_b64 s[76:77], s[20:21]
	s_cbranch_execz .LBB8_53
.LBB8_85:                               ;   in Loop: Header=BB8_43 Depth=1
	ds_read_b32 v11, v7 offset:16420
	s_waitcnt lgkmcnt(0)
	v_add_u32_e32 v10, v11, v10
	s_or_b64 exec, exec, s[76:77]
	s_and_saveexec_b64 s[76:77], s[22:23]
	s_cbranch_execnz .LBB8_54
.LBB8_86:                               ;   in Loop: Header=BB8_43 Depth=1
	s_or_b64 exec, exec, s[76:77]
	s_and_saveexec_b64 s[76:77], s[24:25]
	s_cbranch_execz .LBB8_55
.LBB8_87:                               ;   in Loop: Header=BB8_43 Depth=1
	ds_read_b32 v11, v7 offset:16428
	s_waitcnt lgkmcnt(0)
	v_add_u32_e32 v10, v11, v10
	s_or_b64 exec, exec, s[76:77]
	s_and_saveexec_b64 s[76:77], s[26:27]
	s_cbranch_execnz .LBB8_56
.LBB8_88:                               ;   in Loop: Header=BB8_43 Depth=1
	s_or_b64 exec, exec, s[76:77]
	s_and_saveexec_b64 s[76:77], s[28:29]
	s_cbranch_execz .LBB8_57
.LBB8_89:                               ;   in Loop: Header=BB8_43 Depth=1
	ds_read_b32 v11, v7 offset:16436
	s_waitcnt lgkmcnt(0)
	v_add_u32_e32 v10, v11, v10
	s_or_b64 exec, exec, s[76:77]
	s_and_saveexec_b64 s[76:77], s[30:31]
	s_cbranch_execnz .LBB8_58
.LBB8_90:                               ;   in Loop: Header=BB8_43 Depth=1
	s_or_b64 exec, exec, s[76:77]
	s_and_saveexec_b64 s[76:77], s[34:35]
	s_cbranch_execz .LBB8_59
.LBB8_91:                               ;   in Loop: Header=BB8_43 Depth=1
	ds_read_b32 v11, v7 offset:16444
	s_waitcnt lgkmcnt(0)
	v_add_u32_e32 v10, v11, v10
	s_or_b64 exec, exec, s[76:77]
	s_and_saveexec_b64 s[76:77], s[36:37]
	s_cbranch_execnz .LBB8_60
.LBB8_92:                               ;   in Loop: Header=BB8_43 Depth=1
	s_or_b64 exec, exec, s[76:77]
	s_and_saveexec_b64 s[76:77], s[38:39]
	s_cbranch_execz .LBB8_61
.LBB8_93:                               ;   in Loop: Header=BB8_43 Depth=1
	ds_read_b32 v11, v7 offset:16452
	s_waitcnt lgkmcnt(0)
	v_add_u32_e32 v10, v11, v10
	s_or_b64 exec, exec, s[76:77]
	s_and_saveexec_b64 s[76:77], s[40:41]
	s_cbranch_execnz .LBB8_62
.LBB8_94:                               ;   in Loop: Header=BB8_43 Depth=1
	s_or_b64 exec, exec, s[76:77]
	s_and_saveexec_b64 s[76:77], s[42:43]
	s_cbranch_execz .LBB8_63
.LBB8_95:                               ;   in Loop: Header=BB8_43 Depth=1
	ds_read_b32 v11, v7 offset:16460
	s_waitcnt lgkmcnt(0)
	v_add_u32_e32 v10, v11, v10
	s_or_b64 exec, exec, s[76:77]
	s_and_saveexec_b64 s[76:77], s[44:45]
	s_cbranch_execnz .LBB8_64
.LBB8_96:                               ;   in Loop: Header=BB8_43 Depth=1
	s_or_b64 exec, exec, s[76:77]
	s_and_saveexec_b64 s[76:77], s[46:47]
	s_cbranch_execz .LBB8_65
.LBB8_97:                               ;   in Loop: Header=BB8_43 Depth=1
	ds_read_b32 v11, v7 offset:16468
	s_waitcnt lgkmcnt(0)
	v_add_u32_e32 v10, v11, v10
	s_or_b64 exec, exec, s[76:77]
	s_and_saveexec_b64 s[76:77], s[48:49]
	s_cbranch_execnz .LBB8_66
.LBB8_98:                               ;   in Loop: Header=BB8_43 Depth=1
	s_or_b64 exec, exec, s[76:77]
	s_and_saveexec_b64 s[76:77], s[50:51]
	s_cbranch_execz .LBB8_67
.LBB8_99:                               ;   in Loop: Header=BB8_43 Depth=1
	ds_read_b32 v11, v7 offset:16476
	s_waitcnt lgkmcnt(0)
	v_add_u32_e32 v10, v11, v10
	s_or_b64 exec, exec, s[76:77]
	s_and_saveexec_b64 s[76:77], s[52:53]
	s_cbranch_execnz .LBB8_68
.LBB8_100:                              ;   in Loop: Header=BB8_43 Depth=1
	s_or_b64 exec, exec, s[76:77]
	s_and_saveexec_b64 s[76:77], s[54:55]
	s_cbranch_execz .LBB8_69
.LBB8_101:                              ;   in Loop: Header=BB8_43 Depth=1
	ds_read_b32 v11, v7 offset:16484
	s_waitcnt lgkmcnt(0)
	v_add_u32_e32 v10, v11, v10
	s_or_b64 exec, exec, s[76:77]
	s_and_saveexec_b64 s[76:77], s[56:57]
	s_cbranch_execnz .LBB8_70
.LBB8_102:                              ;   in Loop: Header=BB8_43 Depth=1
	s_or_b64 exec, exec, s[76:77]
	s_and_saveexec_b64 s[76:77], s[58:59]
	s_cbranch_execz .LBB8_71
.LBB8_103:                              ;   in Loop: Header=BB8_43 Depth=1
	ds_read_b32 v11, v7 offset:16492
	s_waitcnt lgkmcnt(0)
	v_add_u32_e32 v10, v11, v10
	s_or_b64 exec, exec, s[76:77]
	s_and_saveexec_b64 s[76:77], s[60:61]
	s_cbranch_execnz .LBB8_72
.LBB8_104:                              ;   in Loop: Header=BB8_43 Depth=1
	s_or_b64 exec, exec, s[76:77]
	s_and_saveexec_b64 s[76:77], s[62:63]
	s_cbranch_execz .LBB8_73
.LBB8_105:                              ;   in Loop: Header=BB8_43 Depth=1
	ds_read_b32 v11, v7 offset:16500
	s_waitcnt lgkmcnt(0)
	v_add_u32_e32 v10, v11, v10
	s_or_b64 exec, exec, s[76:77]
	s_and_saveexec_b64 s[76:77], s[64:65]
	s_cbranch_execnz .LBB8_74
.LBB8_106:                              ;   in Loop: Header=BB8_43 Depth=1
	s_or_b64 exec, exec, s[76:77]
	s_and_saveexec_b64 s[76:77], vcc
	s_cbranch_execz .LBB8_75
.LBB8_107:                              ;   in Loop: Header=BB8_43 Depth=1
	v_add3_u32 v11, v9, -1, v10
	v_lshl_add_u32 v11, v11, 2, 0
	v_add_u32_e32 v12, v9, v10
	v_lshl_add_u32 v12, v12, 2, 0
	ds_write_b32 v11, v4
	ds_write_b32 v12, v5 offset:8188
	s_or_b64 exec, exec, s[76:77]
	s_and_saveexec_b64 s[76:77], s[0:1]
	s_cbranch_execz .LBB8_42
.LBB8_108:                              ;   in Loop: Header=BB8_43 Depth=1
	ds_write_b32 v7, v10 offset:16508
	s_branch .LBB8_42
.LBB8_109:
	s_or_b64 exec, exec, s[74:75]
	s_ashr_i32 s73, s72, 31
	s_lshl_b64 s[0:1], s[72:73], 2
	s_add_u32 s2, s70, s0
	s_addc_u32 s3, s71, s1
	s_load_dwordx2 s[0:1], s[2:3], 0x0
	s_waitcnt lgkmcnt(0)
	s_sub_i32 s14, s1, s0
	v_cmp_gt_i32_e32 vcc, s14, v0
	s_and_saveexec_b64 s[2:3], vcc
	s_cbranch_execz .LBB8_123
; %bb.110:
	s_sub_i32 s8, s0, s66
	v_sub_co_u32_e64 v1, s[0:1], s14, 2
	s_nop 0
	v_readfirstlane_b32 s2, v1
	s_lshr_b32 s2, s2, 1
	s_add_i32 s2, s2, 1
	s_xor_b64 s[0:1], s[0:1], -1
	s_and_b32 s15, s14, -2
	s_and_b32 s3, s2, 7
	s_and_b32 s16, s2, -8
	s_cmp_lg_u32 s3, 0
	v_cmp_lt_u32_e32 vcc, 13, v1
	s_cselect_b64 s[4:5], -1, 0
	s_cmp_lg_u32 s14, s15
	v_cndmask_b32_e64 v1, 0, 1, vcc
	s_cselect_b64 s[10:11], -1, 0
	s_lshl_b32 s17, s3, 3
	v_cndmask_b32_e64 v2, 0, 1, s[0:1]
	v_cmp_ne_u32_e64 s[2:3], 1, v1
	v_cndmask_b32_e64 v1, 0, 1, s[4:5]
	s_mov_b32 s9, 0
	s_mov_b64 s[12:13], 0
	v_cmp_ne_u32_e64 s[0:1], 1, v2
	v_cmp_ne_u32_e64 s[4:5], 1, v1
	s_branch .LBB8_112
.LBB8_111:                              ;   in Loop: Header=BB8_112 Depth=1
	v_add_u32_e32 v0, 0x400, v0
	v_ashrrev_i32_e32 v5, 31, v4
	v_cmp_le_i32_e32 vcc, s14, v0
	v_lshl_add_u64 v[4:5], v[4:5], 2, s[68:69]
	s_or_b64 s[12:13], vcc, s[12:13]
	s_waitcnt lgkmcnt(0)
	global_store_dword v[4:5], v3, off
	s_andn2_b64 exec, exec, s[12:13]
	s_cbranch_execz .LBB8_123
.LBB8_112:                              ; =>This Loop Header: Depth=1
                                        ;     Child Loop BB8_115 Depth 2
                                        ;     Child Loop BB8_118 Depth 2
	;; [unrolled: 1-line block ×3, first 2 shown]
	v_lshl_add_u32 v1, v0, 2, 0
	ds_read2st64_b32 v[2:3], v1 offset1:32
	s_and_b64 vcc, exec, s[0:1]
	v_mov_b32_e32 v4, s8
	s_mov_b32 s18, 0
	s_mov_b64 s[6:7], -1
	s_cbranch_vccnz .LBB8_120
; %bb.113:                              ;   in Loop: Header=BB8_112 Depth=1
	s_and_b64 vcc, exec, s[2:3]
	v_mov_b64_e32 v[4:5], s[8:9]
	s_cbranch_vccnz .LBB8_116
; %bb.114:                              ;   in Loop: Header=BB8_112 Depth=1
	s_mov_b32 s19, 0
	v_mov_b32_e32 v4, s8
	v_mov_b32_e32 v5, 0
	s_mov_b32 s20, s16
.LBB8_115:                              ;   Parent Loop BB8_112 Depth=1
                                        ; =>  This Inner Loop Header: Depth=2
	v_mov_b32_e32 v1, s19
	ds_read2_b32 v[6:7], v1 offset1:1
	ds_read2_b32 v[8:9], v1 offset0:2 offset1:3
	ds_read2_b32 v[10:11], v1 offset0:4 offset1:5
	;; [unrolled: 1-line block ×7, first 2 shown]
	s_waitcnt lgkmcnt(7)
	v_cmp_gt_i32_e32 vcc, v2, v7
	s_waitcnt lgkmcnt(5)
	v_cmp_gt_i32_e64 s[6:7], v2, v10
	s_add_i32 s18, s18, 16
	v_cndmask_b32_e64 v1, 0, 1, vcc
	v_cmp_gt_i32_e32 vcc, v2, v6
	v_cndmask_b32_e64 v7, 0, 1, s[6:7]
	v_cmp_gt_i32_e64 s[6:7], v2, v11
	v_cndmask_b32_e64 v6, 0, 1, vcc
	v_cmp_gt_i32_e32 vcc, v2, v9
	v_cndmask_b32_e64 v9, 0, 1, s[6:7]
	s_waitcnt lgkmcnt(3)
	v_cmp_gt_i32_e64 s[6:7], v2, v15
	v_addc_co_u32_e32 v1, vcc, v5, v1, vcc
	s_nop 0
	v_cndmask_b32_e64 v10, 0, 1, s[6:7]
	v_cmp_gt_i32_e64 s[6:7], v2, v14
	v_cmp_gt_i32_e32 vcc, v2, v12
	s_add_i32 s19, s19, 64
	v_cndmask_b32_e64 v11, 0, 1, s[6:7]
	s_waitcnt lgkmcnt(1)
	v_cmp_gt_i32_e64 s[6:7], v2, v18
	s_add_i32 s20, s20, -8
	s_cmp_lg_u32 s20, 0
	v_cndmask_b32_e64 v14, 0, 1, s[6:7]
	v_cmp_gt_i32_e64 s[6:7], v2, v19
	s_nop 1
	v_cndmask_b32_e64 v15, 0, 1, s[6:7]
	v_cmp_gt_i32_e64 s[6:7], v2, v8
	s_nop 1
	v_addc_co_u32_e64 v4, s[6:7], v4, v6, s[6:7]
	v_cmp_gt_i32_e64 s[6:7], v2, v13
	v_addc_co_u32_e32 v4, vcc, v4, v7, vcc
	s_nop 0
	v_addc_co_u32_e64 v1, s[6:7], v1, v9, s[6:7]
	v_cmp_gt_i32_e32 vcc, v2, v17
	v_cmp_gt_i32_e64 s[6:7], v2, v16
	s_nop 0
	v_addc_co_u32_e32 v1, vcc, v1, v10, vcc
	v_addc_co_u32_e64 v4, s[6:7], v4, v11, s[6:7]
	s_waitcnt lgkmcnt(0)
	v_cmp_gt_i32_e32 vcc, v2, v20
	v_cmp_gt_i32_e64 s[6:7], v2, v21
	s_nop 0
	v_addc_co_u32_e32 v4, vcc, v4, v14, vcc
	v_addc_co_u32_e64 v5, s[6:7], v1, v15, s[6:7]
	s_cbranch_scc1 .LBB8_115
.LBB8_116:                              ;   in Loop: Header=BB8_112 Depth=1
	s_and_b64 vcc, exec, s[4:5]
	s_cbranch_vccnz .LBB8_119
; %bb.117:                              ;   in Loop: Header=BB8_112 Depth=1
	s_lshl_b32 s6, s18, 2
	s_add_i32 s6, s6, 0
	s_mov_b32 s7, s17
.LBB8_118:                              ;   Parent Loop BB8_112 Depth=1
                                        ; =>  This Inner Loop Header: Depth=2
	v_mov_b32_e32 v1, s6
	ds_read2_b32 v[6:7], v1 offset1:1
	s_add_i32 s6, s6, 8
	s_add_i32 s7, s7, -8
	s_cmp_lg_u32 s7, 0
	s_waitcnt lgkmcnt(0)
	v_cmp_gt_i32_e32 vcc, v2, v7
	s_nop 1
	v_addc_co_u32_e32 v5, vcc, 0, v5, vcc
	v_cmp_gt_i32_e32 vcc, v2, v6
	s_nop 1
	v_addc_co_u32_e32 v4, vcc, 0, v4, vcc
	s_cbranch_scc1 .LBB8_118
.LBB8_119:                              ;   in Loop: Header=BB8_112 Depth=1
	v_add_u32_e32 v4, v4, v5
	s_mov_b32 s18, s15
	s_mov_b64 s[6:7], s[10:11]
.LBB8_120:                              ;   in Loop: Header=BB8_112 Depth=1
	s_and_b64 vcc, exec, s[6:7]
	s_cbranch_vccz .LBB8_111
; %bb.121:                              ;   in Loop: Header=BB8_112 Depth=1
	s_lshl_b32 s6, s18, 2
	s_add_i32 s6, s6, 0
.LBB8_122:                              ;   Parent Loop BB8_112 Depth=1
                                        ; =>  This Inner Loop Header: Depth=2
	v_mov_b32_e32 v1, s6
	ds_read_b32 v1, v1
	s_add_i32 s18, s18, 1
	s_add_i32 s6, s6, 4
	s_cmp_ge_i32 s18, s14
	s_waitcnt lgkmcnt(0)
	v_cmp_gt_i32_e32 vcc, v2, v1
	s_nop 1
	v_addc_co_u32_e32 v4, vcc, 0, v4, vcc
	s_cbranch_scc0 .LBB8_122
	s_branch .LBB8_111
.LBB8_123:
	s_endpgm
	.section	.rodata,"a",@progbits
	.p2align	6, 0x0
	.amdhsa_kernel _ZN9rocsparseL41csrgemm_numeric_fill_block_per_row_kernelILj1024ELj32ELj2048ELj137ELj32EiifEEvT5_PKS1_S3_NS_24const_host_device_scalarIT6_EEPKT4_S3_PKS5_S9_S3_SB_S6_S9_S3_SB_S9_S3_PS5_21rocsparse_index_base_SD_SD_SD_bbb
		.amdhsa_group_segment_fixed_size 0
		.amdhsa_private_segment_fixed_size 0
		.amdhsa_kernarg_size 156
		.amdhsa_user_sgpr_count 2
		.amdhsa_user_sgpr_dispatch_ptr 0
		.amdhsa_user_sgpr_queue_ptr 0
		.amdhsa_user_sgpr_kernarg_segment_ptr 1
		.amdhsa_user_sgpr_dispatch_id 0
		.amdhsa_user_sgpr_kernarg_preload_length 0
		.amdhsa_user_sgpr_kernarg_preload_offset 0
		.amdhsa_user_sgpr_private_segment_size 0
		.amdhsa_uses_dynamic_stack 0
		.amdhsa_enable_private_segment 0
		.amdhsa_system_sgpr_workgroup_id_x 1
		.amdhsa_system_sgpr_workgroup_id_y 0
		.amdhsa_system_sgpr_workgroup_id_z 0
		.amdhsa_system_sgpr_workgroup_info 0
		.amdhsa_system_vgpr_workitem_id 0
		.amdhsa_next_free_vgpr 22
		.amdhsa_next_free_sgpr 78
		.amdhsa_accum_offset 24
		.amdhsa_reserve_vcc 1
		.amdhsa_float_round_mode_32 0
		.amdhsa_float_round_mode_16_64 0
		.amdhsa_float_denorm_mode_32 3
		.amdhsa_float_denorm_mode_16_64 3
		.amdhsa_dx10_clamp 1
		.amdhsa_ieee_mode 1
		.amdhsa_fp16_overflow 0
		.amdhsa_tg_split 0
		.amdhsa_exception_fp_ieee_invalid_op 0
		.amdhsa_exception_fp_denorm_src 0
		.amdhsa_exception_fp_ieee_div_zero 0
		.amdhsa_exception_fp_ieee_overflow 0
		.amdhsa_exception_fp_ieee_underflow 0
		.amdhsa_exception_fp_ieee_inexact 0
		.amdhsa_exception_int_div_zero 0
	.end_amdhsa_kernel
	.section	.text._ZN9rocsparseL41csrgemm_numeric_fill_block_per_row_kernelILj1024ELj32ELj2048ELj137ELj32EiifEEvT5_PKS1_S3_NS_24const_host_device_scalarIT6_EEPKT4_S3_PKS5_S9_S3_SB_S6_S9_S3_SB_S9_S3_PS5_21rocsparse_index_base_SD_SD_SD_bbb,"axG",@progbits,_ZN9rocsparseL41csrgemm_numeric_fill_block_per_row_kernelILj1024ELj32ELj2048ELj137ELj32EiifEEvT5_PKS1_S3_NS_24const_host_device_scalarIT6_EEPKT4_S3_PKS5_S9_S3_SB_S6_S9_S3_SB_S9_S3_PS5_21rocsparse_index_base_SD_SD_SD_bbb,comdat
.Lfunc_end8:
	.size	_ZN9rocsparseL41csrgemm_numeric_fill_block_per_row_kernelILj1024ELj32ELj2048ELj137ELj32EiifEEvT5_PKS1_S3_NS_24const_host_device_scalarIT6_EEPKT4_S3_PKS5_S9_S3_SB_S6_S9_S3_SB_S9_S3_PS5_21rocsparse_index_base_SD_SD_SD_bbb, .Lfunc_end8-_ZN9rocsparseL41csrgemm_numeric_fill_block_per_row_kernelILj1024ELj32ELj2048ELj137ELj32EiifEEvT5_PKS1_S3_NS_24const_host_device_scalarIT6_EEPKT4_S3_PKS5_S9_S3_SB_S6_S9_S3_SB_S9_S3_PS5_21rocsparse_index_base_SD_SD_SD_bbb
                                        ; -- End function
	.set _ZN9rocsparseL41csrgemm_numeric_fill_block_per_row_kernelILj1024ELj32ELj2048ELj137ELj32EiifEEvT5_PKS1_S3_NS_24const_host_device_scalarIT6_EEPKT4_S3_PKS5_S9_S3_SB_S6_S9_S3_SB_S9_S3_PS5_21rocsparse_index_base_SD_SD_SD_bbb.num_vgpr, 22
	.set _ZN9rocsparseL41csrgemm_numeric_fill_block_per_row_kernelILj1024ELj32ELj2048ELj137ELj32EiifEEvT5_PKS1_S3_NS_24const_host_device_scalarIT6_EEPKT4_S3_PKS5_S9_S3_SB_S6_S9_S3_SB_S9_S3_PS5_21rocsparse_index_base_SD_SD_SD_bbb.num_agpr, 0
	.set _ZN9rocsparseL41csrgemm_numeric_fill_block_per_row_kernelILj1024ELj32ELj2048ELj137ELj32EiifEEvT5_PKS1_S3_NS_24const_host_device_scalarIT6_EEPKT4_S3_PKS5_S9_S3_SB_S6_S9_S3_SB_S9_S3_PS5_21rocsparse_index_base_SD_SD_SD_bbb.numbered_sgpr, 78
	.set _ZN9rocsparseL41csrgemm_numeric_fill_block_per_row_kernelILj1024ELj32ELj2048ELj137ELj32EiifEEvT5_PKS1_S3_NS_24const_host_device_scalarIT6_EEPKT4_S3_PKS5_S9_S3_SB_S6_S9_S3_SB_S9_S3_PS5_21rocsparse_index_base_SD_SD_SD_bbb.num_named_barrier, 0
	.set _ZN9rocsparseL41csrgemm_numeric_fill_block_per_row_kernelILj1024ELj32ELj2048ELj137ELj32EiifEEvT5_PKS1_S3_NS_24const_host_device_scalarIT6_EEPKT4_S3_PKS5_S9_S3_SB_S6_S9_S3_SB_S9_S3_PS5_21rocsparse_index_base_SD_SD_SD_bbb.private_seg_size, 0
	.set _ZN9rocsparseL41csrgemm_numeric_fill_block_per_row_kernelILj1024ELj32ELj2048ELj137ELj32EiifEEvT5_PKS1_S3_NS_24const_host_device_scalarIT6_EEPKT4_S3_PKS5_S9_S3_SB_S6_S9_S3_SB_S9_S3_PS5_21rocsparse_index_base_SD_SD_SD_bbb.uses_vcc, 1
	.set _ZN9rocsparseL41csrgemm_numeric_fill_block_per_row_kernelILj1024ELj32ELj2048ELj137ELj32EiifEEvT5_PKS1_S3_NS_24const_host_device_scalarIT6_EEPKT4_S3_PKS5_S9_S3_SB_S6_S9_S3_SB_S9_S3_PS5_21rocsparse_index_base_SD_SD_SD_bbb.uses_flat_scratch, 0
	.set _ZN9rocsparseL41csrgemm_numeric_fill_block_per_row_kernelILj1024ELj32ELj2048ELj137ELj32EiifEEvT5_PKS1_S3_NS_24const_host_device_scalarIT6_EEPKT4_S3_PKS5_S9_S3_SB_S6_S9_S3_SB_S9_S3_PS5_21rocsparse_index_base_SD_SD_SD_bbb.has_dyn_sized_stack, 0
	.set _ZN9rocsparseL41csrgemm_numeric_fill_block_per_row_kernelILj1024ELj32ELj2048ELj137ELj32EiifEEvT5_PKS1_S3_NS_24const_host_device_scalarIT6_EEPKT4_S3_PKS5_S9_S3_SB_S6_S9_S3_SB_S9_S3_PS5_21rocsparse_index_base_SD_SD_SD_bbb.has_recursion, 0
	.set _ZN9rocsparseL41csrgemm_numeric_fill_block_per_row_kernelILj1024ELj32ELj2048ELj137ELj32EiifEEvT5_PKS1_S3_NS_24const_host_device_scalarIT6_EEPKT4_S3_PKS5_S9_S3_SB_S6_S9_S3_SB_S9_S3_PS5_21rocsparse_index_base_SD_SD_SD_bbb.has_indirect_call, 0
	.section	.AMDGPU.csdata,"",@progbits
; Kernel info:
; codeLenInByte = 3988
; TotalNumSgprs: 84
; NumVgprs: 22
; NumAgprs: 0
; TotalNumVgprs: 22
; ScratchSize: 0
; MemoryBound: 0
; FloatMode: 240
; IeeeMode: 1
; LDSByteSize: 0 bytes/workgroup (compile time only)
; SGPRBlocks: 10
; VGPRBlocks: 2
; NumSGPRsForWavesPerEU: 84
; NumVGPRsForWavesPerEU: 22
; AccumOffset: 24
; Occupancy: 8
; WaveLimiterHint : 1
; COMPUTE_PGM_RSRC2:SCRATCH_EN: 0
; COMPUTE_PGM_RSRC2:USER_SGPR: 2
; COMPUTE_PGM_RSRC2:TRAP_HANDLER: 0
; COMPUTE_PGM_RSRC2:TGID_X_EN: 1
; COMPUTE_PGM_RSRC2:TGID_Y_EN: 0
; COMPUTE_PGM_RSRC2:TGID_Z_EN: 0
; COMPUTE_PGM_RSRC2:TIDIG_COMP_CNT: 0
; COMPUTE_PGM_RSRC3_GFX90A:ACCUM_OFFSET: 5
; COMPUTE_PGM_RSRC3_GFX90A:TG_SPLIT: 0
	.section	.text._ZN9rocsparseL41csrgemm_numeric_fill_block_per_row_kernelILj1024ELj32ELj2048ELj137ELj64EiifEEvT5_PKS1_S3_NS_24const_host_device_scalarIT6_EEPKT4_S3_PKS5_S9_S3_SB_S6_S9_S3_SB_S9_S3_PS5_21rocsparse_index_base_SD_SD_SD_bbb,"axG",@progbits,_ZN9rocsparseL41csrgemm_numeric_fill_block_per_row_kernelILj1024ELj32ELj2048ELj137ELj64EiifEEvT5_PKS1_S3_NS_24const_host_device_scalarIT6_EEPKT4_S3_PKS5_S9_S3_SB_S6_S9_S3_SB_S9_S3_PS5_21rocsparse_index_base_SD_SD_SD_bbb,comdat
	.globl	_ZN9rocsparseL41csrgemm_numeric_fill_block_per_row_kernelILj1024ELj32ELj2048ELj137ELj64EiifEEvT5_PKS1_S3_NS_24const_host_device_scalarIT6_EEPKT4_S3_PKS5_S9_S3_SB_S6_S9_S3_SB_S9_S3_PS5_21rocsparse_index_base_SD_SD_SD_bbb ; -- Begin function _ZN9rocsparseL41csrgemm_numeric_fill_block_per_row_kernelILj1024ELj32ELj2048ELj137ELj64EiifEEvT5_PKS1_S3_NS_24const_host_device_scalarIT6_EEPKT4_S3_PKS5_S9_S3_SB_S6_S9_S3_SB_S9_S3_PS5_21rocsparse_index_base_SD_SD_SD_bbb
	.p2align	8
	.type	_ZN9rocsparseL41csrgemm_numeric_fill_block_per_row_kernelILj1024ELj32ELj2048ELj137ELj64EiifEEvT5_PKS1_S3_NS_24const_host_device_scalarIT6_EEPKT4_S3_PKS5_S9_S3_SB_S6_S9_S3_SB_S9_S3_PS5_21rocsparse_index_base_SD_SD_SD_bbb,@function
_ZN9rocsparseL41csrgemm_numeric_fill_block_per_row_kernelILj1024ELj32ELj2048ELj137ELj64EiifEEvT5_PKS1_S3_NS_24const_host_device_scalarIT6_EEPKT4_S3_PKS5_S9_S3_SB_S6_S9_S3_SB_S9_S3_PS5_21rocsparse_index_base_SD_SD_SD_bbb: ; @_ZN9rocsparseL41csrgemm_numeric_fill_block_per_row_kernelILj1024ELj32ELj2048ELj137ELj64EiifEEvT5_PKS1_S3_NS_24const_host_device_scalarIT6_EEPKT4_S3_PKS5_S9_S3_SB_S6_S9_S3_SB_S9_S3_PS5_21rocsparse_index_base_SD_SD_SD_bbb
; %bb.0:
	s_load_dword s3, s[0:1], 0x98
	s_load_dwordx4 s[36:39], s[0:1], 0x88
	s_load_dwordx2 s[4:5], s[0:1], 0x18
	s_load_dwordx2 s[16:17], s[0:1], 0x50
	s_waitcnt lgkmcnt(0)
	s_bitcmp1_b32 s3, 0
	s_cselect_b64 s[6:7], -1, 0
	s_bitcmp1_b32 s3, 16
	s_cselect_b64 s[18:19], -1, 0
	s_xor_b64 s[8:9], s[6:7], -1
	s_or_b64 s[8:9], s[18:19], s[8:9]
	s_and_b64 vcc, exec, s[8:9]
	s_cbranch_vccnz .LBB9_2
; %bb.1:
	s_load_dword s4, s[4:5], 0x0
	s_waitcnt lgkmcnt(0)
	v_mov_b32_e32 v8, s4
	s_branch .LBB9_3
.LBB9_2:
	v_mov_b32_e32 v1, s4
	v_cndmask_b32_e64 v8, 0, v1, s[6:7]
.LBB9_3:
	s_load_dwordx2 s[34:35], s[0:1], 0x80
	s_load_dwordx2 s[40:41], s[0:1], 0x70
	;; [unrolled: 1-line block ×3, first 2 shown]
	s_load_dwordx4 s[24:27], s[0:1], 0x8
	s_load_dwordx8 s[8:15], s[0:1], 0x20
	s_bitcmp1_b32 s3, 8
	s_cselect_b64 s[4:5], -1, 0
	s_xor_b64 s[20:21], s[4:5], -1
	s_or_b64 s[18:19], s[18:19], s[20:21]
	s_and_b64 vcc, exec, s[18:19]
	s_cbranch_vccnz .LBB9_5
; %bb.4:
	s_load_dword s3, s[16:17], 0x0
	s_waitcnt lgkmcnt(0)
	v_mov_b32_e32 v7, s3
	s_branch .LBB9_6
.LBB9_5:
	v_mov_b32_e32 v1, s16
	v_cndmask_b32_e64 v7, 0, v1, s[4:5]
.LBB9_6:
	s_load_dwordx4 s[20:23], s[0:1], 0x40
	s_load_dword s33, s[0:1], 0x0
	s_load_dwordx4 s[16:19], s[0:1], 0x60
	v_or_b32_e32 v1, 0xfffffc00, v0
	v_lshl_add_u32 v6, v0, 2, 0
	s_mov_b64 s[0:1], 0
	s_waitcnt lgkmcnt(0)
	v_mov_b32_e32 v2, s33
	v_mov_b32_e32 v3, 0
	;; [unrolled: 1-line block ×4, first 2 shown]
.LBB9_7:                                ; =>This Inner Loop Header: Depth=1
	v_add_co_u32_e32 v5, vcc, 0x400, v5
	s_xor_b64 s[30:31], vcc, -1
	s_and_b64 s[30:31], exec, s[30:31]
	ds_write2st64_b32 v4, v2, v3 offset1:32
	s_or_b64 s[0:1], s[30:31], s[0:1]
	v_add_u32_e32 v4, 0x1000, v4
	s_andn2_b64 exec, exec, s[0:1]
	s_cbranch_execnz .LBB9_7
; %bb.8:
	s_or_b64 exec, exec, s[0:1]
	s_waitcnt lgkmcnt(0)
	s_barrier
	s_load_dword s0, s[24:25], 0x0
	s_mov_b32 s1, 0
	s_waitcnt lgkmcnt(0)
	s_add_i32 s0, s0, s2
	s_lshl_b64 s[0:1], s[0:1], 2
	s_add_u32 s0, s26, s0
	s_addc_u32 s1, s27, s1
	s_load_dword s42, s[0:1], 0x0
	s_and_b64 vcc, exec, s[6:7]
	s_cbranch_vccz .LBB9_26
; %bb.9:
	s_waitcnt lgkmcnt(0)
	s_ashr_i32 s43, s42, 31
	s_lshl_b64 s[0:1], s[42:43], 2
	s_add_u32 s0, s8, s0
	s_addc_u32 s1, s9, s1
	s_load_dwordx2 s[2:3], s[0:1], 0x0
	v_lshrrev_b32_e32 v2, 5, v0
	v_subrev_u32_e32 v2, s36, v2
	s_waitcnt lgkmcnt(0)
	s_sub_i32 s43, s3, s36
	v_add_u32_e32 v2, s2, v2
	v_cmp_gt_i32_e32 vcc, s43, v2
	s_and_saveexec_b64 s[0:1], vcc
	s_cbranch_execz .LBB9_25
; %bb.10:
	v_and_b32_e32 v3, 31, v0
	v_subrev_u32_e32 v9, s37, v3
	s_mov_b64 s[2:3], 0
	s_movk_i32 s48, 0x89
	s_branch .LBB9_12
.LBB9_11:                               ;   in Loop: Header=BB9_12 Depth=1
	s_or_b64 exec, exec, s[6:7]
	v_add_u32_e32 v2, 32, v2
	v_cmp_le_i32_e32 vcc, s43, v2
	s_or_b64 s[2:3], vcc, s[2:3]
	s_andn2_b64 exec, exec, s[2:3]
	s_cbranch_execz .LBB9_25
.LBB9_12:                               ; =>This Loop Header: Depth=1
                                        ;     Child Loop BB9_16 Depth 2
                                        ;       Child Loop BB9_19 Depth 3
	v_ashrrev_i32_e32 v3, 31, v2
	v_lshl_add_u64 v[4:5], v[2:3], 2, s[10:11]
	global_load_dword v4, v[4:5], off
	s_waitcnt vmcnt(0)
	v_subrev_u32_e32 v4, s36, v4
	v_ashrrev_i32_e32 v5, 31, v4
	v_lshl_add_u64 v[4:5], v[4:5], 2, s[14:15]
	global_load_dwordx2 v[4:5], v[4:5], off
	s_waitcnt vmcnt(0)
	v_subrev_u32_e32 v10, s37, v5
	v_add_u32_e32 v4, v4, v9
	v_cmp_lt_i32_e32 vcc, v4, v10
	s_and_saveexec_b64 s[6:7], vcc
	s_cbranch_execz .LBB9_11
; %bb.13:                               ;   in Loop: Header=BB9_12 Depth=1
	v_lshl_add_u64 v[12:13], v[2:3], 2, s[12:13]
	global_load_dword v3, v[12:13], off
	s_mov_b64 s[8:9], 0
	s_waitcnt vmcnt(0)
	v_mul_f32_e32 v3, v8, v3
	s_branch .LBB9_16
.LBB9_14:                               ;   in Loop: Header=BB9_16 Depth=2
	s_or_b64 exec, exec, s[26:27]
.LBB9_15:                               ;   in Loop: Header=BB9_16 Depth=2
	s_or_b64 exec, exec, s[24:25]
	s_waitcnt vmcnt(0)
	v_mul_f32_e32 v5, v3, v5
	v_lshl_add_u32 v11, v11, 2, 0
	ds_add_f32 v11, v5 offset:8192
	v_add_u32_e32 v4, 32, v4
	v_cmp_ge_i32_e32 vcc, v4, v10
	s_or_b64 s[8:9], vcc, s[8:9]
	s_andn2_b64 exec, exec, s[8:9]
	s_cbranch_execz .LBB9_11
.LBB9_16:                               ;   Parent Loop BB9_12 Depth=1
                                        ; =>  This Loop Header: Depth=2
                                        ;       Child Loop BB9_19 Depth 3
	v_ashrrev_i32_e32 v5, 31, v4
	v_lshlrev_b64 v[12:13], 2, v[4:5]
	v_lshl_add_u64 v[14:15], s[20:21], 0, v[12:13]
	global_load_dword v11, v[14:15], off
	v_lshl_add_u64 v[12:13], s[22:23], 0, v[12:13]
	global_load_dword v5, v[12:13], off
	s_waitcnt vmcnt(1)
	v_subrev_u32_e32 v12, s37, v11
	v_mul_lo_u32 v11, v12, s48
	v_and_b32_e32 v11, 0x7ff, v11
	v_lshl_add_u32 v13, v11, 2, 0
	ds_read_b32 v14, v13
	s_waitcnt lgkmcnt(0)
	v_cmp_ne_u32_e32 vcc, v14, v12
	s_and_saveexec_b64 s[24:25], vcc
	s_cbranch_execz .LBB9_15
; %bb.17:                               ;   in Loop: Header=BB9_16 Depth=2
	s_mov_b64 s[26:27], 0
	s_branch .LBB9_19
.LBB9_18:                               ;   in Loop: Header=BB9_19 Depth=3
	s_or_b64 exec, exec, s[46:47]
	s_and_b64 s[30:31], exec, s[44:45]
	s_or_b64 s[26:27], s[30:31], s[26:27]
	s_andn2_b64 exec, exec, s[26:27]
	s_cbranch_execz .LBB9_14
.LBB9_19:                               ;   Parent Loop BB9_12 Depth=1
                                        ;     Parent Loop BB9_16 Depth=2
                                        ; =>    This Inner Loop Header: Depth=3
	v_cmp_ne_u32_e32 vcc, s33, v14
	s_mov_b64 s[30:31], 0
	s_and_saveexec_b64 s[44:45], vcc
	s_xor_b64 s[44:45], exec, s[44:45]
	s_cbranch_execz .LBB9_21
; %bb.20:                               ;   in Loop: Header=BB9_19 Depth=3
	v_add_u32_e32 v11, 1, v11
	s_mov_b64 s[30:31], exec
	v_and_b32_e32 v11, 0x7ff, v11
                                        ; implicit-def: $vgpr13
	s_andn2_saveexec_b64 s[44:45], s[44:45]
	s_cbranch_execz .LBB9_23
	s_branch .LBB9_22
.LBB9_21:                               ;   in Loop: Header=BB9_19 Depth=3
	s_andn2_saveexec_b64 s[44:45], s[44:45]
	s_cbranch_execz .LBB9_23
.LBB9_22:                               ;   in Loop: Header=BB9_19 Depth=3
	v_mov_b32_e32 v14, s33
	ds_cmpst_rtn_b32 v13, v13, v14, v12
	s_andn2_b64 s[30:31], s[30:31], exec
	s_waitcnt lgkmcnt(0)
	v_cmp_ne_u32_e32 vcc, s33, v13
	s_and_b64 s[46:47], vcc, exec
	s_or_b64 s[30:31], s[30:31], s[46:47]
.LBB9_23:                               ;   in Loop: Header=BB9_19 Depth=3
	s_or_b64 exec, exec, s[44:45]
	s_mov_b64 s[44:45], -1
                                        ; implicit-def: $vgpr13
                                        ; implicit-def: $vgpr14
	s_and_saveexec_b64 s[46:47], s[30:31]
	s_cbranch_execz .LBB9_18
; %bb.24:                               ;   in Loop: Header=BB9_19 Depth=3
	v_lshl_add_u32 v13, v11, 2, 0
	ds_read_b32 v14, v13
	s_waitcnt lgkmcnt(0)
	v_cmp_eq_u32_e32 vcc, v14, v12
	s_orn2_b64 s[44:45], vcc, exec
	s_branch .LBB9_18
.LBB9_25:
	s_or_b64 exec, exec, s[0:1]
.LBB9_26:
	s_andn2_b64 vcc, exec, s[4:5]
	s_cbranch_vccnz .LBB9_41
; %bb.27:
	s_waitcnt lgkmcnt(0)
	s_ashr_i32 s43, s42, 31
	s_lshl_b64 s[0:1], s[42:43], 2
	s_add_u32 s0, s28, s0
	s_addc_u32 s1, s29, s1
	s_load_dwordx2 s[2:3], s[0:1], 0x0
	v_subrev_u32_e32 v2, s39, v0
	s_waitcnt lgkmcnt(0)
	s_sub_i32 s14, s3, s39
	v_add_u32_e32 v2, s2, v2
	v_cmp_gt_i32_e32 vcc, s14, v2
	s_and_saveexec_b64 s[0:1], vcc
	s_cbranch_execz .LBB9_40
; %bb.28:
	s_mov_b64 s[2:3], 0
	s_movk_i32 s15, 0x89
	s_branch .LBB9_31
.LBB9_29:                               ;   in Loop: Header=BB9_31 Depth=1
	s_or_b64 exec, exec, s[6:7]
.LBB9_30:                               ;   in Loop: Header=BB9_31 Depth=1
	s_or_b64 exec, exec, s[4:5]
	s_waitcnt vmcnt(0)
	v_mul_f32_e32 v3, v7, v3
	v_lshl_add_u32 v4, v4, 2, 0
	ds_add_f32 v4, v3 offset:8192
	v_add_u32_e32 v2, 0x400, v2
	v_cmp_le_i32_e32 vcc, s14, v2
	s_or_b64 s[2:3], vcc, s[2:3]
	s_andn2_b64 exec, exec, s[2:3]
	s_cbranch_execz .LBB9_40
.LBB9_31:                               ; =>This Loop Header: Depth=1
                                        ;     Child Loop BB9_34 Depth 2
	v_ashrrev_i32_e32 v3, 31, v2
	v_lshlrev_b64 v[4:5], 2, v[2:3]
	v_lshl_add_u64 v[8:9], s[16:17], 0, v[4:5]
	global_load_dword v8, v[8:9], off
	v_lshl_add_u64 v[4:5], s[18:19], 0, v[4:5]
	global_load_dword v3, v[4:5], off
	s_waitcnt vmcnt(1)
	v_subrev_u32_e32 v5, s39, v8
	v_mul_lo_u32 v4, v5, s15
	v_and_b32_e32 v4, 0x7ff, v4
	v_lshl_add_u32 v8, v4, 2, 0
	ds_read_b32 v9, v8
	s_waitcnt lgkmcnt(0)
	v_cmp_ne_u32_e32 vcc, v9, v5
	s_and_saveexec_b64 s[4:5], vcc
	s_cbranch_execz .LBB9_30
; %bb.32:                               ;   in Loop: Header=BB9_31 Depth=1
	s_mov_b64 s[6:7], 0
	s_branch .LBB9_34
.LBB9_33:                               ;   in Loop: Header=BB9_34 Depth=2
	s_or_b64 exec, exec, s[12:13]
	s_and_b64 s[8:9], exec, s[10:11]
	s_or_b64 s[6:7], s[8:9], s[6:7]
	s_andn2_b64 exec, exec, s[6:7]
	s_cbranch_execz .LBB9_29
.LBB9_34:                               ;   Parent Loop BB9_31 Depth=1
                                        ; =>  This Inner Loop Header: Depth=2
	v_cmp_ne_u32_e32 vcc, s33, v9
	s_mov_b64 s[8:9], 0
	s_and_saveexec_b64 s[10:11], vcc
	s_xor_b64 s[10:11], exec, s[10:11]
	s_cbranch_execz .LBB9_36
; %bb.35:                               ;   in Loop: Header=BB9_34 Depth=2
	v_add_u32_e32 v4, 1, v4
	s_mov_b64 s[8:9], exec
	v_and_b32_e32 v4, 0x7ff, v4
                                        ; implicit-def: $vgpr8
	s_andn2_saveexec_b64 s[10:11], s[10:11]
	s_cbranch_execz .LBB9_38
	s_branch .LBB9_37
.LBB9_36:                               ;   in Loop: Header=BB9_34 Depth=2
	s_andn2_saveexec_b64 s[10:11], s[10:11]
	s_cbranch_execz .LBB9_38
.LBB9_37:                               ;   in Loop: Header=BB9_34 Depth=2
	v_mov_b32_e32 v9, s33
	ds_cmpst_rtn_b32 v8, v8, v9, v5
	s_andn2_b64 s[8:9], s[8:9], exec
	s_waitcnt lgkmcnt(0)
	v_cmp_ne_u32_e32 vcc, s33, v8
	s_and_b64 s[12:13], vcc, exec
	s_or_b64 s[8:9], s[8:9], s[12:13]
.LBB9_38:                               ;   in Loop: Header=BB9_34 Depth=2
	s_or_b64 exec, exec, s[10:11]
	s_mov_b64 s[10:11], -1
                                        ; implicit-def: $vgpr8
                                        ; implicit-def: $vgpr9
	s_and_saveexec_b64 s[12:13], s[8:9]
	s_cbranch_execz .LBB9_33
; %bb.39:                               ;   in Loop: Header=BB9_34 Depth=2
	v_lshl_add_u32 v8, v4, 2, 0
	ds_read_b32 v9, v8
	s_waitcnt lgkmcnt(0)
	v_cmp_eq_u32_e32 vcc, v9, v5
	s_orn2_b64 s[10:11], vcc, exec
	s_branch .LBB9_33
.LBB9_40:
	s_or_b64 exec, exec, s[0:1]
.LBB9_41:
	v_mbcnt_lo_u32_b32 v2, -1, 0
	v_mbcnt_hi_u32_b32 v2, -1, v2
	v_lshrrev_b32_e32 v4, 4, v0
	v_sub_u32_e32 v2, 63, v2
	v_and_b32_e32 v4, 60, v4
	s_movk_i32 s0, 0x3ff
	s_movk_i32 s4, 0x7f
	;; [unrolled: 1-line block ×15, first 2 shown]
	v_mov_b32_e32 v7, 0
	v_lshrrev_b64 v[2:3], v2, -1
	v_add_u32_e32 v8, 0, v4
	v_cmp_eq_u32_e64 s[0:1], s0, v0
	v_cmp_lt_u32_e64 s[2:3], 63, v0
	v_cmp_lt_u32_e64 s[4:5], s4, v0
	;; [unrolled: 1-line block ×15, first 2 shown]
	s_mov_b64 s[36:37], 0
	v_mov_b32_e32 v9, 0
	s_waitcnt lgkmcnt(0)
	s_barrier
	s_branch .LBB9_43
.LBB9_42:                               ;   in Loop: Header=BB9_43 Depth=1
	s_or_b64 exec, exec, s[44:45]
	s_waitcnt lgkmcnt(0)
	s_barrier
	ds_read_b32 v4, v7 offset:16444
	v_add_co_u32_e32 v1, vcc, 0x400, v1
	s_xor_b64 s[44:45], vcc, -1
	s_and_b64 s[44:45], exec, s[44:45]
	s_waitcnt lgkmcnt(0)
	v_add_u32_e32 v9, v4, v9
	s_or_b64 s[36:37], s[44:45], s[36:37]
	v_add_u32_e32 v6, 0x1000, v6
	s_andn2_b64 exec, exec, s[36:37]
	s_cbranch_execz .LBB9_77
.LBB9_43:                               ; =>This Inner Loop Header: Depth=1
	ds_read2st64_b32 v[4:5], v6 offset1:32
	s_waitcnt lgkmcnt(0)
	s_barrier
	v_cmp_gt_i32_e32 vcc, s33, v4
	s_bcnt1_i32_b64 s39, vcc
	s_nop 0
	v_and_b32_e32 v11, vcc_lo, v2
	v_and_b32_e32 v10, vcc_hi, v3
	v_bcnt_u32_b32 v11, v11, 0
	v_bcnt_u32_b32 v10, v10, v11
	v_mov_b32_e32 v11, s39
	ds_write_b32 v8, v11 offset:16384
	s_waitcnt lgkmcnt(0)
	s_barrier
	s_and_saveexec_b64 s[44:45], s[2:3]
	s_cbranch_execz .LBB9_60
; %bb.44:                               ;   in Loop: Header=BB9_43 Depth=1
	ds_read_b32 v11, v7 offset:16384
	s_waitcnt lgkmcnt(0)
	v_add_u32_e32 v10, v11, v10
	s_or_b64 exec, exec, s[44:45]
	s_and_saveexec_b64 s[44:45], s[4:5]
	s_cbranch_execnz .LBB9_61
.LBB9_45:                               ;   in Loop: Header=BB9_43 Depth=1
	s_or_b64 exec, exec, s[44:45]
	s_and_saveexec_b64 s[44:45], s[6:7]
	s_cbranch_execz .LBB9_62
.LBB9_46:                               ;   in Loop: Header=BB9_43 Depth=1
	ds_read_b32 v11, v7 offset:16392
	s_waitcnt lgkmcnt(0)
	v_add_u32_e32 v10, v11, v10
	s_or_b64 exec, exec, s[44:45]
	s_and_saveexec_b64 s[44:45], s[8:9]
	s_cbranch_execnz .LBB9_63
.LBB9_47:                               ;   in Loop: Header=BB9_43 Depth=1
	s_or_b64 exec, exec, s[44:45]
	s_and_saveexec_b64 s[44:45], s[10:11]
	s_cbranch_execz .LBB9_64
.LBB9_48:                               ;   in Loop: Header=BB9_43 Depth=1
	ds_read_b32 v11, v7 offset:16400
	s_waitcnt lgkmcnt(0)
	v_add_u32_e32 v10, v11, v10
	s_or_b64 exec, exec, s[44:45]
	s_and_saveexec_b64 s[44:45], s[12:13]
	s_cbranch_execnz .LBB9_65
.LBB9_49:                               ;   in Loop: Header=BB9_43 Depth=1
	s_or_b64 exec, exec, s[44:45]
	s_and_saveexec_b64 s[44:45], s[14:15]
	s_cbranch_execz .LBB9_66
.LBB9_50:                               ;   in Loop: Header=BB9_43 Depth=1
	ds_read_b32 v11, v7 offset:16408
	s_waitcnt lgkmcnt(0)
	v_add_u32_e32 v10, v11, v10
	s_or_b64 exec, exec, s[44:45]
	s_and_saveexec_b64 s[44:45], s[16:17]
	s_cbranch_execnz .LBB9_67
.LBB9_51:                               ;   in Loop: Header=BB9_43 Depth=1
	s_or_b64 exec, exec, s[44:45]
	s_and_saveexec_b64 s[44:45], s[18:19]
	s_cbranch_execz .LBB9_68
.LBB9_52:                               ;   in Loop: Header=BB9_43 Depth=1
	ds_read_b32 v11, v7 offset:16416
	s_waitcnt lgkmcnt(0)
	v_add_u32_e32 v10, v11, v10
	s_or_b64 exec, exec, s[44:45]
	s_and_saveexec_b64 s[44:45], s[20:21]
	s_cbranch_execnz .LBB9_69
.LBB9_53:                               ;   in Loop: Header=BB9_43 Depth=1
	s_or_b64 exec, exec, s[44:45]
	s_and_saveexec_b64 s[44:45], s[22:23]
	s_cbranch_execz .LBB9_70
.LBB9_54:                               ;   in Loop: Header=BB9_43 Depth=1
	ds_read_b32 v11, v7 offset:16424
	s_waitcnt lgkmcnt(0)
	v_add_u32_e32 v10, v11, v10
	s_or_b64 exec, exec, s[44:45]
	s_and_saveexec_b64 s[44:45], s[24:25]
	s_cbranch_execnz .LBB9_71
.LBB9_55:                               ;   in Loop: Header=BB9_43 Depth=1
	s_or_b64 exec, exec, s[44:45]
	s_and_saveexec_b64 s[44:45], s[26:27]
	s_cbranch_execz .LBB9_72
.LBB9_56:                               ;   in Loop: Header=BB9_43 Depth=1
	ds_read_b32 v11, v7 offset:16432
	s_waitcnt lgkmcnt(0)
	v_add_u32_e32 v10, v11, v10
	s_or_b64 exec, exec, s[44:45]
	s_and_saveexec_b64 s[44:45], s[28:29]
	s_cbranch_execnz .LBB9_73
.LBB9_57:                               ;   in Loop: Header=BB9_43 Depth=1
	s_or_b64 exec, exec, s[44:45]
	s_and_saveexec_b64 s[44:45], s[30:31]
	s_cbranch_execz .LBB9_74
.LBB9_58:                               ;   in Loop: Header=BB9_43 Depth=1
	ds_read_b32 v11, v7 offset:16440
	s_waitcnt lgkmcnt(0)
	v_add_u32_e32 v10, v11, v10
	s_or_b64 exec, exec, s[44:45]
	s_and_saveexec_b64 s[44:45], vcc
	s_cbranch_execnz .LBB9_75
.LBB9_59:                               ;   in Loop: Header=BB9_43 Depth=1
	s_or_b64 exec, exec, s[44:45]
	s_and_saveexec_b64 s[44:45], s[0:1]
	s_cbranch_execz .LBB9_42
	s_branch .LBB9_76
.LBB9_60:                               ;   in Loop: Header=BB9_43 Depth=1
	s_or_b64 exec, exec, s[44:45]
	s_and_saveexec_b64 s[44:45], s[4:5]
	s_cbranch_execz .LBB9_45
.LBB9_61:                               ;   in Loop: Header=BB9_43 Depth=1
	ds_read_b32 v11, v7 offset:16388
	s_waitcnt lgkmcnt(0)
	v_add_u32_e32 v10, v11, v10
	s_or_b64 exec, exec, s[44:45]
	s_and_saveexec_b64 s[44:45], s[6:7]
	s_cbranch_execnz .LBB9_46
.LBB9_62:                               ;   in Loop: Header=BB9_43 Depth=1
	s_or_b64 exec, exec, s[44:45]
	s_and_saveexec_b64 s[44:45], s[8:9]
	s_cbranch_execz .LBB9_47
.LBB9_63:                               ;   in Loop: Header=BB9_43 Depth=1
	ds_read_b32 v11, v7 offset:16396
	s_waitcnt lgkmcnt(0)
	v_add_u32_e32 v10, v11, v10
	s_or_b64 exec, exec, s[44:45]
	s_and_saveexec_b64 s[44:45], s[10:11]
	s_cbranch_execnz .LBB9_48
.LBB9_64:                               ;   in Loop: Header=BB9_43 Depth=1
	s_or_b64 exec, exec, s[44:45]
	s_and_saveexec_b64 s[44:45], s[12:13]
	s_cbranch_execz .LBB9_49
.LBB9_65:                               ;   in Loop: Header=BB9_43 Depth=1
	ds_read_b32 v11, v7 offset:16404
	s_waitcnt lgkmcnt(0)
	v_add_u32_e32 v10, v11, v10
	s_or_b64 exec, exec, s[44:45]
	s_and_saveexec_b64 s[44:45], s[14:15]
	s_cbranch_execnz .LBB9_50
.LBB9_66:                               ;   in Loop: Header=BB9_43 Depth=1
	s_or_b64 exec, exec, s[44:45]
	s_and_saveexec_b64 s[44:45], s[16:17]
	s_cbranch_execz .LBB9_51
.LBB9_67:                               ;   in Loop: Header=BB9_43 Depth=1
	ds_read_b32 v11, v7 offset:16412
	s_waitcnt lgkmcnt(0)
	v_add_u32_e32 v10, v11, v10
	s_or_b64 exec, exec, s[44:45]
	s_and_saveexec_b64 s[44:45], s[18:19]
	s_cbranch_execnz .LBB9_52
.LBB9_68:                               ;   in Loop: Header=BB9_43 Depth=1
	s_or_b64 exec, exec, s[44:45]
	s_and_saveexec_b64 s[44:45], s[20:21]
	s_cbranch_execz .LBB9_53
.LBB9_69:                               ;   in Loop: Header=BB9_43 Depth=1
	ds_read_b32 v11, v7 offset:16420
	s_waitcnt lgkmcnt(0)
	v_add_u32_e32 v10, v11, v10
	s_or_b64 exec, exec, s[44:45]
	s_and_saveexec_b64 s[44:45], s[22:23]
	s_cbranch_execnz .LBB9_54
.LBB9_70:                               ;   in Loop: Header=BB9_43 Depth=1
	s_or_b64 exec, exec, s[44:45]
	s_and_saveexec_b64 s[44:45], s[24:25]
	s_cbranch_execz .LBB9_55
.LBB9_71:                               ;   in Loop: Header=BB9_43 Depth=1
	ds_read_b32 v11, v7 offset:16428
	s_waitcnt lgkmcnt(0)
	v_add_u32_e32 v10, v11, v10
	s_or_b64 exec, exec, s[44:45]
	s_and_saveexec_b64 s[44:45], s[26:27]
	s_cbranch_execnz .LBB9_56
.LBB9_72:                               ;   in Loop: Header=BB9_43 Depth=1
	s_or_b64 exec, exec, s[44:45]
	s_and_saveexec_b64 s[44:45], s[28:29]
	s_cbranch_execz .LBB9_57
.LBB9_73:                               ;   in Loop: Header=BB9_43 Depth=1
	ds_read_b32 v11, v7 offset:16436
	s_waitcnt lgkmcnt(0)
	v_add_u32_e32 v10, v11, v10
	s_or_b64 exec, exec, s[44:45]
	s_and_saveexec_b64 s[44:45], s[30:31]
	s_cbranch_execnz .LBB9_58
.LBB9_74:                               ;   in Loop: Header=BB9_43 Depth=1
	s_or_b64 exec, exec, s[44:45]
	s_and_saveexec_b64 s[44:45], vcc
	s_cbranch_execz .LBB9_59
.LBB9_75:                               ;   in Loop: Header=BB9_43 Depth=1
	v_add3_u32 v11, v9, -1, v10
	v_lshl_add_u32 v11, v11, 2, 0
	v_add_u32_e32 v12, v9, v10
	v_lshl_add_u32 v12, v12, 2, 0
	ds_write_b32 v11, v4
	ds_write_b32 v12, v5 offset:8188
	s_or_b64 exec, exec, s[44:45]
	s_and_saveexec_b64 s[44:45], s[0:1]
	s_cbranch_execz .LBB9_42
.LBB9_76:                               ;   in Loop: Header=BB9_43 Depth=1
	ds_write_b32 v7, v10 offset:16444
	s_branch .LBB9_42
.LBB9_77:
	s_or_b64 exec, exec, s[36:37]
	s_ashr_i32 s43, s42, 31
	s_lshl_b64 s[0:1], s[42:43], 2
	s_add_u32 s2, s40, s0
	s_addc_u32 s3, s41, s1
	s_load_dwordx2 s[0:1], s[2:3], 0x0
	s_waitcnt lgkmcnt(0)
	s_sub_i32 s14, s1, s0
	v_cmp_gt_i32_e32 vcc, s14, v0
	s_and_saveexec_b64 s[2:3], vcc
	s_cbranch_execz .LBB9_91
; %bb.78:
	s_sub_i32 s8, s0, s38
	v_sub_co_u32_e64 v1, s[0:1], s14, 2
	s_nop 0
	v_readfirstlane_b32 s2, v1
	s_lshr_b32 s2, s2, 1
	s_add_i32 s2, s2, 1
	s_xor_b64 s[0:1], s[0:1], -1
	s_and_b32 s15, s14, -2
	s_and_b32 s3, s2, 7
	s_and_b32 s16, s2, -8
	s_cmp_lg_u32 s3, 0
	v_cmp_lt_u32_e32 vcc, 13, v1
	s_cselect_b64 s[4:5], -1, 0
	s_cmp_lg_u32 s14, s15
	v_cndmask_b32_e64 v1, 0, 1, vcc
	s_cselect_b64 s[10:11], -1, 0
	s_lshl_b32 s17, s3, 3
	v_cndmask_b32_e64 v2, 0, 1, s[0:1]
	v_cmp_ne_u32_e64 s[2:3], 1, v1
	v_cndmask_b32_e64 v1, 0, 1, s[4:5]
	s_mov_b32 s9, 0
	s_mov_b64 s[12:13], 0
	v_cmp_ne_u32_e64 s[0:1], 1, v2
	v_cmp_ne_u32_e64 s[4:5], 1, v1
	s_branch .LBB9_80
.LBB9_79:                               ;   in Loop: Header=BB9_80 Depth=1
	v_add_u32_e32 v0, 0x400, v0
	v_ashrrev_i32_e32 v5, 31, v4
	v_cmp_le_i32_e32 vcc, s14, v0
	v_lshl_add_u64 v[4:5], v[4:5], 2, s[34:35]
	s_or_b64 s[12:13], vcc, s[12:13]
	s_waitcnt lgkmcnt(0)
	global_store_dword v[4:5], v3, off
	s_andn2_b64 exec, exec, s[12:13]
	s_cbranch_execz .LBB9_91
.LBB9_80:                               ; =>This Loop Header: Depth=1
                                        ;     Child Loop BB9_83 Depth 2
                                        ;     Child Loop BB9_86 Depth 2
	;; [unrolled: 1-line block ×3, first 2 shown]
	v_lshl_add_u32 v1, v0, 2, 0
	ds_read2st64_b32 v[2:3], v1 offset1:32
	s_and_b64 vcc, exec, s[0:1]
	v_mov_b32_e32 v4, s8
	s_mov_b32 s18, 0
	s_mov_b64 s[6:7], -1
	s_cbranch_vccnz .LBB9_88
; %bb.81:                               ;   in Loop: Header=BB9_80 Depth=1
	s_and_b64 vcc, exec, s[2:3]
	v_mov_b64_e32 v[4:5], s[8:9]
	s_cbranch_vccnz .LBB9_84
; %bb.82:                               ;   in Loop: Header=BB9_80 Depth=1
	s_mov_b32 s19, 0
	v_mov_b32_e32 v4, s8
	v_mov_b32_e32 v5, 0
	s_mov_b32 s20, s16
.LBB9_83:                               ;   Parent Loop BB9_80 Depth=1
                                        ; =>  This Inner Loop Header: Depth=2
	v_mov_b32_e32 v1, s19
	ds_read2_b32 v[6:7], v1 offset1:1
	ds_read2_b32 v[8:9], v1 offset0:2 offset1:3
	ds_read2_b32 v[10:11], v1 offset0:4 offset1:5
	;; [unrolled: 1-line block ×7, first 2 shown]
	s_waitcnt lgkmcnt(7)
	v_cmp_gt_i32_e32 vcc, v2, v7
	s_waitcnt lgkmcnt(5)
	v_cmp_gt_i32_e64 s[6:7], v2, v10
	s_add_i32 s18, s18, 16
	v_cndmask_b32_e64 v1, 0, 1, vcc
	v_cmp_gt_i32_e32 vcc, v2, v6
	v_cndmask_b32_e64 v7, 0, 1, s[6:7]
	v_cmp_gt_i32_e64 s[6:7], v2, v11
	v_cndmask_b32_e64 v6, 0, 1, vcc
	v_cmp_gt_i32_e32 vcc, v2, v9
	v_cndmask_b32_e64 v9, 0, 1, s[6:7]
	s_waitcnt lgkmcnt(3)
	v_cmp_gt_i32_e64 s[6:7], v2, v15
	v_addc_co_u32_e32 v1, vcc, v5, v1, vcc
	s_nop 0
	v_cndmask_b32_e64 v10, 0, 1, s[6:7]
	v_cmp_gt_i32_e64 s[6:7], v2, v14
	v_cmp_gt_i32_e32 vcc, v2, v12
	s_add_i32 s19, s19, 64
	v_cndmask_b32_e64 v11, 0, 1, s[6:7]
	s_waitcnt lgkmcnt(1)
	v_cmp_gt_i32_e64 s[6:7], v2, v18
	s_add_i32 s20, s20, -8
	s_cmp_lg_u32 s20, 0
	v_cndmask_b32_e64 v14, 0, 1, s[6:7]
	v_cmp_gt_i32_e64 s[6:7], v2, v19
	s_nop 1
	v_cndmask_b32_e64 v15, 0, 1, s[6:7]
	v_cmp_gt_i32_e64 s[6:7], v2, v8
	s_nop 1
	v_addc_co_u32_e64 v4, s[6:7], v4, v6, s[6:7]
	v_cmp_gt_i32_e64 s[6:7], v2, v13
	v_addc_co_u32_e32 v4, vcc, v4, v7, vcc
	s_nop 0
	v_addc_co_u32_e64 v1, s[6:7], v1, v9, s[6:7]
	v_cmp_gt_i32_e32 vcc, v2, v17
	v_cmp_gt_i32_e64 s[6:7], v2, v16
	s_nop 0
	v_addc_co_u32_e32 v1, vcc, v1, v10, vcc
	v_addc_co_u32_e64 v4, s[6:7], v4, v11, s[6:7]
	s_waitcnt lgkmcnt(0)
	v_cmp_gt_i32_e32 vcc, v2, v20
	v_cmp_gt_i32_e64 s[6:7], v2, v21
	s_nop 0
	v_addc_co_u32_e32 v4, vcc, v4, v14, vcc
	v_addc_co_u32_e64 v5, s[6:7], v1, v15, s[6:7]
	s_cbranch_scc1 .LBB9_83
.LBB9_84:                               ;   in Loop: Header=BB9_80 Depth=1
	s_and_b64 vcc, exec, s[4:5]
	s_cbranch_vccnz .LBB9_87
; %bb.85:                               ;   in Loop: Header=BB9_80 Depth=1
	s_lshl_b32 s6, s18, 2
	s_add_i32 s6, s6, 0
	s_mov_b32 s7, s17
.LBB9_86:                               ;   Parent Loop BB9_80 Depth=1
                                        ; =>  This Inner Loop Header: Depth=2
	v_mov_b32_e32 v1, s6
	ds_read2_b32 v[6:7], v1 offset1:1
	s_add_i32 s6, s6, 8
	s_add_i32 s7, s7, -8
	s_cmp_lg_u32 s7, 0
	s_waitcnt lgkmcnt(0)
	v_cmp_gt_i32_e32 vcc, v2, v7
	s_nop 1
	v_addc_co_u32_e32 v5, vcc, 0, v5, vcc
	v_cmp_gt_i32_e32 vcc, v2, v6
	s_nop 1
	v_addc_co_u32_e32 v4, vcc, 0, v4, vcc
	s_cbranch_scc1 .LBB9_86
.LBB9_87:                               ;   in Loop: Header=BB9_80 Depth=1
	v_add_u32_e32 v4, v4, v5
	s_mov_b32 s18, s15
	s_mov_b64 s[6:7], s[10:11]
.LBB9_88:                               ;   in Loop: Header=BB9_80 Depth=1
	s_and_b64 vcc, exec, s[6:7]
	s_cbranch_vccz .LBB9_79
; %bb.89:                               ;   in Loop: Header=BB9_80 Depth=1
	s_lshl_b32 s6, s18, 2
	s_add_i32 s6, s6, 0
.LBB9_90:                               ;   Parent Loop BB9_80 Depth=1
                                        ; =>  This Inner Loop Header: Depth=2
	v_mov_b32_e32 v1, s6
	ds_read_b32 v1, v1
	s_add_i32 s18, s18, 1
	s_add_i32 s6, s6, 4
	s_cmp_ge_i32 s18, s14
	s_waitcnt lgkmcnt(0)
	v_cmp_gt_i32_e32 vcc, v2, v1
	s_nop 1
	v_addc_co_u32_e32 v4, vcc, 0, v4, vcc
	s_cbranch_scc0 .LBB9_90
	s_branch .LBB9_79
.LBB9_91:
	s_endpgm
	.section	.rodata,"a",@progbits
	.p2align	6, 0x0
	.amdhsa_kernel _ZN9rocsparseL41csrgemm_numeric_fill_block_per_row_kernelILj1024ELj32ELj2048ELj137ELj64EiifEEvT5_PKS1_S3_NS_24const_host_device_scalarIT6_EEPKT4_S3_PKS5_S9_S3_SB_S6_S9_S3_SB_S9_S3_PS5_21rocsparse_index_base_SD_SD_SD_bbb
		.amdhsa_group_segment_fixed_size 0
		.amdhsa_private_segment_fixed_size 0
		.amdhsa_kernarg_size 156
		.amdhsa_user_sgpr_count 2
		.amdhsa_user_sgpr_dispatch_ptr 0
		.amdhsa_user_sgpr_queue_ptr 0
		.amdhsa_user_sgpr_kernarg_segment_ptr 1
		.amdhsa_user_sgpr_dispatch_id 0
		.amdhsa_user_sgpr_kernarg_preload_length 0
		.amdhsa_user_sgpr_kernarg_preload_offset 0
		.amdhsa_user_sgpr_private_segment_size 0
		.amdhsa_uses_dynamic_stack 0
		.amdhsa_enable_private_segment 0
		.amdhsa_system_sgpr_workgroup_id_x 1
		.amdhsa_system_sgpr_workgroup_id_y 0
		.amdhsa_system_sgpr_workgroup_id_z 0
		.amdhsa_system_sgpr_workgroup_info 0
		.amdhsa_system_vgpr_workitem_id 0
		.amdhsa_next_free_vgpr 22
		.amdhsa_next_free_sgpr 49
		.amdhsa_accum_offset 24
		.amdhsa_reserve_vcc 1
		.amdhsa_float_round_mode_32 0
		.amdhsa_float_round_mode_16_64 0
		.amdhsa_float_denorm_mode_32 3
		.amdhsa_float_denorm_mode_16_64 3
		.amdhsa_dx10_clamp 1
		.amdhsa_ieee_mode 1
		.amdhsa_fp16_overflow 0
		.amdhsa_tg_split 0
		.amdhsa_exception_fp_ieee_invalid_op 0
		.amdhsa_exception_fp_denorm_src 0
		.amdhsa_exception_fp_ieee_div_zero 0
		.amdhsa_exception_fp_ieee_overflow 0
		.amdhsa_exception_fp_ieee_underflow 0
		.amdhsa_exception_fp_ieee_inexact 0
		.amdhsa_exception_int_div_zero 0
	.end_amdhsa_kernel
	.section	.text._ZN9rocsparseL41csrgemm_numeric_fill_block_per_row_kernelILj1024ELj32ELj2048ELj137ELj64EiifEEvT5_PKS1_S3_NS_24const_host_device_scalarIT6_EEPKT4_S3_PKS5_S9_S3_SB_S6_S9_S3_SB_S9_S3_PS5_21rocsparse_index_base_SD_SD_SD_bbb,"axG",@progbits,_ZN9rocsparseL41csrgemm_numeric_fill_block_per_row_kernelILj1024ELj32ELj2048ELj137ELj64EiifEEvT5_PKS1_S3_NS_24const_host_device_scalarIT6_EEPKT4_S3_PKS5_S9_S3_SB_S6_S9_S3_SB_S9_S3_PS5_21rocsparse_index_base_SD_SD_SD_bbb,comdat
.Lfunc_end9:
	.size	_ZN9rocsparseL41csrgemm_numeric_fill_block_per_row_kernelILj1024ELj32ELj2048ELj137ELj64EiifEEvT5_PKS1_S3_NS_24const_host_device_scalarIT6_EEPKT4_S3_PKS5_S9_S3_SB_S6_S9_S3_SB_S9_S3_PS5_21rocsparse_index_base_SD_SD_SD_bbb, .Lfunc_end9-_ZN9rocsparseL41csrgemm_numeric_fill_block_per_row_kernelILj1024ELj32ELj2048ELj137ELj64EiifEEvT5_PKS1_S3_NS_24const_host_device_scalarIT6_EEPKT4_S3_PKS5_S9_S3_SB_S6_S9_S3_SB_S9_S3_PS5_21rocsparse_index_base_SD_SD_SD_bbb
                                        ; -- End function
	.set _ZN9rocsparseL41csrgemm_numeric_fill_block_per_row_kernelILj1024ELj32ELj2048ELj137ELj64EiifEEvT5_PKS1_S3_NS_24const_host_device_scalarIT6_EEPKT4_S3_PKS5_S9_S3_SB_S6_S9_S3_SB_S9_S3_PS5_21rocsparse_index_base_SD_SD_SD_bbb.num_vgpr, 22
	.set _ZN9rocsparseL41csrgemm_numeric_fill_block_per_row_kernelILj1024ELj32ELj2048ELj137ELj64EiifEEvT5_PKS1_S3_NS_24const_host_device_scalarIT6_EEPKT4_S3_PKS5_S9_S3_SB_S6_S9_S3_SB_S9_S3_PS5_21rocsparse_index_base_SD_SD_SD_bbb.num_agpr, 0
	.set _ZN9rocsparseL41csrgemm_numeric_fill_block_per_row_kernelILj1024ELj32ELj2048ELj137ELj64EiifEEvT5_PKS1_S3_NS_24const_host_device_scalarIT6_EEPKT4_S3_PKS5_S9_S3_SB_S6_S9_S3_SB_S9_S3_PS5_21rocsparse_index_base_SD_SD_SD_bbb.numbered_sgpr, 49
	.set _ZN9rocsparseL41csrgemm_numeric_fill_block_per_row_kernelILj1024ELj32ELj2048ELj137ELj64EiifEEvT5_PKS1_S3_NS_24const_host_device_scalarIT6_EEPKT4_S3_PKS5_S9_S3_SB_S6_S9_S3_SB_S9_S3_PS5_21rocsparse_index_base_SD_SD_SD_bbb.num_named_barrier, 0
	.set _ZN9rocsparseL41csrgemm_numeric_fill_block_per_row_kernelILj1024ELj32ELj2048ELj137ELj64EiifEEvT5_PKS1_S3_NS_24const_host_device_scalarIT6_EEPKT4_S3_PKS5_S9_S3_SB_S6_S9_S3_SB_S9_S3_PS5_21rocsparse_index_base_SD_SD_SD_bbb.private_seg_size, 0
	.set _ZN9rocsparseL41csrgemm_numeric_fill_block_per_row_kernelILj1024ELj32ELj2048ELj137ELj64EiifEEvT5_PKS1_S3_NS_24const_host_device_scalarIT6_EEPKT4_S3_PKS5_S9_S3_SB_S6_S9_S3_SB_S9_S3_PS5_21rocsparse_index_base_SD_SD_SD_bbb.uses_vcc, 1
	.set _ZN9rocsparseL41csrgemm_numeric_fill_block_per_row_kernelILj1024ELj32ELj2048ELj137ELj64EiifEEvT5_PKS1_S3_NS_24const_host_device_scalarIT6_EEPKT4_S3_PKS5_S9_S3_SB_S6_S9_S3_SB_S9_S3_PS5_21rocsparse_index_base_SD_SD_SD_bbb.uses_flat_scratch, 0
	.set _ZN9rocsparseL41csrgemm_numeric_fill_block_per_row_kernelILj1024ELj32ELj2048ELj137ELj64EiifEEvT5_PKS1_S3_NS_24const_host_device_scalarIT6_EEPKT4_S3_PKS5_S9_S3_SB_S6_S9_S3_SB_S9_S3_PS5_21rocsparse_index_base_SD_SD_SD_bbb.has_dyn_sized_stack, 0
	.set _ZN9rocsparseL41csrgemm_numeric_fill_block_per_row_kernelILj1024ELj32ELj2048ELj137ELj64EiifEEvT5_PKS1_S3_NS_24const_host_device_scalarIT6_EEPKT4_S3_PKS5_S9_S3_SB_S6_S9_S3_SB_S9_S3_PS5_21rocsparse_index_base_SD_SD_SD_bbb.has_recursion, 0
	.set _ZN9rocsparseL41csrgemm_numeric_fill_block_per_row_kernelILj1024ELj32ELj2048ELj137ELj64EiifEEvT5_PKS1_S3_NS_24const_host_device_scalarIT6_EEPKT4_S3_PKS5_S9_S3_SB_S6_S9_S3_SB_S9_S3_PS5_21rocsparse_index_base_SD_SD_SD_bbb.has_indirect_call, 0
	.section	.AMDGPU.csdata,"",@progbits
; Kernel info:
; codeLenInByte = 3164
; TotalNumSgprs: 55
; NumVgprs: 22
; NumAgprs: 0
; TotalNumVgprs: 22
; ScratchSize: 0
; MemoryBound: 0
; FloatMode: 240
; IeeeMode: 1
; LDSByteSize: 0 bytes/workgroup (compile time only)
; SGPRBlocks: 6
; VGPRBlocks: 2
; NumSGPRsForWavesPerEU: 55
; NumVGPRsForWavesPerEU: 22
; AccumOffset: 24
; Occupancy: 8
; WaveLimiterHint : 1
; COMPUTE_PGM_RSRC2:SCRATCH_EN: 0
; COMPUTE_PGM_RSRC2:USER_SGPR: 2
; COMPUTE_PGM_RSRC2:TRAP_HANDLER: 0
; COMPUTE_PGM_RSRC2:TGID_X_EN: 1
; COMPUTE_PGM_RSRC2:TGID_Y_EN: 0
; COMPUTE_PGM_RSRC2:TGID_Z_EN: 0
; COMPUTE_PGM_RSRC2:TIDIG_COMP_CNT: 0
; COMPUTE_PGM_RSRC3_GFX90A:ACCUM_OFFSET: 5
; COMPUTE_PGM_RSRC3_GFX90A:TG_SPLIT: 0
	.section	.text._ZN9rocsparseL41csrgemm_numeric_fill_block_per_row_kernelILj1024ELj64ELj4096ELj137ELj32EiifEEvT5_PKS1_S3_NS_24const_host_device_scalarIT6_EEPKT4_S3_PKS5_S9_S3_SB_S6_S9_S3_SB_S9_S3_PS5_21rocsparse_index_base_SD_SD_SD_bbb,"axG",@progbits,_ZN9rocsparseL41csrgemm_numeric_fill_block_per_row_kernelILj1024ELj64ELj4096ELj137ELj32EiifEEvT5_PKS1_S3_NS_24const_host_device_scalarIT6_EEPKT4_S3_PKS5_S9_S3_SB_S6_S9_S3_SB_S9_S3_PS5_21rocsparse_index_base_SD_SD_SD_bbb,comdat
	.globl	_ZN9rocsparseL41csrgemm_numeric_fill_block_per_row_kernelILj1024ELj64ELj4096ELj137ELj32EiifEEvT5_PKS1_S3_NS_24const_host_device_scalarIT6_EEPKT4_S3_PKS5_S9_S3_SB_S6_S9_S3_SB_S9_S3_PS5_21rocsparse_index_base_SD_SD_SD_bbb ; -- Begin function _ZN9rocsparseL41csrgemm_numeric_fill_block_per_row_kernelILj1024ELj64ELj4096ELj137ELj32EiifEEvT5_PKS1_S3_NS_24const_host_device_scalarIT6_EEPKT4_S3_PKS5_S9_S3_SB_S6_S9_S3_SB_S9_S3_PS5_21rocsparse_index_base_SD_SD_SD_bbb
	.p2align	8
	.type	_ZN9rocsparseL41csrgemm_numeric_fill_block_per_row_kernelILj1024ELj64ELj4096ELj137ELj32EiifEEvT5_PKS1_S3_NS_24const_host_device_scalarIT6_EEPKT4_S3_PKS5_S9_S3_SB_S6_S9_S3_SB_S9_S3_PS5_21rocsparse_index_base_SD_SD_SD_bbb,@function
_ZN9rocsparseL41csrgemm_numeric_fill_block_per_row_kernelILj1024ELj64ELj4096ELj137ELj32EiifEEvT5_PKS1_S3_NS_24const_host_device_scalarIT6_EEPKT4_S3_PKS5_S9_S3_SB_S6_S9_S3_SB_S9_S3_PS5_21rocsparse_index_base_SD_SD_SD_bbb: ; @_ZN9rocsparseL41csrgemm_numeric_fill_block_per_row_kernelILj1024ELj64ELj4096ELj137ELj32EiifEEvT5_PKS1_S3_NS_24const_host_device_scalarIT6_EEPKT4_S3_PKS5_S9_S3_SB_S6_S9_S3_SB_S9_S3_PS5_21rocsparse_index_base_SD_SD_SD_bbb
; %bb.0:
	s_load_dword s3, s[0:1], 0x98
	s_load_dwordx4 s[64:67], s[0:1], 0x88
	s_load_dwordx2 s[4:5], s[0:1], 0x18
	s_load_dwordx2 s[16:17], s[0:1], 0x50
	s_waitcnt lgkmcnt(0)
	s_bitcmp1_b32 s3, 0
	s_cselect_b64 s[6:7], -1, 0
	s_bitcmp1_b32 s3, 16
	s_cselect_b64 s[18:19], -1, 0
	s_xor_b64 s[8:9], s[6:7], -1
	s_or_b64 s[8:9], s[18:19], s[8:9]
	s_and_b64 vcc, exec, s[8:9]
	s_cbranch_vccnz .LBB10_2
; %bb.1:
	s_load_dword s4, s[4:5], 0x0
	s_waitcnt lgkmcnt(0)
	v_mov_b32_e32 v8, s4
	s_branch .LBB10_3
.LBB10_2:
	v_mov_b32_e32 v1, s4
	v_cndmask_b32_e64 v8, 0, v1, s[6:7]
.LBB10_3:
	s_load_dwordx2 s[68:69], s[0:1], 0x80
	s_load_dwordx2 s[70:71], s[0:1], 0x70
	;; [unrolled: 1-line block ×3, first 2 shown]
	s_load_dwordx4 s[24:27], s[0:1], 0x8
	s_load_dwordx8 s[8:15], s[0:1], 0x20
	s_bitcmp1_b32 s3, 8
	s_cselect_b64 s[4:5], -1, 0
	s_xor_b64 s[20:21], s[4:5], -1
	s_or_b64 s[18:19], s[18:19], s[20:21]
	s_and_b64 vcc, exec, s[18:19]
	s_cbranch_vccnz .LBB10_5
; %bb.4:
	s_load_dword s3, s[16:17], 0x0
	s_waitcnt lgkmcnt(0)
	v_mov_b32_e32 v7, s3
	s_branch .LBB10_6
.LBB10_5:
	v_mov_b32_e32 v1, s16
	v_cndmask_b32_e64 v7, 0, v1, s[4:5]
.LBB10_6:
	s_load_dwordx4 s[20:23], s[0:1], 0x40
	s_load_dword s33, s[0:1], 0x0
	s_load_dwordx4 s[16:19], s[0:1], 0x60
	v_or_b32_e32 v1, 0xfffffc00, v0
	v_lshl_add_u32 v6, v0, 2, 0
	s_mov_b64 s[0:1], 0
	s_waitcnt lgkmcnt(0)
	v_mov_b32_e32 v2, s33
	v_mov_b32_e32 v3, 0
	s_movk_i32 s3, 0xbff
	v_mov_b32_e32 v4, v6
	v_mov_b32_e32 v5, v1
.LBB10_7:                               ; =>This Inner Loop Header: Depth=1
	v_add_u32_e32 v5, 0x400, v5
	v_cmp_lt_u32_e32 vcc, s3, v5
	ds_write2st64_b32 v4, v2, v3 offset1:64
	s_or_b64 s[0:1], vcc, s[0:1]
	v_add_u32_e32 v4, 0x1000, v4
	s_andn2_b64 exec, exec, s[0:1]
	s_cbranch_execnz .LBB10_7
; %bb.8:
	s_or_b64 exec, exec, s[0:1]
	s_waitcnt lgkmcnt(0)
	s_barrier
	s_load_dword s0, s[24:25], 0x0
	s_mov_b32 s1, 0
	s_waitcnt lgkmcnt(0)
	s_add_i32 s0, s0, s2
	s_lshl_b64 s[0:1], s[0:1], 2
	s_add_u32 s0, s26, s0
	s_addc_u32 s1, s27, s1
	s_load_dword s72, s[0:1], 0x0
	s_and_b64 vcc, exec, s[6:7]
	s_cbranch_vccz .LBB10_26
; %bb.9:
	s_waitcnt lgkmcnt(0)
	s_ashr_i32 s73, s72, 31
	s_lshl_b64 s[0:1], s[72:73], 2
	s_add_u32 s0, s8, s0
	s_addc_u32 s1, s9, s1
	s_load_dwordx2 s[2:3], s[0:1], 0x0
	v_lshrrev_b32_e32 v2, 6, v0
	v_subrev_u32_e32 v2, s64, v2
	s_waitcnt lgkmcnt(0)
	s_sub_i32 s38, s3, s64
	v_add_u32_e32 v2, s2, v2
	v_cmp_gt_i32_e32 vcc, s38, v2
	s_and_saveexec_b64 s[0:1], vcc
	s_cbranch_execz .LBB10_25
; %bb.10:
	v_and_b32_e32 v3, 63, v0
	v_subrev_u32_e32 v9, s65, v3
	s_mov_b64 s[2:3], 0
	s_movk_i32 s39, 0x89
	s_branch .LBB10_12
.LBB10_11:                              ;   in Loop: Header=BB10_12 Depth=1
	s_or_b64 exec, exec, s[6:7]
	v_add_u32_e32 v2, 16, v2
	v_cmp_le_i32_e32 vcc, s38, v2
	s_or_b64 s[2:3], vcc, s[2:3]
	s_andn2_b64 exec, exec, s[2:3]
	s_cbranch_execz .LBB10_25
.LBB10_12:                              ; =>This Loop Header: Depth=1
                                        ;     Child Loop BB10_16 Depth 2
                                        ;       Child Loop BB10_19 Depth 3
	v_ashrrev_i32_e32 v3, 31, v2
	v_lshl_add_u64 v[4:5], v[2:3], 2, s[10:11]
	global_load_dword v4, v[4:5], off
	s_waitcnt vmcnt(0)
	v_subrev_u32_e32 v4, s64, v4
	v_ashrrev_i32_e32 v5, 31, v4
	v_lshl_add_u64 v[4:5], v[4:5], 2, s[14:15]
	global_load_dwordx2 v[4:5], v[4:5], off
	s_waitcnt vmcnt(0)
	v_subrev_u32_e32 v10, s65, v5
	v_add_u32_e32 v4, v4, v9
	v_cmp_lt_i32_e32 vcc, v4, v10
	s_and_saveexec_b64 s[6:7], vcc
	s_cbranch_execz .LBB10_11
; %bb.13:                               ;   in Loop: Header=BB10_12 Depth=1
	v_lshl_add_u64 v[12:13], v[2:3], 2, s[12:13]
	global_load_dword v3, v[12:13], off
	s_mov_b64 s[8:9], 0
	s_waitcnt vmcnt(0)
	v_mul_f32_e32 v3, v8, v3
	s_branch .LBB10_16
.LBB10_14:                              ;   in Loop: Header=BB10_16 Depth=2
	s_or_b64 exec, exec, s[26:27]
.LBB10_15:                              ;   in Loop: Header=BB10_16 Depth=2
	s_or_b64 exec, exec, s[24:25]
	s_waitcnt vmcnt(0)
	v_mul_f32_e32 v5, v3, v5
	v_lshl_add_u32 v11, v11, 2, 0
	ds_add_f32 v11, v5 offset:16384
	v_add_u32_e32 v4, 64, v4
	v_cmp_ge_i32_e32 vcc, v4, v10
	s_or_b64 s[8:9], vcc, s[8:9]
	s_andn2_b64 exec, exec, s[8:9]
	s_cbranch_execz .LBB10_11
.LBB10_16:                              ;   Parent Loop BB10_12 Depth=1
                                        ; =>  This Loop Header: Depth=2
                                        ;       Child Loop BB10_19 Depth 3
	v_ashrrev_i32_e32 v5, 31, v4
	v_lshlrev_b64 v[12:13], 2, v[4:5]
	v_lshl_add_u64 v[14:15], s[20:21], 0, v[12:13]
	global_load_dword v11, v[14:15], off
	v_lshl_add_u64 v[12:13], s[22:23], 0, v[12:13]
	global_load_dword v5, v[12:13], off
	s_waitcnt vmcnt(1)
	v_subrev_u32_e32 v12, s65, v11
	v_mul_lo_u32 v11, v12, s39
	v_and_b32_e32 v11, 0xfff, v11
	v_lshl_add_u32 v13, v11, 2, 0
	ds_read_b32 v14, v13
	s_waitcnt lgkmcnt(0)
	v_cmp_ne_u32_e32 vcc, v14, v12
	s_and_saveexec_b64 s[24:25], vcc
	s_cbranch_execz .LBB10_15
; %bb.17:                               ;   in Loop: Header=BB10_16 Depth=2
	s_mov_b64 s[26:27], 0
	s_branch .LBB10_19
.LBB10_18:                              ;   in Loop: Header=BB10_19 Depth=3
	s_or_b64 exec, exec, s[36:37]
	s_and_b64 s[30:31], exec, s[34:35]
	s_or_b64 s[26:27], s[30:31], s[26:27]
	s_andn2_b64 exec, exec, s[26:27]
	s_cbranch_execz .LBB10_14
.LBB10_19:                              ;   Parent Loop BB10_12 Depth=1
                                        ;     Parent Loop BB10_16 Depth=2
                                        ; =>    This Inner Loop Header: Depth=3
	v_cmp_ne_u32_e32 vcc, s33, v14
	s_mov_b64 s[30:31], 0
	s_and_saveexec_b64 s[34:35], vcc
	s_xor_b64 s[34:35], exec, s[34:35]
	s_cbranch_execz .LBB10_21
; %bb.20:                               ;   in Loop: Header=BB10_19 Depth=3
	v_add_u32_e32 v11, 1, v11
	s_mov_b64 s[30:31], exec
	v_and_b32_e32 v11, 0xfff, v11
                                        ; implicit-def: $vgpr13
	s_andn2_saveexec_b64 s[34:35], s[34:35]
	s_cbranch_execz .LBB10_23
	s_branch .LBB10_22
.LBB10_21:                              ;   in Loop: Header=BB10_19 Depth=3
	s_andn2_saveexec_b64 s[34:35], s[34:35]
	s_cbranch_execz .LBB10_23
.LBB10_22:                              ;   in Loop: Header=BB10_19 Depth=3
	v_mov_b32_e32 v14, s33
	ds_cmpst_rtn_b32 v13, v13, v14, v12
	s_andn2_b64 s[30:31], s[30:31], exec
	s_waitcnt lgkmcnt(0)
	v_cmp_ne_u32_e32 vcc, s33, v13
	s_and_b64 s[36:37], vcc, exec
	s_or_b64 s[30:31], s[30:31], s[36:37]
.LBB10_23:                              ;   in Loop: Header=BB10_19 Depth=3
	s_or_b64 exec, exec, s[34:35]
	s_mov_b64 s[34:35], -1
                                        ; implicit-def: $vgpr13
                                        ; implicit-def: $vgpr14
	s_and_saveexec_b64 s[36:37], s[30:31]
	s_cbranch_execz .LBB10_18
; %bb.24:                               ;   in Loop: Header=BB10_19 Depth=3
	v_lshl_add_u32 v13, v11, 2, 0
	ds_read_b32 v14, v13
	s_waitcnt lgkmcnt(0)
	v_cmp_eq_u32_e32 vcc, v14, v12
	s_orn2_b64 s[34:35], vcc, exec
	s_branch .LBB10_18
.LBB10_25:
	s_or_b64 exec, exec, s[0:1]
.LBB10_26:
	s_andn2_b64 vcc, exec, s[4:5]
	s_cbranch_vccnz .LBB10_41
; %bb.27:
	s_waitcnt lgkmcnt(0)
	s_ashr_i32 s73, s72, 31
	s_lshl_b64 s[0:1], s[72:73], 2
	s_add_u32 s0, s28, s0
	s_addc_u32 s1, s29, s1
	s_load_dwordx2 s[2:3], s[0:1], 0x0
	v_subrev_u32_e32 v2, s67, v0
	s_waitcnt lgkmcnt(0)
	s_sub_i32 s14, s3, s67
	v_add_u32_e32 v2, s2, v2
	v_cmp_gt_i32_e32 vcc, s14, v2
	s_and_saveexec_b64 s[0:1], vcc
	s_cbranch_execz .LBB10_40
; %bb.28:
	s_mov_b64 s[2:3], 0
	s_movk_i32 s15, 0x89
	s_branch .LBB10_31
.LBB10_29:                              ;   in Loop: Header=BB10_31 Depth=1
	s_or_b64 exec, exec, s[6:7]
.LBB10_30:                              ;   in Loop: Header=BB10_31 Depth=1
	s_or_b64 exec, exec, s[4:5]
	s_waitcnt vmcnt(0)
	v_mul_f32_e32 v3, v7, v3
	v_lshl_add_u32 v4, v4, 2, 0
	ds_add_f32 v4, v3 offset:16384
	v_add_u32_e32 v2, 0x400, v2
	v_cmp_le_i32_e32 vcc, s14, v2
	s_or_b64 s[2:3], vcc, s[2:3]
	s_andn2_b64 exec, exec, s[2:3]
	s_cbranch_execz .LBB10_40
.LBB10_31:                              ; =>This Loop Header: Depth=1
                                        ;     Child Loop BB10_34 Depth 2
	v_ashrrev_i32_e32 v3, 31, v2
	v_lshlrev_b64 v[4:5], 2, v[2:3]
	v_lshl_add_u64 v[8:9], s[16:17], 0, v[4:5]
	global_load_dword v8, v[8:9], off
	v_lshl_add_u64 v[4:5], s[18:19], 0, v[4:5]
	global_load_dword v3, v[4:5], off
	s_waitcnt vmcnt(1)
	v_subrev_u32_e32 v5, s67, v8
	v_mul_lo_u32 v4, v5, s15
	v_and_b32_e32 v4, 0xfff, v4
	v_lshl_add_u32 v8, v4, 2, 0
	ds_read_b32 v9, v8
	s_waitcnt lgkmcnt(0)
	v_cmp_ne_u32_e32 vcc, v9, v5
	s_and_saveexec_b64 s[4:5], vcc
	s_cbranch_execz .LBB10_30
; %bb.32:                               ;   in Loop: Header=BB10_31 Depth=1
	s_mov_b64 s[6:7], 0
	s_branch .LBB10_34
.LBB10_33:                              ;   in Loop: Header=BB10_34 Depth=2
	s_or_b64 exec, exec, s[12:13]
	s_and_b64 s[8:9], exec, s[10:11]
	s_or_b64 s[6:7], s[8:9], s[6:7]
	s_andn2_b64 exec, exec, s[6:7]
	s_cbranch_execz .LBB10_29
.LBB10_34:                              ;   Parent Loop BB10_31 Depth=1
                                        ; =>  This Inner Loop Header: Depth=2
	v_cmp_ne_u32_e32 vcc, s33, v9
	s_mov_b64 s[8:9], 0
	s_and_saveexec_b64 s[10:11], vcc
	s_xor_b64 s[10:11], exec, s[10:11]
	s_cbranch_execz .LBB10_36
; %bb.35:                               ;   in Loop: Header=BB10_34 Depth=2
	v_add_u32_e32 v4, 1, v4
	s_mov_b64 s[8:9], exec
	v_and_b32_e32 v4, 0xfff, v4
                                        ; implicit-def: $vgpr8
	s_andn2_saveexec_b64 s[10:11], s[10:11]
	s_cbranch_execz .LBB10_38
	s_branch .LBB10_37
.LBB10_36:                              ;   in Loop: Header=BB10_34 Depth=2
	s_andn2_saveexec_b64 s[10:11], s[10:11]
	s_cbranch_execz .LBB10_38
.LBB10_37:                              ;   in Loop: Header=BB10_34 Depth=2
	v_mov_b32_e32 v9, s33
	ds_cmpst_rtn_b32 v8, v8, v9, v5
	s_andn2_b64 s[8:9], s[8:9], exec
	s_waitcnt lgkmcnt(0)
	v_cmp_ne_u32_e32 vcc, s33, v8
	s_and_b64 s[12:13], vcc, exec
	s_or_b64 s[8:9], s[8:9], s[12:13]
.LBB10_38:                              ;   in Loop: Header=BB10_34 Depth=2
	s_or_b64 exec, exec, s[10:11]
	s_mov_b64 s[10:11], -1
                                        ; implicit-def: $vgpr8
                                        ; implicit-def: $vgpr9
	s_and_saveexec_b64 s[12:13], s[8:9]
	s_cbranch_execz .LBB10_33
; %bb.39:                               ;   in Loop: Header=BB10_34 Depth=2
	v_lshl_add_u32 v8, v4, 2, 0
	ds_read_b32 v9, v8
	s_waitcnt lgkmcnt(0)
	v_cmp_eq_u32_e32 vcc, v9, v5
	s_orn2_b64 s[10:11], vcc, exec
	s_branch .LBB10_33
.LBB10_40:
	s_or_b64 exec, exec, s[0:1]
.LBB10_41:
	v_mbcnt_lo_u32_b32 v2, -1, 0
	v_mbcnt_hi_u32_b32 v2, -1, v2
	v_lshrrev_b32_e32 v4, 3, v0
	v_sub_u32_e32 v2, 63, v2
	v_and_b32_e32 v4, 0x7c, v4
	s_movk_i32 s0, 0x3ff
	s_movk_i32 s4, 0x5f
	;; [unrolled: 1-line block ×30, first 2 shown]
	v_mov_b32_e32 v7, 0
	v_lshrrev_b64 v[2:3], v2, -1
	v_add_u32_e32 v8, 0, v4
	v_cmp_eq_u32_e32 vcc, s0, v0
	v_cmp_lt_u32_e64 s[0:1], 31, v0
	v_cmp_lt_u32_e64 s[2:3], 63, v0
	;; [unrolled: 1-line block ×31, first 2 shown]
	s_mov_b64 s[74:75], 0
	s_movk_i32 s67, 0xbff
	v_mov_b32_e32 v9, 0
	s_waitcnt lgkmcnt(0)
	s_barrier
	s_branch .LBB10_43
.LBB10_42:                              ;   in Loop: Header=BB10_43 Depth=1
	s_or_b64 exec, exec, s[64:65]
	s_waitcnt lgkmcnt(0)
	s_barrier
	ds_read_b32 v4, v7 offset:32892
	v_add_u32_e32 v1, 0x400, v1
	v_cmp_lt_u32_e64 s[64:65], s67, v1
	s_or_b64 s[74:75], s[64:65], s[74:75]
	v_add_u32_e32 v6, 0x1000, v6
	s_waitcnt lgkmcnt(0)
	v_add_u32_e32 v9, v4, v9
	s_andn2_b64 exec, exec, s[74:75]
	s_cbranch_execz .LBB10_109
.LBB10_43:                              ; =>This Inner Loop Header: Depth=1
	ds_read2st64_b32 v[4:5], v6 offset1:64
	s_waitcnt lgkmcnt(0)
	s_barrier
	v_cmp_gt_i32_e64 s[64:65], s33, v4
	s_bcnt1_i32_b64 s73, s[64:65]
	s_nop 0
	v_and_b32_e32 v11, s64, v2
	v_and_b32_e32 v10, s65, v3
	v_bcnt_u32_b32 v11, v11, 0
	v_bcnt_u32_b32 v10, v10, v11
	v_mov_b32_e32 v11, s73
	ds_write_b32 v8, v11 offset:32768
	s_waitcnt lgkmcnt(0)
	s_barrier
	s_and_saveexec_b64 s[76:77], s[0:1]
	s_cbranch_execz .LBB10_76
; %bb.44:                               ;   in Loop: Header=BB10_43 Depth=1
	ds_read_b32 v11, v7 offset:32768
	s_waitcnt lgkmcnt(0)
	v_add_u32_e32 v10, v11, v10
	s_or_b64 exec, exec, s[76:77]
	s_and_saveexec_b64 s[76:77], s[2:3]
	s_cbranch_execnz .LBB10_77
.LBB10_45:                              ;   in Loop: Header=BB10_43 Depth=1
	s_or_b64 exec, exec, s[76:77]
	s_and_saveexec_b64 s[76:77], s[4:5]
	s_cbranch_execz .LBB10_78
.LBB10_46:                              ;   in Loop: Header=BB10_43 Depth=1
	ds_read_b32 v11, v7 offset:32776
	s_waitcnt lgkmcnt(0)
	v_add_u32_e32 v10, v11, v10
	s_or_b64 exec, exec, s[76:77]
	s_and_saveexec_b64 s[76:77], s[6:7]
	s_cbranch_execnz .LBB10_79
.LBB10_47:                              ;   in Loop: Header=BB10_43 Depth=1
	s_or_b64 exec, exec, s[76:77]
	s_and_saveexec_b64 s[76:77], s[8:9]
	s_cbranch_execz .LBB10_80
.LBB10_48:                              ;   in Loop: Header=BB10_43 Depth=1
	ds_read_b32 v11, v7 offset:32784
	s_waitcnt lgkmcnt(0)
	v_add_u32_e32 v10, v11, v10
	s_or_b64 exec, exec, s[76:77]
	s_and_saveexec_b64 s[76:77], s[10:11]
	s_cbranch_execnz .LBB10_81
.LBB10_49:                              ;   in Loop: Header=BB10_43 Depth=1
	s_or_b64 exec, exec, s[76:77]
	s_and_saveexec_b64 s[76:77], s[12:13]
	s_cbranch_execz .LBB10_82
.LBB10_50:                              ;   in Loop: Header=BB10_43 Depth=1
	ds_read_b32 v11, v7 offset:32792
	s_waitcnt lgkmcnt(0)
	v_add_u32_e32 v10, v11, v10
	s_or_b64 exec, exec, s[76:77]
	s_and_saveexec_b64 s[76:77], s[14:15]
	s_cbranch_execnz .LBB10_83
.LBB10_51:                              ;   in Loop: Header=BB10_43 Depth=1
	s_or_b64 exec, exec, s[76:77]
	s_and_saveexec_b64 s[76:77], s[16:17]
	s_cbranch_execz .LBB10_84
.LBB10_52:                              ;   in Loop: Header=BB10_43 Depth=1
	ds_read_b32 v11, v7 offset:32800
	s_waitcnt lgkmcnt(0)
	v_add_u32_e32 v10, v11, v10
	s_or_b64 exec, exec, s[76:77]
	s_and_saveexec_b64 s[76:77], s[18:19]
	s_cbranch_execnz .LBB10_85
.LBB10_53:                              ;   in Loop: Header=BB10_43 Depth=1
	s_or_b64 exec, exec, s[76:77]
	s_and_saveexec_b64 s[76:77], s[20:21]
	s_cbranch_execz .LBB10_86
.LBB10_54:                              ;   in Loop: Header=BB10_43 Depth=1
	ds_read_b32 v11, v7 offset:32808
	s_waitcnt lgkmcnt(0)
	v_add_u32_e32 v10, v11, v10
	s_or_b64 exec, exec, s[76:77]
	s_and_saveexec_b64 s[76:77], s[22:23]
	s_cbranch_execnz .LBB10_87
.LBB10_55:                              ;   in Loop: Header=BB10_43 Depth=1
	s_or_b64 exec, exec, s[76:77]
	s_and_saveexec_b64 s[76:77], s[24:25]
	s_cbranch_execz .LBB10_88
.LBB10_56:                              ;   in Loop: Header=BB10_43 Depth=1
	ds_read_b32 v11, v7 offset:32816
	s_waitcnt lgkmcnt(0)
	v_add_u32_e32 v10, v11, v10
	s_or_b64 exec, exec, s[76:77]
	s_and_saveexec_b64 s[76:77], s[26:27]
	s_cbranch_execnz .LBB10_89
.LBB10_57:                              ;   in Loop: Header=BB10_43 Depth=1
	s_or_b64 exec, exec, s[76:77]
	s_and_saveexec_b64 s[76:77], s[28:29]
	s_cbranch_execz .LBB10_90
.LBB10_58:                              ;   in Loop: Header=BB10_43 Depth=1
	ds_read_b32 v11, v7 offset:32824
	s_waitcnt lgkmcnt(0)
	v_add_u32_e32 v10, v11, v10
	s_or_b64 exec, exec, s[76:77]
	s_and_saveexec_b64 s[76:77], s[30:31]
	s_cbranch_execnz .LBB10_91
.LBB10_59:                              ;   in Loop: Header=BB10_43 Depth=1
	s_or_b64 exec, exec, s[76:77]
	s_and_saveexec_b64 s[76:77], s[34:35]
	s_cbranch_execz .LBB10_92
.LBB10_60:                              ;   in Loop: Header=BB10_43 Depth=1
	ds_read_b32 v11, v7 offset:32832
	s_waitcnt lgkmcnt(0)
	v_add_u32_e32 v10, v11, v10
	s_or_b64 exec, exec, s[76:77]
	s_and_saveexec_b64 s[76:77], s[36:37]
	s_cbranch_execnz .LBB10_93
.LBB10_61:                              ;   in Loop: Header=BB10_43 Depth=1
	s_or_b64 exec, exec, s[76:77]
	s_and_saveexec_b64 s[76:77], s[38:39]
	s_cbranch_execz .LBB10_94
.LBB10_62:                              ;   in Loop: Header=BB10_43 Depth=1
	ds_read_b32 v11, v7 offset:32840
	s_waitcnt lgkmcnt(0)
	v_add_u32_e32 v10, v11, v10
	s_or_b64 exec, exec, s[76:77]
	s_and_saveexec_b64 s[76:77], s[40:41]
	s_cbranch_execnz .LBB10_95
.LBB10_63:                              ;   in Loop: Header=BB10_43 Depth=1
	s_or_b64 exec, exec, s[76:77]
	s_and_saveexec_b64 s[76:77], s[42:43]
	s_cbranch_execz .LBB10_96
.LBB10_64:                              ;   in Loop: Header=BB10_43 Depth=1
	ds_read_b32 v11, v7 offset:32848
	s_waitcnt lgkmcnt(0)
	v_add_u32_e32 v10, v11, v10
	s_or_b64 exec, exec, s[76:77]
	s_and_saveexec_b64 s[76:77], s[44:45]
	s_cbranch_execnz .LBB10_97
.LBB10_65:                              ;   in Loop: Header=BB10_43 Depth=1
	s_or_b64 exec, exec, s[76:77]
	s_and_saveexec_b64 s[76:77], s[46:47]
	s_cbranch_execz .LBB10_98
.LBB10_66:                              ;   in Loop: Header=BB10_43 Depth=1
	ds_read_b32 v11, v7 offset:32856
	s_waitcnt lgkmcnt(0)
	v_add_u32_e32 v10, v11, v10
	s_or_b64 exec, exec, s[76:77]
	s_and_saveexec_b64 s[76:77], s[48:49]
	s_cbranch_execnz .LBB10_99
.LBB10_67:                              ;   in Loop: Header=BB10_43 Depth=1
	s_or_b64 exec, exec, s[76:77]
	s_and_saveexec_b64 s[76:77], s[50:51]
	s_cbranch_execz .LBB10_100
.LBB10_68:                              ;   in Loop: Header=BB10_43 Depth=1
	ds_read_b32 v11, v7 offset:32864
	s_waitcnt lgkmcnt(0)
	v_add_u32_e32 v10, v11, v10
	s_or_b64 exec, exec, s[76:77]
	s_and_saveexec_b64 s[76:77], s[52:53]
	s_cbranch_execnz .LBB10_101
.LBB10_69:                              ;   in Loop: Header=BB10_43 Depth=1
	s_or_b64 exec, exec, s[76:77]
	s_and_saveexec_b64 s[76:77], s[54:55]
	s_cbranch_execz .LBB10_102
.LBB10_70:                              ;   in Loop: Header=BB10_43 Depth=1
	ds_read_b32 v11, v7 offset:32872
	s_waitcnt lgkmcnt(0)
	v_add_u32_e32 v10, v11, v10
	s_or_b64 exec, exec, s[76:77]
	s_and_saveexec_b64 s[76:77], s[56:57]
	s_cbranch_execnz .LBB10_103
.LBB10_71:                              ;   in Loop: Header=BB10_43 Depth=1
	s_or_b64 exec, exec, s[76:77]
	s_and_saveexec_b64 s[76:77], s[58:59]
	s_cbranch_execz .LBB10_104
.LBB10_72:                              ;   in Loop: Header=BB10_43 Depth=1
	ds_read_b32 v11, v7 offset:32880
	s_waitcnt lgkmcnt(0)
	v_add_u32_e32 v10, v11, v10
	s_or_b64 exec, exec, s[76:77]
	s_and_saveexec_b64 s[76:77], s[60:61]
	s_cbranch_execnz .LBB10_105
.LBB10_73:                              ;   in Loop: Header=BB10_43 Depth=1
	s_or_b64 exec, exec, s[76:77]
	s_and_saveexec_b64 s[76:77], s[62:63]
	s_cbranch_execz .LBB10_106
.LBB10_74:                              ;   in Loop: Header=BB10_43 Depth=1
	ds_read_b32 v11, v7 offset:32888
	s_waitcnt lgkmcnt(0)
	v_add_u32_e32 v10, v11, v10
	s_or_b64 exec, exec, s[76:77]
	s_and_saveexec_b64 s[76:77], s[64:65]
	s_cbranch_execnz .LBB10_107
.LBB10_75:                              ;   in Loop: Header=BB10_43 Depth=1
	s_or_b64 exec, exec, s[76:77]
	s_and_saveexec_b64 s[64:65], vcc
	s_cbranch_execz .LBB10_42
	s_branch .LBB10_108
.LBB10_76:                              ;   in Loop: Header=BB10_43 Depth=1
	s_or_b64 exec, exec, s[76:77]
	s_and_saveexec_b64 s[76:77], s[2:3]
	s_cbranch_execz .LBB10_45
.LBB10_77:                              ;   in Loop: Header=BB10_43 Depth=1
	ds_read_b32 v11, v7 offset:32772
	s_waitcnt lgkmcnt(0)
	v_add_u32_e32 v10, v11, v10
	s_or_b64 exec, exec, s[76:77]
	s_and_saveexec_b64 s[76:77], s[4:5]
	s_cbranch_execnz .LBB10_46
.LBB10_78:                              ;   in Loop: Header=BB10_43 Depth=1
	s_or_b64 exec, exec, s[76:77]
	s_and_saveexec_b64 s[76:77], s[6:7]
	s_cbranch_execz .LBB10_47
.LBB10_79:                              ;   in Loop: Header=BB10_43 Depth=1
	ds_read_b32 v11, v7 offset:32780
	s_waitcnt lgkmcnt(0)
	v_add_u32_e32 v10, v11, v10
	s_or_b64 exec, exec, s[76:77]
	s_and_saveexec_b64 s[76:77], s[8:9]
	s_cbranch_execnz .LBB10_48
.LBB10_80:                              ;   in Loop: Header=BB10_43 Depth=1
	s_or_b64 exec, exec, s[76:77]
	s_and_saveexec_b64 s[76:77], s[10:11]
	s_cbranch_execz .LBB10_49
.LBB10_81:                              ;   in Loop: Header=BB10_43 Depth=1
	ds_read_b32 v11, v7 offset:32788
	s_waitcnt lgkmcnt(0)
	v_add_u32_e32 v10, v11, v10
	s_or_b64 exec, exec, s[76:77]
	s_and_saveexec_b64 s[76:77], s[12:13]
	s_cbranch_execnz .LBB10_50
.LBB10_82:                              ;   in Loop: Header=BB10_43 Depth=1
	s_or_b64 exec, exec, s[76:77]
	s_and_saveexec_b64 s[76:77], s[14:15]
	s_cbranch_execz .LBB10_51
.LBB10_83:                              ;   in Loop: Header=BB10_43 Depth=1
	ds_read_b32 v11, v7 offset:32796
	s_waitcnt lgkmcnt(0)
	v_add_u32_e32 v10, v11, v10
	s_or_b64 exec, exec, s[76:77]
	s_and_saveexec_b64 s[76:77], s[16:17]
	s_cbranch_execnz .LBB10_52
.LBB10_84:                              ;   in Loop: Header=BB10_43 Depth=1
	s_or_b64 exec, exec, s[76:77]
	s_and_saveexec_b64 s[76:77], s[18:19]
	s_cbranch_execz .LBB10_53
.LBB10_85:                              ;   in Loop: Header=BB10_43 Depth=1
	ds_read_b32 v11, v7 offset:32804
	s_waitcnt lgkmcnt(0)
	v_add_u32_e32 v10, v11, v10
	s_or_b64 exec, exec, s[76:77]
	s_and_saveexec_b64 s[76:77], s[20:21]
	s_cbranch_execnz .LBB10_54
.LBB10_86:                              ;   in Loop: Header=BB10_43 Depth=1
	s_or_b64 exec, exec, s[76:77]
	s_and_saveexec_b64 s[76:77], s[22:23]
	s_cbranch_execz .LBB10_55
.LBB10_87:                              ;   in Loop: Header=BB10_43 Depth=1
	ds_read_b32 v11, v7 offset:32812
	s_waitcnt lgkmcnt(0)
	v_add_u32_e32 v10, v11, v10
	s_or_b64 exec, exec, s[76:77]
	s_and_saveexec_b64 s[76:77], s[24:25]
	s_cbranch_execnz .LBB10_56
.LBB10_88:                              ;   in Loop: Header=BB10_43 Depth=1
	s_or_b64 exec, exec, s[76:77]
	s_and_saveexec_b64 s[76:77], s[26:27]
	s_cbranch_execz .LBB10_57
.LBB10_89:                              ;   in Loop: Header=BB10_43 Depth=1
	ds_read_b32 v11, v7 offset:32820
	s_waitcnt lgkmcnt(0)
	v_add_u32_e32 v10, v11, v10
	s_or_b64 exec, exec, s[76:77]
	s_and_saveexec_b64 s[76:77], s[28:29]
	s_cbranch_execnz .LBB10_58
.LBB10_90:                              ;   in Loop: Header=BB10_43 Depth=1
	s_or_b64 exec, exec, s[76:77]
	s_and_saveexec_b64 s[76:77], s[30:31]
	s_cbranch_execz .LBB10_59
.LBB10_91:                              ;   in Loop: Header=BB10_43 Depth=1
	ds_read_b32 v11, v7 offset:32828
	s_waitcnt lgkmcnt(0)
	v_add_u32_e32 v10, v11, v10
	s_or_b64 exec, exec, s[76:77]
	s_and_saveexec_b64 s[76:77], s[34:35]
	s_cbranch_execnz .LBB10_60
.LBB10_92:                              ;   in Loop: Header=BB10_43 Depth=1
	s_or_b64 exec, exec, s[76:77]
	s_and_saveexec_b64 s[76:77], s[36:37]
	s_cbranch_execz .LBB10_61
.LBB10_93:                              ;   in Loop: Header=BB10_43 Depth=1
	ds_read_b32 v11, v7 offset:32836
	s_waitcnt lgkmcnt(0)
	v_add_u32_e32 v10, v11, v10
	s_or_b64 exec, exec, s[76:77]
	s_and_saveexec_b64 s[76:77], s[38:39]
	s_cbranch_execnz .LBB10_62
.LBB10_94:                              ;   in Loop: Header=BB10_43 Depth=1
	s_or_b64 exec, exec, s[76:77]
	s_and_saveexec_b64 s[76:77], s[40:41]
	s_cbranch_execz .LBB10_63
.LBB10_95:                              ;   in Loop: Header=BB10_43 Depth=1
	ds_read_b32 v11, v7 offset:32844
	s_waitcnt lgkmcnt(0)
	v_add_u32_e32 v10, v11, v10
	s_or_b64 exec, exec, s[76:77]
	s_and_saveexec_b64 s[76:77], s[42:43]
	s_cbranch_execnz .LBB10_64
.LBB10_96:                              ;   in Loop: Header=BB10_43 Depth=1
	s_or_b64 exec, exec, s[76:77]
	s_and_saveexec_b64 s[76:77], s[44:45]
	s_cbranch_execz .LBB10_65
.LBB10_97:                              ;   in Loop: Header=BB10_43 Depth=1
	ds_read_b32 v11, v7 offset:32852
	s_waitcnt lgkmcnt(0)
	v_add_u32_e32 v10, v11, v10
	s_or_b64 exec, exec, s[76:77]
	s_and_saveexec_b64 s[76:77], s[46:47]
	s_cbranch_execnz .LBB10_66
.LBB10_98:                              ;   in Loop: Header=BB10_43 Depth=1
	s_or_b64 exec, exec, s[76:77]
	s_and_saveexec_b64 s[76:77], s[48:49]
	s_cbranch_execz .LBB10_67
.LBB10_99:                              ;   in Loop: Header=BB10_43 Depth=1
	ds_read_b32 v11, v7 offset:32860
	s_waitcnt lgkmcnt(0)
	v_add_u32_e32 v10, v11, v10
	s_or_b64 exec, exec, s[76:77]
	s_and_saveexec_b64 s[76:77], s[50:51]
	s_cbranch_execnz .LBB10_68
.LBB10_100:                             ;   in Loop: Header=BB10_43 Depth=1
	s_or_b64 exec, exec, s[76:77]
	s_and_saveexec_b64 s[76:77], s[52:53]
	s_cbranch_execz .LBB10_69
.LBB10_101:                             ;   in Loop: Header=BB10_43 Depth=1
	ds_read_b32 v11, v7 offset:32868
	s_waitcnt lgkmcnt(0)
	v_add_u32_e32 v10, v11, v10
	s_or_b64 exec, exec, s[76:77]
	s_and_saveexec_b64 s[76:77], s[54:55]
	s_cbranch_execnz .LBB10_70
.LBB10_102:                             ;   in Loop: Header=BB10_43 Depth=1
	s_or_b64 exec, exec, s[76:77]
	s_and_saveexec_b64 s[76:77], s[56:57]
	s_cbranch_execz .LBB10_71
.LBB10_103:                             ;   in Loop: Header=BB10_43 Depth=1
	ds_read_b32 v11, v7 offset:32876
	s_waitcnt lgkmcnt(0)
	v_add_u32_e32 v10, v11, v10
	s_or_b64 exec, exec, s[76:77]
	s_and_saveexec_b64 s[76:77], s[58:59]
	s_cbranch_execnz .LBB10_72
.LBB10_104:                             ;   in Loop: Header=BB10_43 Depth=1
	s_or_b64 exec, exec, s[76:77]
	s_and_saveexec_b64 s[76:77], s[60:61]
	s_cbranch_execz .LBB10_73
.LBB10_105:                             ;   in Loop: Header=BB10_43 Depth=1
	ds_read_b32 v11, v7 offset:32884
	s_waitcnt lgkmcnt(0)
	v_add_u32_e32 v10, v11, v10
	s_or_b64 exec, exec, s[76:77]
	s_and_saveexec_b64 s[76:77], s[62:63]
	s_cbranch_execnz .LBB10_74
.LBB10_106:                             ;   in Loop: Header=BB10_43 Depth=1
	s_or_b64 exec, exec, s[76:77]
	s_and_saveexec_b64 s[76:77], s[64:65]
	s_cbranch_execz .LBB10_75
.LBB10_107:                             ;   in Loop: Header=BB10_43 Depth=1
	v_add3_u32 v11, v9, -1, v10
	v_lshl_add_u32 v11, v11, 2, 0
	v_add_u32_e32 v12, v9, v10
	v_lshl_add_u32 v12, v12, 2, 0
	ds_write_b32 v11, v4
	ds_write_b32 v12, v5 offset:16380
	s_or_b64 exec, exec, s[76:77]
	s_and_saveexec_b64 s[64:65], vcc
	s_cbranch_execz .LBB10_42
.LBB10_108:                             ;   in Loop: Header=BB10_43 Depth=1
	ds_write_b32 v7, v10 offset:32892
	s_branch .LBB10_42
.LBB10_109:
	s_or_b64 exec, exec, s[74:75]
	s_ashr_i32 s73, s72, 31
	s_lshl_b64 s[0:1], s[72:73], 2
	s_add_u32 s2, s70, s0
	s_addc_u32 s3, s71, s1
	s_load_dwordx2 s[0:1], s[2:3], 0x0
	s_waitcnt lgkmcnt(0)
	s_sub_i32 s14, s1, s0
	v_cmp_gt_i32_e32 vcc, s14, v0
	s_and_saveexec_b64 s[2:3], vcc
	s_cbranch_execz .LBB10_123
; %bb.110:
	s_sub_i32 s8, s0, s66
	v_sub_co_u32_e64 v1, s[0:1], s14, 2
	s_nop 0
	v_readfirstlane_b32 s2, v1
	s_lshr_b32 s2, s2, 1
	s_add_i32 s2, s2, 1
	s_xor_b64 s[0:1], s[0:1], -1
	s_and_b32 s15, s14, -2
	s_and_b32 s3, s2, 7
	s_and_b32 s16, s2, -8
	s_cmp_lg_u32 s3, 0
	v_cmp_lt_u32_e32 vcc, 13, v1
	s_cselect_b64 s[4:5], -1, 0
	s_cmp_lg_u32 s14, s15
	v_cndmask_b32_e64 v1, 0, 1, vcc
	s_cselect_b64 s[10:11], -1, 0
	s_lshl_b32 s17, s3, 3
	v_cndmask_b32_e64 v2, 0, 1, s[0:1]
	v_cmp_ne_u32_e64 s[2:3], 1, v1
	v_cndmask_b32_e64 v1, 0, 1, s[4:5]
	s_mov_b32 s9, 0
	s_mov_b64 s[12:13], 0
	v_cmp_ne_u32_e64 s[0:1], 1, v2
	v_cmp_ne_u32_e64 s[4:5], 1, v1
	s_branch .LBB10_112
.LBB10_111:                             ;   in Loop: Header=BB10_112 Depth=1
	v_add_u32_e32 v0, 0x400, v0
	v_ashrrev_i32_e32 v5, 31, v4
	v_cmp_le_i32_e32 vcc, s14, v0
	v_lshl_add_u64 v[4:5], v[4:5], 2, s[68:69]
	s_or_b64 s[12:13], vcc, s[12:13]
	s_waitcnt lgkmcnt(0)
	global_store_dword v[4:5], v3, off
	s_andn2_b64 exec, exec, s[12:13]
	s_cbranch_execz .LBB10_123
.LBB10_112:                             ; =>This Loop Header: Depth=1
                                        ;     Child Loop BB10_115 Depth 2
                                        ;     Child Loop BB10_118 Depth 2
	;; [unrolled: 1-line block ×3, first 2 shown]
	v_lshl_add_u32 v1, v0, 2, 0
	ds_read2st64_b32 v[2:3], v1 offset1:64
	s_and_b64 vcc, exec, s[0:1]
	v_mov_b32_e32 v4, s8
	s_mov_b32 s18, 0
	s_mov_b64 s[6:7], -1
	s_cbranch_vccnz .LBB10_120
; %bb.113:                              ;   in Loop: Header=BB10_112 Depth=1
	s_and_b64 vcc, exec, s[2:3]
	v_mov_b64_e32 v[4:5], s[8:9]
	s_cbranch_vccnz .LBB10_116
; %bb.114:                              ;   in Loop: Header=BB10_112 Depth=1
	s_mov_b32 s19, 0
	v_mov_b32_e32 v4, s8
	v_mov_b32_e32 v5, 0
	s_mov_b32 s20, s16
.LBB10_115:                             ;   Parent Loop BB10_112 Depth=1
                                        ; =>  This Inner Loop Header: Depth=2
	v_mov_b32_e32 v1, s19
	ds_read2_b32 v[6:7], v1 offset1:1
	ds_read2_b32 v[8:9], v1 offset0:2 offset1:3
	ds_read2_b32 v[10:11], v1 offset0:4 offset1:5
	;; [unrolled: 1-line block ×7, first 2 shown]
	s_waitcnt lgkmcnt(7)
	v_cmp_gt_i32_e32 vcc, v2, v7
	s_waitcnt lgkmcnt(5)
	v_cmp_gt_i32_e64 s[6:7], v2, v10
	s_add_i32 s18, s18, 16
	v_cndmask_b32_e64 v1, 0, 1, vcc
	v_cmp_gt_i32_e32 vcc, v2, v6
	v_cndmask_b32_e64 v7, 0, 1, s[6:7]
	v_cmp_gt_i32_e64 s[6:7], v2, v11
	v_cndmask_b32_e64 v6, 0, 1, vcc
	v_cmp_gt_i32_e32 vcc, v2, v9
	v_cndmask_b32_e64 v9, 0, 1, s[6:7]
	s_waitcnt lgkmcnt(3)
	v_cmp_gt_i32_e64 s[6:7], v2, v15
	v_addc_co_u32_e32 v1, vcc, v5, v1, vcc
	s_nop 0
	v_cndmask_b32_e64 v10, 0, 1, s[6:7]
	v_cmp_gt_i32_e64 s[6:7], v2, v14
	v_cmp_gt_i32_e32 vcc, v2, v12
	s_add_i32 s19, s19, 64
	v_cndmask_b32_e64 v11, 0, 1, s[6:7]
	s_waitcnt lgkmcnt(1)
	v_cmp_gt_i32_e64 s[6:7], v2, v18
	s_add_i32 s20, s20, -8
	s_cmp_lg_u32 s20, 0
	v_cndmask_b32_e64 v14, 0, 1, s[6:7]
	v_cmp_gt_i32_e64 s[6:7], v2, v19
	s_nop 1
	v_cndmask_b32_e64 v15, 0, 1, s[6:7]
	v_cmp_gt_i32_e64 s[6:7], v2, v8
	s_nop 1
	v_addc_co_u32_e64 v4, s[6:7], v4, v6, s[6:7]
	v_cmp_gt_i32_e64 s[6:7], v2, v13
	v_addc_co_u32_e32 v4, vcc, v4, v7, vcc
	s_nop 0
	v_addc_co_u32_e64 v1, s[6:7], v1, v9, s[6:7]
	v_cmp_gt_i32_e32 vcc, v2, v17
	v_cmp_gt_i32_e64 s[6:7], v2, v16
	s_nop 0
	v_addc_co_u32_e32 v1, vcc, v1, v10, vcc
	v_addc_co_u32_e64 v4, s[6:7], v4, v11, s[6:7]
	s_waitcnt lgkmcnt(0)
	v_cmp_gt_i32_e32 vcc, v2, v20
	v_cmp_gt_i32_e64 s[6:7], v2, v21
	s_nop 0
	v_addc_co_u32_e32 v4, vcc, v4, v14, vcc
	v_addc_co_u32_e64 v5, s[6:7], v1, v15, s[6:7]
	s_cbranch_scc1 .LBB10_115
.LBB10_116:                             ;   in Loop: Header=BB10_112 Depth=1
	s_and_b64 vcc, exec, s[4:5]
	s_cbranch_vccnz .LBB10_119
; %bb.117:                              ;   in Loop: Header=BB10_112 Depth=1
	s_lshl_b32 s6, s18, 2
	s_add_i32 s6, s6, 0
	s_mov_b32 s7, s17
.LBB10_118:                             ;   Parent Loop BB10_112 Depth=1
                                        ; =>  This Inner Loop Header: Depth=2
	v_mov_b32_e32 v1, s6
	ds_read2_b32 v[6:7], v1 offset1:1
	s_add_i32 s6, s6, 8
	s_add_i32 s7, s7, -8
	s_cmp_lg_u32 s7, 0
	s_waitcnt lgkmcnt(0)
	v_cmp_gt_i32_e32 vcc, v2, v7
	s_nop 1
	v_addc_co_u32_e32 v5, vcc, 0, v5, vcc
	v_cmp_gt_i32_e32 vcc, v2, v6
	s_nop 1
	v_addc_co_u32_e32 v4, vcc, 0, v4, vcc
	s_cbranch_scc1 .LBB10_118
.LBB10_119:                             ;   in Loop: Header=BB10_112 Depth=1
	v_add_u32_e32 v4, v4, v5
	s_mov_b32 s18, s15
	s_mov_b64 s[6:7], s[10:11]
.LBB10_120:                             ;   in Loop: Header=BB10_112 Depth=1
	s_and_b64 vcc, exec, s[6:7]
	s_cbranch_vccz .LBB10_111
; %bb.121:                              ;   in Loop: Header=BB10_112 Depth=1
	s_lshl_b32 s6, s18, 2
	s_add_i32 s6, s6, 0
.LBB10_122:                             ;   Parent Loop BB10_112 Depth=1
                                        ; =>  This Inner Loop Header: Depth=2
	v_mov_b32_e32 v1, s6
	ds_read_b32 v1, v1
	s_add_i32 s18, s18, 1
	s_add_i32 s6, s6, 4
	s_cmp_ge_i32 s18, s14
	s_waitcnt lgkmcnt(0)
	v_cmp_gt_i32_e32 vcc, v2, v1
	s_nop 1
	v_addc_co_u32_e32 v4, vcc, 0, v4, vcc
	s_cbranch_scc0 .LBB10_122
	s_branch .LBB10_111
.LBB10_123:
	s_endpgm
	.section	.rodata,"a",@progbits
	.p2align	6, 0x0
	.amdhsa_kernel _ZN9rocsparseL41csrgemm_numeric_fill_block_per_row_kernelILj1024ELj64ELj4096ELj137ELj32EiifEEvT5_PKS1_S3_NS_24const_host_device_scalarIT6_EEPKT4_S3_PKS5_S9_S3_SB_S6_S9_S3_SB_S9_S3_PS5_21rocsparse_index_base_SD_SD_SD_bbb
		.amdhsa_group_segment_fixed_size 0
		.amdhsa_private_segment_fixed_size 0
		.amdhsa_kernarg_size 156
		.amdhsa_user_sgpr_count 2
		.amdhsa_user_sgpr_dispatch_ptr 0
		.amdhsa_user_sgpr_queue_ptr 0
		.amdhsa_user_sgpr_kernarg_segment_ptr 1
		.amdhsa_user_sgpr_dispatch_id 0
		.amdhsa_user_sgpr_kernarg_preload_length 0
		.amdhsa_user_sgpr_kernarg_preload_offset 0
		.amdhsa_user_sgpr_private_segment_size 0
		.amdhsa_uses_dynamic_stack 0
		.amdhsa_enable_private_segment 0
		.amdhsa_system_sgpr_workgroup_id_x 1
		.amdhsa_system_sgpr_workgroup_id_y 0
		.amdhsa_system_sgpr_workgroup_id_z 0
		.amdhsa_system_sgpr_workgroup_info 0
		.amdhsa_system_vgpr_workitem_id 0
		.amdhsa_next_free_vgpr 22
		.amdhsa_next_free_sgpr 78
		.amdhsa_accum_offset 24
		.amdhsa_reserve_vcc 1
		.amdhsa_float_round_mode_32 0
		.amdhsa_float_round_mode_16_64 0
		.amdhsa_float_denorm_mode_32 3
		.amdhsa_float_denorm_mode_16_64 3
		.amdhsa_dx10_clamp 1
		.amdhsa_ieee_mode 1
		.amdhsa_fp16_overflow 0
		.amdhsa_tg_split 0
		.amdhsa_exception_fp_ieee_invalid_op 0
		.amdhsa_exception_fp_denorm_src 0
		.amdhsa_exception_fp_ieee_div_zero 0
		.amdhsa_exception_fp_ieee_overflow 0
		.amdhsa_exception_fp_ieee_underflow 0
		.amdhsa_exception_fp_ieee_inexact 0
		.amdhsa_exception_int_div_zero 0
	.end_amdhsa_kernel
	.section	.text._ZN9rocsparseL41csrgemm_numeric_fill_block_per_row_kernelILj1024ELj64ELj4096ELj137ELj32EiifEEvT5_PKS1_S3_NS_24const_host_device_scalarIT6_EEPKT4_S3_PKS5_S9_S3_SB_S6_S9_S3_SB_S9_S3_PS5_21rocsparse_index_base_SD_SD_SD_bbb,"axG",@progbits,_ZN9rocsparseL41csrgemm_numeric_fill_block_per_row_kernelILj1024ELj64ELj4096ELj137ELj32EiifEEvT5_PKS1_S3_NS_24const_host_device_scalarIT6_EEPKT4_S3_PKS5_S9_S3_SB_S6_S9_S3_SB_S9_S3_PS5_21rocsparse_index_base_SD_SD_SD_bbb,comdat
.Lfunc_end10:
	.size	_ZN9rocsparseL41csrgemm_numeric_fill_block_per_row_kernelILj1024ELj64ELj4096ELj137ELj32EiifEEvT5_PKS1_S3_NS_24const_host_device_scalarIT6_EEPKT4_S3_PKS5_S9_S3_SB_S6_S9_S3_SB_S9_S3_PS5_21rocsparse_index_base_SD_SD_SD_bbb, .Lfunc_end10-_ZN9rocsparseL41csrgemm_numeric_fill_block_per_row_kernelILj1024ELj64ELj4096ELj137ELj32EiifEEvT5_PKS1_S3_NS_24const_host_device_scalarIT6_EEPKT4_S3_PKS5_S9_S3_SB_S6_S9_S3_SB_S9_S3_PS5_21rocsparse_index_base_SD_SD_SD_bbb
                                        ; -- End function
	.set _ZN9rocsparseL41csrgemm_numeric_fill_block_per_row_kernelILj1024ELj64ELj4096ELj137ELj32EiifEEvT5_PKS1_S3_NS_24const_host_device_scalarIT6_EEPKT4_S3_PKS5_S9_S3_SB_S6_S9_S3_SB_S9_S3_PS5_21rocsparse_index_base_SD_SD_SD_bbb.num_vgpr, 22
	.set _ZN9rocsparseL41csrgemm_numeric_fill_block_per_row_kernelILj1024ELj64ELj4096ELj137ELj32EiifEEvT5_PKS1_S3_NS_24const_host_device_scalarIT6_EEPKT4_S3_PKS5_S9_S3_SB_S6_S9_S3_SB_S9_S3_PS5_21rocsparse_index_base_SD_SD_SD_bbb.num_agpr, 0
	.set _ZN9rocsparseL41csrgemm_numeric_fill_block_per_row_kernelILj1024ELj64ELj4096ELj137ELj32EiifEEvT5_PKS1_S3_NS_24const_host_device_scalarIT6_EEPKT4_S3_PKS5_S9_S3_SB_S6_S9_S3_SB_S9_S3_PS5_21rocsparse_index_base_SD_SD_SD_bbb.numbered_sgpr, 78
	.set _ZN9rocsparseL41csrgemm_numeric_fill_block_per_row_kernelILj1024ELj64ELj4096ELj137ELj32EiifEEvT5_PKS1_S3_NS_24const_host_device_scalarIT6_EEPKT4_S3_PKS5_S9_S3_SB_S6_S9_S3_SB_S9_S3_PS5_21rocsparse_index_base_SD_SD_SD_bbb.num_named_barrier, 0
	.set _ZN9rocsparseL41csrgemm_numeric_fill_block_per_row_kernelILj1024ELj64ELj4096ELj137ELj32EiifEEvT5_PKS1_S3_NS_24const_host_device_scalarIT6_EEPKT4_S3_PKS5_S9_S3_SB_S6_S9_S3_SB_S9_S3_PS5_21rocsparse_index_base_SD_SD_SD_bbb.private_seg_size, 0
	.set _ZN9rocsparseL41csrgemm_numeric_fill_block_per_row_kernelILj1024ELj64ELj4096ELj137ELj32EiifEEvT5_PKS1_S3_NS_24const_host_device_scalarIT6_EEPKT4_S3_PKS5_S9_S3_SB_S6_S9_S3_SB_S9_S3_PS5_21rocsparse_index_base_SD_SD_SD_bbb.uses_vcc, 1
	.set _ZN9rocsparseL41csrgemm_numeric_fill_block_per_row_kernelILj1024ELj64ELj4096ELj137ELj32EiifEEvT5_PKS1_S3_NS_24const_host_device_scalarIT6_EEPKT4_S3_PKS5_S9_S3_SB_S6_S9_S3_SB_S9_S3_PS5_21rocsparse_index_base_SD_SD_SD_bbb.uses_flat_scratch, 0
	.set _ZN9rocsparseL41csrgemm_numeric_fill_block_per_row_kernelILj1024ELj64ELj4096ELj137ELj32EiifEEvT5_PKS1_S3_NS_24const_host_device_scalarIT6_EEPKT4_S3_PKS5_S9_S3_SB_S6_S9_S3_SB_S9_S3_PS5_21rocsparse_index_base_SD_SD_SD_bbb.has_dyn_sized_stack, 0
	.set _ZN9rocsparseL41csrgemm_numeric_fill_block_per_row_kernelILj1024ELj64ELj4096ELj137ELj32EiifEEvT5_PKS1_S3_NS_24const_host_device_scalarIT6_EEPKT4_S3_PKS5_S9_S3_SB_S6_S9_S3_SB_S9_S3_PS5_21rocsparse_index_base_SD_SD_SD_bbb.has_recursion, 0
	.set _ZN9rocsparseL41csrgemm_numeric_fill_block_per_row_kernelILj1024ELj64ELj4096ELj137ELj32EiifEEvT5_PKS1_S3_NS_24const_host_device_scalarIT6_EEPKT4_S3_PKS5_S9_S3_SB_S6_S9_S3_SB_S9_S3_PS5_21rocsparse_index_base_SD_SD_SD_bbb.has_indirect_call, 0
	.section	.AMDGPU.csdata,"",@progbits
; Kernel info:
; codeLenInByte = 4000
; TotalNumSgprs: 84
; NumVgprs: 22
; NumAgprs: 0
; TotalNumVgprs: 22
; ScratchSize: 0
; MemoryBound: 0
; FloatMode: 240
; IeeeMode: 1
; LDSByteSize: 0 bytes/workgroup (compile time only)
; SGPRBlocks: 10
; VGPRBlocks: 2
; NumSGPRsForWavesPerEU: 84
; NumVGPRsForWavesPerEU: 22
; AccumOffset: 24
; Occupancy: 8
; WaveLimiterHint : 1
; COMPUTE_PGM_RSRC2:SCRATCH_EN: 0
; COMPUTE_PGM_RSRC2:USER_SGPR: 2
; COMPUTE_PGM_RSRC2:TRAP_HANDLER: 0
; COMPUTE_PGM_RSRC2:TGID_X_EN: 1
; COMPUTE_PGM_RSRC2:TGID_Y_EN: 0
; COMPUTE_PGM_RSRC2:TGID_Z_EN: 0
; COMPUTE_PGM_RSRC2:TIDIG_COMP_CNT: 0
; COMPUTE_PGM_RSRC3_GFX90A:ACCUM_OFFSET: 5
; COMPUTE_PGM_RSRC3_GFX90A:TG_SPLIT: 0
	.section	.text._ZN9rocsparseL41csrgemm_numeric_fill_block_per_row_kernelILj1024ELj64ELj4096ELj137ELj64EiifEEvT5_PKS1_S3_NS_24const_host_device_scalarIT6_EEPKT4_S3_PKS5_S9_S3_SB_S6_S9_S3_SB_S9_S3_PS5_21rocsparse_index_base_SD_SD_SD_bbb,"axG",@progbits,_ZN9rocsparseL41csrgemm_numeric_fill_block_per_row_kernelILj1024ELj64ELj4096ELj137ELj64EiifEEvT5_PKS1_S3_NS_24const_host_device_scalarIT6_EEPKT4_S3_PKS5_S9_S3_SB_S6_S9_S3_SB_S9_S3_PS5_21rocsparse_index_base_SD_SD_SD_bbb,comdat
	.globl	_ZN9rocsparseL41csrgemm_numeric_fill_block_per_row_kernelILj1024ELj64ELj4096ELj137ELj64EiifEEvT5_PKS1_S3_NS_24const_host_device_scalarIT6_EEPKT4_S3_PKS5_S9_S3_SB_S6_S9_S3_SB_S9_S3_PS5_21rocsparse_index_base_SD_SD_SD_bbb ; -- Begin function _ZN9rocsparseL41csrgemm_numeric_fill_block_per_row_kernelILj1024ELj64ELj4096ELj137ELj64EiifEEvT5_PKS1_S3_NS_24const_host_device_scalarIT6_EEPKT4_S3_PKS5_S9_S3_SB_S6_S9_S3_SB_S9_S3_PS5_21rocsparse_index_base_SD_SD_SD_bbb
	.p2align	8
	.type	_ZN9rocsparseL41csrgemm_numeric_fill_block_per_row_kernelILj1024ELj64ELj4096ELj137ELj64EiifEEvT5_PKS1_S3_NS_24const_host_device_scalarIT6_EEPKT4_S3_PKS5_S9_S3_SB_S6_S9_S3_SB_S9_S3_PS5_21rocsparse_index_base_SD_SD_SD_bbb,@function
_ZN9rocsparseL41csrgemm_numeric_fill_block_per_row_kernelILj1024ELj64ELj4096ELj137ELj64EiifEEvT5_PKS1_S3_NS_24const_host_device_scalarIT6_EEPKT4_S3_PKS5_S9_S3_SB_S6_S9_S3_SB_S9_S3_PS5_21rocsparse_index_base_SD_SD_SD_bbb: ; @_ZN9rocsparseL41csrgemm_numeric_fill_block_per_row_kernelILj1024ELj64ELj4096ELj137ELj64EiifEEvT5_PKS1_S3_NS_24const_host_device_scalarIT6_EEPKT4_S3_PKS5_S9_S3_SB_S6_S9_S3_SB_S9_S3_PS5_21rocsparse_index_base_SD_SD_SD_bbb
; %bb.0:
	s_load_dword s3, s[0:1], 0x98
	s_load_dwordx4 s[36:39], s[0:1], 0x88
	s_load_dwordx2 s[4:5], s[0:1], 0x18
	s_load_dwordx2 s[16:17], s[0:1], 0x50
	s_waitcnt lgkmcnt(0)
	s_bitcmp1_b32 s3, 0
	s_cselect_b64 s[6:7], -1, 0
	s_bitcmp1_b32 s3, 16
	s_cselect_b64 s[18:19], -1, 0
	s_xor_b64 s[8:9], s[6:7], -1
	s_or_b64 s[8:9], s[18:19], s[8:9]
	s_and_b64 vcc, exec, s[8:9]
	s_cbranch_vccnz .LBB11_2
; %bb.1:
	s_load_dword s4, s[4:5], 0x0
	s_waitcnt lgkmcnt(0)
	v_mov_b32_e32 v9, s4
	s_branch .LBB11_3
.LBB11_2:
	v_mov_b32_e32 v1, s4
	v_cndmask_b32_e64 v9, 0, v1, s[6:7]
.LBB11_3:
	s_load_dwordx2 s[34:35], s[0:1], 0x80
	s_load_dwordx2 s[40:41], s[0:1], 0x70
	;; [unrolled: 1-line block ×3, first 2 shown]
	s_load_dwordx4 s[24:27], s[0:1], 0x8
	s_load_dwordx8 s[8:15], s[0:1], 0x20
	s_bitcmp1_b32 s3, 8
	s_cselect_b64 s[4:5], -1, 0
	s_xor_b64 s[20:21], s[4:5], -1
	s_or_b64 s[18:19], s[18:19], s[20:21]
	s_and_b64 vcc, exec, s[18:19]
	s_cbranch_vccnz .LBB11_5
; %bb.4:
	s_load_dword s3, s[16:17], 0x0
	s_waitcnt lgkmcnt(0)
	v_mov_b32_e32 v7, s3
	s_branch .LBB11_6
.LBB11_5:
	v_mov_b32_e32 v1, s16
	v_cndmask_b32_e64 v7, 0, v1, s[4:5]
.LBB11_6:
	s_load_dwordx4 s[20:23], s[0:1], 0x40
	s_load_dword s33, s[0:1], 0x0
	s_load_dwordx4 s[16:19], s[0:1], 0x60
	v_or_b32_e32 v1, 0xfffffc00, v0
	v_lshl_add_u32 v6, v0, 2, 0
	s_mov_b64 s[0:1], 0
	s_waitcnt lgkmcnt(0)
	v_mov_b32_e32 v2, s33
	v_mov_b32_e32 v3, 0
	s_movk_i32 s3, 0xbff
	v_mov_b32_e32 v4, v6
	v_mov_b32_e32 v5, v1
.LBB11_7:                               ; =>This Inner Loop Header: Depth=1
	v_add_u32_e32 v5, 0x400, v5
	v_cmp_lt_u32_e32 vcc, s3, v5
	ds_write2st64_b32 v4, v2, v3 offset1:64
	s_or_b64 s[0:1], vcc, s[0:1]
	v_add_u32_e32 v4, 0x1000, v4
	s_andn2_b64 exec, exec, s[0:1]
	s_cbranch_execnz .LBB11_7
; %bb.8:
	s_or_b64 exec, exec, s[0:1]
	s_waitcnt lgkmcnt(0)
	s_barrier
	s_load_dword s0, s[24:25], 0x0
	s_mov_b32 s1, 0
	v_lshrrev_b32_e32 v8, 6, v0
	s_waitcnt lgkmcnt(0)
	s_add_i32 s0, s0, s2
	s_lshl_b64 s[0:1], s[0:1], 2
	s_add_u32 s0, s26, s0
	s_addc_u32 s1, s27, s1
	s_load_dword s42, s[0:1], 0x0
	s_and_b64 vcc, exec, s[6:7]
	s_cbranch_vccz .LBB11_26
; %bb.9:
	s_waitcnt lgkmcnt(0)
	s_ashr_i32 s43, s42, 31
	s_lshl_b64 s[0:1], s[42:43], 2
	s_add_u32 s0, s8, s0
	s_addc_u32 s1, s9, s1
	s_load_dwordx2 s[2:3], s[0:1], 0x0
	v_subrev_u32_e32 v2, s36, v8
	s_waitcnt lgkmcnt(0)
	s_sub_i32 s43, s3, s36
	v_add_u32_e32 v2, s2, v2
	v_cmp_gt_i32_e32 vcc, s43, v2
	s_and_saveexec_b64 s[0:1], vcc
	s_cbranch_execz .LBB11_25
; %bb.10:
	v_and_b32_e32 v3, 63, v0
	v_subrev_u32_e32 v10, s37, v3
	s_mov_b64 s[2:3], 0
	s_movk_i32 s48, 0x89
	s_branch .LBB11_12
.LBB11_11:                              ;   in Loop: Header=BB11_12 Depth=1
	s_or_b64 exec, exec, s[6:7]
	v_add_u32_e32 v2, 16, v2
	v_cmp_le_i32_e32 vcc, s43, v2
	s_or_b64 s[2:3], vcc, s[2:3]
	s_andn2_b64 exec, exec, s[2:3]
	s_cbranch_execz .LBB11_25
.LBB11_12:                              ; =>This Loop Header: Depth=1
                                        ;     Child Loop BB11_16 Depth 2
                                        ;       Child Loop BB11_19 Depth 3
	v_ashrrev_i32_e32 v3, 31, v2
	v_lshl_add_u64 v[4:5], v[2:3], 2, s[10:11]
	global_load_dword v4, v[4:5], off
	s_waitcnt vmcnt(0)
	v_subrev_u32_e32 v4, s36, v4
	v_ashrrev_i32_e32 v5, 31, v4
	v_lshl_add_u64 v[4:5], v[4:5], 2, s[14:15]
	global_load_dwordx2 v[4:5], v[4:5], off
	s_waitcnt vmcnt(0)
	v_subrev_u32_e32 v11, s37, v5
	v_add_u32_e32 v4, v4, v10
	v_cmp_lt_i32_e32 vcc, v4, v11
	s_and_saveexec_b64 s[6:7], vcc
	s_cbranch_execz .LBB11_11
; %bb.13:                               ;   in Loop: Header=BB11_12 Depth=1
	v_lshl_add_u64 v[12:13], v[2:3], 2, s[12:13]
	global_load_dword v3, v[12:13], off
	s_mov_b64 s[8:9], 0
	s_waitcnt vmcnt(0)
	v_mul_f32_e32 v3, v9, v3
	s_branch .LBB11_16
.LBB11_14:                              ;   in Loop: Header=BB11_16 Depth=2
	s_or_b64 exec, exec, s[26:27]
.LBB11_15:                              ;   in Loop: Header=BB11_16 Depth=2
	s_or_b64 exec, exec, s[24:25]
	s_waitcnt vmcnt(0)
	v_mul_f32_e32 v5, v3, v5
	v_lshl_add_u32 v12, v12, 2, 0
	ds_add_f32 v12, v5 offset:16384
	v_add_u32_e32 v4, 64, v4
	v_cmp_ge_i32_e32 vcc, v4, v11
	s_or_b64 s[8:9], vcc, s[8:9]
	s_andn2_b64 exec, exec, s[8:9]
	s_cbranch_execz .LBB11_11
.LBB11_16:                              ;   Parent Loop BB11_12 Depth=1
                                        ; =>  This Loop Header: Depth=2
                                        ;       Child Loop BB11_19 Depth 3
	v_ashrrev_i32_e32 v5, 31, v4
	v_lshlrev_b64 v[12:13], 2, v[4:5]
	v_lshl_add_u64 v[14:15], s[20:21], 0, v[12:13]
	global_load_dword v14, v[14:15], off
	v_lshl_add_u64 v[12:13], s[22:23], 0, v[12:13]
	global_load_dword v5, v[12:13], off
	s_waitcnt vmcnt(1)
	v_subrev_u32_e32 v13, s37, v14
	v_mul_lo_u32 v12, v13, s48
	v_and_b32_e32 v12, 0xfff, v12
	v_lshl_add_u32 v14, v12, 2, 0
	ds_read_b32 v15, v14
	s_waitcnt lgkmcnt(0)
	v_cmp_ne_u32_e32 vcc, v15, v13
	s_and_saveexec_b64 s[24:25], vcc
	s_cbranch_execz .LBB11_15
; %bb.17:                               ;   in Loop: Header=BB11_16 Depth=2
	s_mov_b64 s[26:27], 0
	s_branch .LBB11_19
.LBB11_18:                              ;   in Loop: Header=BB11_19 Depth=3
	s_or_b64 exec, exec, s[46:47]
	s_and_b64 s[30:31], exec, s[44:45]
	s_or_b64 s[26:27], s[30:31], s[26:27]
	s_andn2_b64 exec, exec, s[26:27]
	s_cbranch_execz .LBB11_14
.LBB11_19:                              ;   Parent Loop BB11_12 Depth=1
                                        ;     Parent Loop BB11_16 Depth=2
                                        ; =>    This Inner Loop Header: Depth=3
	v_cmp_ne_u32_e32 vcc, s33, v15
	s_mov_b64 s[30:31], 0
	s_and_saveexec_b64 s[44:45], vcc
	s_xor_b64 s[44:45], exec, s[44:45]
	s_cbranch_execz .LBB11_21
; %bb.20:                               ;   in Loop: Header=BB11_19 Depth=3
	v_add_u32_e32 v12, 1, v12
	s_mov_b64 s[30:31], exec
	v_and_b32_e32 v12, 0xfff, v12
                                        ; implicit-def: $vgpr14
	s_andn2_saveexec_b64 s[44:45], s[44:45]
	s_cbranch_execz .LBB11_23
	s_branch .LBB11_22
.LBB11_21:                              ;   in Loop: Header=BB11_19 Depth=3
	s_andn2_saveexec_b64 s[44:45], s[44:45]
	s_cbranch_execz .LBB11_23
.LBB11_22:                              ;   in Loop: Header=BB11_19 Depth=3
	v_mov_b32_e32 v15, s33
	ds_cmpst_rtn_b32 v14, v14, v15, v13
	s_andn2_b64 s[30:31], s[30:31], exec
	s_waitcnt lgkmcnt(0)
	v_cmp_ne_u32_e32 vcc, s33, v14
	s_and_b64 s[46:47], vcc, exec
	s_or_b64 s[30:31], s[30:31], s[46:47]
.LBB11_23:                              ;   in Loop: Header=BB11_19 Depth=3
	s_or_b64 exec, exec, s[44:45]
	s_mov_b64 s[44:45], -1
                                        ; implicit-def: $vgpr14
                                        ; implicit-def: $vgpr15
	s_and_saveexec_b64 s[46:47], s[30:31]
	s_cbranch_execz .LBB11_18
; %bb.24:                               ;   in Loop: Header=BB11_19 Depth=3
	v_lshl_add_u32 v14, v12, 2, 0
	ds_read_b32 v15, v14
	s_waitcnt lgkmcnt(0)
	v_cmp_eq_u32_e32 vcc, v15, v13
	s_orn2_b64 s[44:45], vcc, exec
	s_branch .LBB11_18
.LBB11_25:
	s_or_b64 exec, exec, s[0:1]
.LBB11_26:
	s_andn2_b64 vcc, exec, s[4:5]
	s_cbranch_vccnz .LBB11_41
; %bb.27:
	s_waitcnt lgkmcnt(0)
	s_ashr_i32 s43, s42, 31
	s_lshl_b64 s[0:1], s[42:43], 2
	s_add_u32 s0, s28, s0
	s_addc_u32 s1, s29, s1
	s_load_dwordx2 s[2:3], s[0:1], 0x0
	v_subrev_u32_e32 v2, s39, v0
	s_waitcnt lgkmcnt(0)
	s_sub_i32 s14, s3, s39
	v_add_u32_e32 v2, s2, v2
	v_cmp_gt_i32_e32 vcc, s14, v2
	s_and_saveexec_b64 s[0:1], vcc
	s_cbranch_execz .LBB11_40
; %bb.28:
	s_mov_b64 s[2:3], 0
	s_movk_i32 s15, 0x89
	s_branch .LBB11_31
.LBB11_29:                              ;   in Loop: Header=BB11_31 Depth=1
	s_or_b64 exec, exec, s[6:7]
.LBB11_30:                              ;   in Loop: Header=BB11_31 Depth=1
	s_or_b64 exec, exec, s[4:5]
	s_waitcnt vmcnt(0)
	v_mul_f32_e32 v3, v7, v3
	v_lshl_add_u32 v4, v4, 2, 0
	ds_add_f32 v4, v3 offset:16384
	v_add_u32_e32 v2, 0x400, v2
	v_cmp_le_i32_e32 vcc, s14, v2
	s_or_b64 s[2:3], vcc, s[2:3]
	s_andn2_b64 exec, exec, s[2:3]
	s_cbranch_execz .LBB11_40
.LBB11_31:                              ; =>This Loop Header: Depth=1
                                        ;     Child Loop BB11_34 Depth 2
	v_ashrrev_i32_e32 v3, 31, v2
	v_lshlrev_b64 v[4:5], 2, v[2:3]
	v_lshl_add_u64 v[10:11], s[16:17], 0, v[4:5]
	global_load_dword v9, v[10:11], off
	v_lshl_add_u64 v[4:5], s[18:19], 0, v[4:5]
	global_load_dword v3, v[4:5], off
	s_waitcnt vmcnt(1)
	v_subrev_u32_e32 v5, s39, v9
	v_mul_lo_u32 v4, v5, s15
	v_and_b32_e32 v4, 0xfff, v4
	v_lshl_add_u32 v9, v4, 2, 0
	ds_read_b32 v10, v9
	s_waitcnt lgkmcnt(0)
	v_cmp_ne_u32_e32 vcc, v10, v5
	s_and_saveexec_b64 s[4:5], vcc
	s_cbranch_execz .LBB11_30
; %bb.32:                               ;   in Loop: Header=BB11_31 Depth=1
	s_mov_b64 s[6:7], 0
	s_branch .LBB11_34
.LBB11_33:                              ;   in Loop: Header=BB11_34 Depth=2
	s_or_b64 exec, exec, s[12:13]
	s_and_b64 s[8:9], exec, s[10:11]
	s_or_b64 s[6:7], s[8:9], s[6:7]
	s_andn2_b64 exec, exec, s[6:7]
	s_cbranch_execz .LBB11_29
.LBB11_34:                              ;   Parent Loop BB11_31 Depth=1
                                        ; =>  This Inner Loop Header: Depth=2
	v_cmp_ne_u32_e32 vcc, s33, v10
	s_mov_b64 s[8:9], 0
	s_and_saveexec_b64 s[10:11], vcc
	s_xor_b64 s[10:11], exec, s[10:11]
	s_cbranch_execz .LBB11_36
; %bb.35:                               ;   in Loop: Header=BB11_34 Depth=2
	v_add_u32_e32 v4, 1, v4
	s_mov_b64 s[8:9], exec
	v_and_b32_e32 v4, 0xfff, v4
                                        ; implicit-def: $vgpr9
	s_andn2_saveexec_b64 s[10:11], s[10:11]
	s_cbranch_execz .LBB11_38
	s_branch .LBB11_37
.LBB11_36:                              ;   in Loop: Header=BB11_34 Depth=2
	s_andn2_saveexec_b64 s[10:11], s[10:11]
	s_cbranch_execz .LBB11_38
.LBB11_37:                              ;   in Loop: Header=BB11_34 Depth=2
	v_mov_b32_e32 v10, s33
	ds_cmpst_rtn_b32 v9, v9, v10, v5
	s_andn2_b64 s[8:9], s[8:9], exec
	s_waitcnt lgkmcnt(0)
	v_cmp_ne_u32_e32 vcc, s33, v9
	s_and_b64 s[12:13], vcc, exec
	s_or_b64 s[8:9], s[8:9], s[12:13]
.LBB11_38:                              ;   in Loop: Header=BB11_34 Depth=2
	s_or_b64 exec, exec, s[10:11]
	s_mov_b64 s[10:11], -1
                                        ; implicit-def: $vgpr9
                                        ; implicit-def: $vgpr10
	s_and_saveexec_b64 s[12:13], s[8:9]
	s_cbranch_execz .LBB11_33
; %bb.39:                               ;   in Loop: Header=BB11_34 Depth=2
	v_lshl_add_u32 v9, v4, 2, 0
	ds_read_b32 v10, v9
	s_waitcnt lgkmcnt(0)
	v_cmp_eq_u32_e32 vcc, v10, v5
	s_orn2_b64 s[10:11], vcc, exec
	s_branch .LBB11_33
.LBB11_40:
	s_or_b64 exec, exec, s[0:1]
.LBB11_41:
	v_mbcnt_lo_u32_b32 v2, -1, 0
	v_mbcnt_hi_u32_b32 v2, -1, v2
	v_sub_u32_e32 v2, 63, v2
	s_movk_i32 s0, 0x3ff
	s_movk_i32 s2, 0x7f
	;; [unrolled: 1-line block ×15, first 2 shown]
	v_mov_b32_e32 v7, 0
	v_lshrrev_b64 v[2:3], v2, -1
	v_lshl_add_u32 v8, v8, 2, 0
	v_cmp_eq_u32_e32 vcc, s0, v0
	v_cmp_lt_u32_e64 s[0:1], 63, v0
	v_cmp_lt_u32_e64 s[2:3], s2, v0
	;; [unrolled: 1-line block ×15, first 2 shown]
	s_mov_b64 s[36:37], 0
	s_movk_i32 s39, 0xbff
	v_mov_b32_e32 v9, 0
	s_waitcnt lgkmcnt(0)
	s_barrier
	s_branch .LBB11_43
.LBB11_42:                              ;   in Loop: Header=BB11_43 Depth=1
	s_or_b64 exec, exec, s[30:31]
	s_waitcnt lgkmcnt(0)
	s_barrier
	ds_read_b32 v4, v7 offset:32828
	v_add_u32_e32 v1, 0x400, v1
	v_cmp_lt_u32_e64 s[30:31], s39, v1
	s_or_b64 s[36:37], s[30:31], s[36:37]
	v_add_u32_e32 v6, 0x1000, v6
	s_waitcnt lgkmcnt(0)
	v_add_u32_e32 v9, v4, v9
	s_andn2_b64 exec, exec, s[36:37]
	s_cbranch_execz .LBB11_77
.LBB11_43:                              ; =>This Inner Loop Header: Depth=1
	ds_read2st64_b32 v[4:5], v6 offset1:64
	s_waitcnt lgkmcnt(0)
	s_barrier
	v_cmp_gt_i32_e64 s[30:31], s33, v4
	s_bcnt1_i32_b64 s43, s[30:31]
	s_nop 0
	v_and_b32_e32 v11, s30, v2
	v_and_b32_e32 v10, s31, v3
	v_bcnt_u32_b32 v11, v11, 0
	v_bcnt_u32_b32 v10, v10, v11
	v_mov_b32_e32 v11, s43
	ds_write_b32 v8, v11 offset:32768
	s_waitcnt lgkmcnt(0)
	s_barrier
	s_and_saveexec_b64 s[44:45], s[0:1]
	s_cbranch_execz .LBB11_60
; %bb.44:                               ;   in Loop: Header=BB11_43 Depth=1
	ds_read_b32 v11, v7 offset:32768
	s_waitcnt lgkmcnt(0)
	v_add_u32_e32 v10, v11, v10
	s_or_b64 exec, exec, s[44:45]
	s_and_saveexec_b64 s[44:45], s[2:3]
	s_cbranch_execnz .LBB11_61
.LBB11_45:                              ;   in Loop: Header=BB11_43 Depth=1
	s_or_b64 exec, exec, s[44:45]
	s_and_saveexec_b64 s[44:45], s[4:5]
	s_cbranch_execz .LBB11_62
.LBB11_46:                              ;   in Loop: Header=BB11_43 Depth=1
	ds_read_b32 v11, v7 offset:32776
	s_waitcnt lgkmcnt(0)
	v_add_u32_e32 v10, v11, v10
	s_or_b64 exec, exec, s[44:45]
	s_and_saveexec_b64 s[44:45], s[6:7]
	s_cbranch_execnz .LBB11_63
.LBB11_47:                              ;   in Loop: Header=BB11_43 Depth=1
	s_or_b64 exec, exec, s[44:45]
	s_and_saveexec_b64 s[44:45], s[8:9]
	s_cbranch_execz .LBB11_64
.LBB11_48:                              ;   in Loop: Header=BB11_43 Depth=1
	ds_read_b32 v11, v7 offset:32784
	s_waitcnt lgkmcnt(0)
	v_add_u32_e32 v10, v11, v10
	s_or_b64 exec, exec, s[44:45]
	s_and_saveexec_b64 s[44:45], s[10:11]
	s_cbranch_execnz .LBB11_65
.LBB11_49:                              ;   in Loop: Header=BB11_43 Depth=1
	s_or_b64 exec, exec, s[44:45]
	s_and_saveexec_b64 s[44:45], s[12:13]
	s_cbranch_execz .LBB11_66
.LBB11_50:                              ;   in Loop: Header=BB11_43 Depth=1
	ds_read_b32 v11, v7 offset:32792
	s_waitcnt lgkmcnt(0)
	v_add_u32_e32 v10, v11, v10
	s_or_b64 exec, exec, s[44:45]
	s_and_saveexec_b64 s[44:45], s[14:15]
	s_cbranch_execnz .LBB11_67
.LBB11_51:                              ;   in Loop: Header=BB11_43 Depth=1
	s_or_b64 exec, exec, s[44:45]
	s_and_saveexec_b64 s[44:45], s[16:17]
	s_cbranch_execz .LBB11_68
.LBB11_52:                              ;   in Loop: Header=BB11_43 Depth=1
	ds_read_b32 v11, v7 offset:32800
	s_waitcnt lgkmcnt(0)
	v_add_u32_e32 v10, v11, v10
	s_or_b64 exec, exec, s[44:45]
	s_and_saveexec_b64 s[44:45], s[18:19]
	s_cbranch_execnz .LBB11_69
.LBB11_53:                              ;   in Loop: Header=BB11_43 Depth=1
	s_or_b64 exec, exec, s[44:45]
	s_and_saveexec_b64 s[44:45], s[20:21]
	s_cbranch_execz .LBB11_70
.LBB11_54:                              ;   in Loop: Header=BB11_43 Depth=1
	ds_read_b32 v11, v7 offset:32808
	s_waitcnt lgkmcnt(0)
	v_add_u32_e32 v10, v11, v10
	s_or_b64 exec, exec, s[44:45]
	s_and_saveexec_b64 s[44:45], s[22:23]
	s_cbranch_execnz .LBB11_71
.LBB11_55:                              ;   in Loop: Header=BB11_43 Depth=1
	s_or_b64 exec, exec, s[44:45]
	s_and_saveexec_b64 s[44:45], s[24:25]
	s_cbranch_execz .LBB11_72
.LBB11_56:                              ;   in Loop: Header=BB11_43 Depth=1
	ds_read_b32 v11, v7 offset:32816
	s_waitcnt lgkmcnt(0)
	v_add_u32_e32 v10, v11, v10
	s_or_b64 exec, exec, s[44:45]
	s_and_saveexec_b64 s[44:45], s[26:27]
	s_cbranch_execnz .LBB11_73
.LBB11_57:                              ;   in Loop: Header=BB11_43 Depth=1
	s_or_b64 exec, exec, s[44:45]
	s_and_saveexec_b64 s[44:45], s[28:29]
	s_cbranch_execz .LBB11_74
.LBB11_58:                              ;   in Loop: Header=BB11_43 Depth=1
	ds_read_b32 v11, v7 offset:32824
	s_waitcnt lgkmcnt(0)
	v_add_u32_e32 v10, v11, v10
	s_or_b64 exec, exec, s[44:45]
	s_and_saveexec_b64 s[44:45], s[30:31]
	s_cbranch_execnz .LBB11_75
.LBB11_59:                              ;   in Loop: Header=BB11_43 Depth=1
	s_or_b64 exec, exec, s[44:45]
	s_and_saveexec_b64 s[30:31], vcc
	s_cbranch_execz .LBB11_42
	s_branch .LBB11_76
.LBB11_60:                              ;   in Loop: Header=BB11_43 Depth=1
	s_or_b64 exec, exec, s[44:45]
	s_and_saveexec_b64 s[44:45], s[2:3]
	s_cbranch_execz .LBB11_45
.LBB11_61:                              ;   in Loop: Header=BB11_43 Depth=1
	ds_read_b32 v11, v7 offset:32772
	s_waitcnt lgkmcnt(0)
	v_add_u32_e32 v10, v11, v10
	s_or_b64 exec, exec, s[44:45]
	s_and_saveexec_b64 s[44:45], s[4:5]
	s_cbranch_execnz .LBB11_46
.LBB11_62:                              ;   in Loop: Header=BB11_43 Depth=1
	s_or_b64 exec, exec, s[44:45]
	s_and_saveexec_b64 s[44:45], s[6:7]
	s_cbranch_execz .LBB11_47
.LBB11_63:                              ;   in Loop: Header=BB11_43 Depth=1
	ds_read_b32 v11, v7 offset:32780
	s_waitcnt lgkmcnt(0)
	v_add_u32_e32 v10, v11, v10
	s_or_b64 exec, exec, s[44:45]
	s_and_saveexec_b64 s[44:45], s[8:9]
	s_cbranch_execnz .LBB11_48
.LBB11_64:                              ;   in Loop: Header=BB11_43 Depth=1
	s_or_b64 exec, exec, s[44:45]
	s_and_saveexec_b64 s[44:45], s[10:11]
	s_cbranch_execz .LBB11_49
.LBB11_65:                              ;   in Loop: Header=BB11_43 Depth=1
	ds_read_b32 v11, v7 offset:32788
	s_waitcnt lgkmcnt(0)
	v_add_u32_e32 v10, v11, v10
	s_or_b64 exec, exec, s[44:45]
	s_and_saveexec_b64 s[44:45], s[12:13]
	s_cbranch_execnz .LBB11_50
.LBB11_66:                              ;   in Loop: Header=BB11_43 Depth=1
	s_or_b64 exec, exec, s[44:45]
	s_and_saveexec_b64 s[44:45], s[14:15]
	s_cbranch_execz .LBB11_51
.LBB11_67:                              ;   in Loop: Header=BB11_43 Depth=1
	ds_read_b32 v11, v7 offset:32796
	s_waitcnt lgkmcnt(0)
	v_add_u32_e32 v10, v11, v10
	s_or_b64 exec, exec, s[44:45]
	s_and_saveexec_b64 s[44:45], s[16:17]
	s_cbranch_execnz .LBB11_52
.LBB11_68:                              ;   in Loop: Header=BB11_43 Depth=1
	s_or_b64 exec, exec, s[44:45]
	s_and_saveexec_b64 s[44:45], s[18:19]
	s_cbranch_execz .LBB11_53
.LBB11_69:                              ;   in Loop: Header=BB11_43 Depth=1
	ds_read_b32 v11, v7 offset:32804
	s_waitcnt lgkmcnt(0)
	v_add_u32_e32 v10, v11, v10
	s_or_b64 exec, exec, s[44:45]
	s_and_saveexec_b64 s[44:45], s[20:21]
	s_cbranch_execnz .LBB11_54
.LBB11_70:                              ;   in Loop: Header=BB11_43 Depth=1
	s_or_b64 exec, exec, s[44:45]
	s_and_saveexec_b64 s[44:45], s[22:23]
	s_cbranch_execz .LBB11_55
.LBB11_71:                              ;   in Loop: Header=BB11_43 Depth=1
	ds_read_b32 v11, v7 offset:32812
	s_waitcnt lgkmcnt(0)
	v_add_u32_e32 v10, v11, v10
	s_or_b64 exec, exec, s[44:45]
	s_and_saveexec_b64 s[44:45], s[24:25]
	s_cbranch_execnz .LBB11_56
.LBB11_72:                              ;   in Loop: Header=BB11_43 Depth=1
	s_or_b64 exec, exec, s[44:45]
	s_and_saveexec_b64 s[44:45], s[26:27]
	s_cbranch_execz .LBB11_57
.LBB11_73:                              ;   in Loop: Header=BB11_43 Depth=1
	ds_read_b32 v11, v7 offset:32820
	s_waitcnt lgkmcnt(0)
	v_add_u32_e32 v10, v11, v10
	s_or_b64 exec, exec, s[44:45]
	s_and_saveexec_b64 s[44:45], s[28:29]
	s_cbranch_execnz .LBB11_58
.LBB11_74:                              ;   in Loop: Header=BB11_43 Depth=1
	s_or_b64 exec, exec, s[44:45]
	s_and_saveexec_b64 s[44:45], s[30:31]
	s_cbranch_execz .LBB11_59
.LBB11_75:                              ;   in Loop: Header=BB11_43 Depth=1
	v_add3_u32 v11, v9, -1, v10
	v_lshl_add_u32 v11, v11, 2, 0
	v_add_u32_e32 v12, v9, v10
	v_lshl_add_u32 v12, v12, 2, 0
	ds_write_b32 v11, v4
	ds_write_b32 v12, v5 offset:16380
	s_or_b64 exec, exec, s[44:45]
	s_and_saveexec_b64 s[30:31], vcc
	s_cbranch_execz .LBB11_42
.LBB11_76:                              ;   in Loop: Header=BB11_43 Depth=1
	ds_write_b32 v7, v10 offset:32828
	s_branch .LBB11_42
.LBB11_77:
	s_or_b64 exec, exec, s[36:37]
	s_ashr_i32 s43, s42, 31
	s_lshl_b64 s[0:1], s[42:43], 2
	s_add_u32 s2, s40, s0
	s_addc_u32 s3, s41, s1
	s_load_dwordx2 s[0:1], s[2:3], 0x0
	s_waitcnt lgkmcnt(0)
	s_sub_i32 s14, s1, s0
	v_cmp_gt_i32_e32 vcc, s14, v0
	s_and_saveexec_b64 s[2:3], vcc
	s_cbranch_execz .LBB11_91
; %bb.78:
	s_sub_i32 s8, s0, s38
	v_sub_co_u32_e64 v1, s[0:1], s14, 2
	s_nop 0
	v_readfirstlane_b32 s2, v1
	s_lshr_b32 s2, s2, 1
	s_add_i32 s2, s2, 1
	s_xor_b64 s[0:1], s[0:1], -1
	s_and_b32 s15, s14, -2
	s_and_b32 s3, s2, 7
	s_and_b32 s16, s2, -8
	s_cmp_lg_u32 s3, 0
	v_cmp_lt_u32_e32 vcc, 13, v1
	s_cselect_b64 s[4:5], -1, 0
	s_cmp_lg_u32 s14, s15
	v_cndmask_b32_e64 v1, 0, 1, vcc
	s_cselect_b64 s[10:11], -1, 0
	s_lshl_b32 s17, s3, 3
	v_cndmask_b32_e64 v2, 0, 1, s[0:1]
	v_cmp_ne_u32_e64 s[2:3], 1, v1
	v_cndmask_b32_e64 v1, 0, 1, s[4:5]
	s_mov_b32 s9, 0
	s_mov_b64 s[12:13], 0
	v_cmp_ne_u32_e64 s[0:1], 1, v2
	v_cmp_ne_u32_e64 s[4:5], 1, v1
	s_branch .LBB11_80
.LBB11_79:                              ;   in Loop: Header=BB11_80 Depth=1
	v_add_u32_e32 v0, 0x400, v0
	v_ashrrev_i32_e32 v5, 31, v4
	v_cmp_le_i32_e32 vcc, s14, v0
	v_lshl_add_u64 v[4:5], v[4:5], 2, s[34:35]
	s_or_b64 s[12:13], vcc, s[12:13]
	s_waitcnt lgkmcnt(0)
	global_store_dword v[4:5], v3, off
	s_andn2_b64 exec, exec, s[12:13]
	s_cbranch_execz .LBB11_91
.LBB11_80:                              ; =>This Loop Header: Depth=1
                                        ;     Child Loop BB11_83 Depth 2
                                        ;     Child Loop BB11_86 Depth 2
	;; [unrolled: 1-line block ×3, first 2 shown]
	v_lshl_add_u32 v1, v0, 2, 0
	ds_read2st64_b32 v[2:3], v1 offset1:64
	s_and_b64 vcc, exec, s[0:1]
	v_mov_b32_e32 v4, s8
	s_mov_b32 s18, 0
	s_mov_b64 s[6:7], -1
	s_cbranch_vccnz .LBB11_88
; %bb.81:                               ;   in Loop: Header=BB11_80 Depth=1
	s_and_b64 vcc, exec, s[2:3]
	v_mov_b64_e32 v[4:5], s[8:9]
	s_cbranch_vccnz .LBB11_84
; %bb.82:                               ;   in Loop: Header=BB11_80 Depth=1
	s_mov_b32 s19, 0
	v_mov_b32_e32 v4, s8
	v_mov_b32_e32 v5, 0
	s_mov_b32 s20, s16
.LBB11_83:                              ;   Parent Loop BB11_80 Depth=1
                                        ; =>  This Inner Loop Header: Depth=2
	v_mov_b32_e32 v1, s19
	ds_read2_b32 v[6:7], v1 offset1:1
	ds_read2_b32 v[8:9], v1 offset0:2 offset1:3
	ds_read2_b32 v[10:11], v1 offset0:4 offset1:5
	;; [unrolled: 1-line block ×7, first 2 shown]
	s_waitcnt lgkmcnt(7)
	v_cmp_gt_i32_e32 vcc, v2, v7
	s_waitcnt lgkmcnt(5)
	v_cmp_gt_i32_e64 s[6:7], v2, v10
	s_add_i32 s18, s18, 16
	v_cndmask_b32_e64 v1, 0, 1, vcc
	v_cmp_gt_i32_e32 vcc, v2, v6
	v_cndmask_b32_e64 v7, 0, 1, s[6:7]
	v_cmp_gt_i32_e64 s[6:7], v2, v11
	v_cndmask_b32_e64 v6, 0, 1, vcc
	v_cmp_gt_i32_e32 vcc, v2, v9
	v_cndmask_b32_e64 v9, 0, 1, s[6:7]
	s_waitcnt lgkmcnt(3)
	v_cmp_gt_i32_e64 s[6:7], v2, v15
	v_addc_co_u32_e32 v1, vcc, v5, v1, vcc
	s_nop 0
	v_cndmask_b32_e64 v10, 0, 1, s[6:7]
	v_cmp_gt_i32_e64 s[6:7], v2, v14
	v_cmp_gt_i32_e32 vcc, v2, v12
	s_add_i32 s19, s19, 64
	v_cndmask_b32_e64 v11, 0, 1, s[6:7]
	s_waitcnt lgkmcnt(1)
	v_cmp_gt_i32_e64 s[6:7], v2, v18
	s_add_i32 s20, s20, -8
	s_cmp_lg_u32 s20, 0
	v_cndmask_b32_e64 v14, 0, 1, s[6:7]
	v_cmp_gt_i32_e64 s[6:7], v2, v19
	s_nop 1
	v_cndmask_b32_e64 v15, 0, 1, s[6:7]
	v_cmp_gt_i32_e64 s[6:7], v2, v8
	s_nop 1
	v_addc_co_u32_e64 v4, s[6:7], v4, v6, s[6:7]
	v_cmp_gt_i32_e64 s[6:7], v2, v13
	v_addc_co_u32_e32 v4, vcc, v4, v7, vcc
	s_nop 0
	v_addc_co_u32_e64 v1, s[6:7], v1, v9, s[6:7]
	v_cmp_gt_i32_e32 vcc, v2, v17
	v_cmp_gt_i32_e64 s[6:7], v2, v16
	s_nop 0
	v_addc_co_u32_e32 v1, vcc, v1, v10, vcc
	v_addc_co_u32_e64 v4, s[6:7], v4, v11, s[6:7]
	s_waitcnt lgkmcnt(0)
	v_cmp_gt_i32_e32 vcc, v2, v20
	v_cmp_gt_i32_e64 s[6:7], v2, v21
	s_nop 0
	v_addc_co_u32_e32 v4, vcc, v4, v14, vcc
	v_addc_co_u32_e64 v5, s[6:7], v1, v15, s[6:7]
	s_cbranch_scc1 .LBB11_83
.LBB11_84:                              ;   in Loop: Header=BB11_80 Depth=1
	s_and_b64 vcc, exec, s[4:5]
	s_cbranch_vccnz .LBB11_87
; %bb.85:                               ;   in Loop: Header=BB11_80 Depth=1
	s_lshl_b32 s6, s18, 2
	s_add_i32 s6, s6, 0
	s_mov_b32 s7, s17
.LBB11_86:                              ;   Parent Loop BB11_80 Depth=1
                                        ; =>  This Inner Loop Header: Depth=2
	v_mov_b32_e32 v1, s6
	ds_read2_b32 v[6:7], v1 offset1:1
	s_add_i32 s6, s6, 8
	s_add_i32 s7, s7, -8
	s_cmp_lg_u32 s7, 0
	s_waitcnt lgkmcnt(0)
	v_cmp_gt_i32_e32 vcc, v2, v7
	s_nop 1
	v_addc_co_u32_e32 v5, vcc, 0, v5, vcc
	v_cmp_gt_i32_e32 vcc, v2, v6
	s_nop 1
	v_addc_co_u32_e32 v4, vcc, 0, v4, vcc
	s_cbranch_scc1 .LBB11_86
.LBB11_87:                              ;   in Loop: Header=BB11_80 Depth=1
	v_add_u32_e32 v4, v4, v5
	s_mov_b32 s18, s15
	s_mov_b64 s[6:7], s[10:11]
.LBB11_88:                              ;   in Loop: Header=BB11_80 Depth=1
	s_and_b64 vcc, exec, s[6:7]
	s_cbranch_vccz .LBB11_79
; %bb.89:                               ;   in Loop: Header=BB11_80 Depth=1
	s_lshl_b32 s6, s18, 2
	s_add_i32 s6, s6, 0
.LBB11_90:                              ;   Parent Loop BB11_80 Depth=1
                                        ; =>  This Inner Loop Header: Depth=2
	v_mov_b32_e32 v1, s6
	ds_read_b32 v1, v1
	s_add_i32 s18, s18, 1
	s_add_i32 s6, s6, 4
	s_cmp_ge_i32 s18, s14
	s_waitcnt lgkmcnt(0)
	v_cmp_gt_i32_e32 vcc, v2, v1
	s_nop 1
	v_addc_co_u32_e32 v4, vcc, 0, v4, vcc
	s_cbranch_scc0 .LBB11_90
	s_branch .LBB11_79
.LBB11_91:
	s_endpgm
	.section	.rodata,"a",@progbits
	.p2align	6, 0x0
	.amdhsa_kernel _ZN9rocsparseL41csrgemm_numeric_fill_block_per_row_kernelILj1024ELj64ELj4096ELj137ELj64EiifEEvT5_PKS1_S3_NS_24const_host_device_scalarIT6_EEPKT4_S3_PKS5_S9_S3_SB_S6_S9_S3_SB_S9_S3_PS5_21rocsparse_index_base_SD_SD_SD_bbb
		.amdhsa_group_segment_fixed_size 0
		.amdhsa_private_segment_fixed_size 0
		.amdhsa_kernarg_size 156
		.amdhsa_user_sgpr_count 2
		.amdhsa_user_sgpr_dispatch_ptr 0
		.amdhsa_user_sgpr_queue_ptr 0
		.amdhsa_user_sgpr_kernarg_segment_ptr 1
		.amdhsa_user_sgpr_dispatch_id 0
		.amdhsa_user_sgpr_kernarg_preload_length 0
		.amdhsa_user_sgpr_kernarg_preload_offset 0
		.amdhsa_user_sgpr_private_segment_size 0
		.amdhsa_uses_dynamic_stack 0
		.amdhsa_enable_private_segment 0
		.amdhsa_system_sgpr_workgroup_id_x 1
		.amdhsa_system_sgpr_workgroup_id_y 0
		.amdhsa_system_sgpr_workgroup_id_z 0
		.amdhsa_system_sgpr_workgroup_info 0
		.amdhsa_system_vgpr_workitem_id 0
		.amdhsa_next_free_vgpr 22
		.amdhsa_next_free_sgpr 49
		.amdhsa_accum_offset 24
		.amdhsa_reserve_vcc 1
		.amdhsa_float_round_mode_32 0
		.amdhsa_float_round_mode_16_64 0
		.amdhsa_float_denorm_mode_32 3
		.amdhsa_float_denorm_mode_16_64 3
		.amdhsa_dx10_clamp 1
		.amdhsa_ieee_mode 1
		.amdhsa_fp16_overflow 0
		.amdhsa_tg_split 0
		.amdhsa_exception_fp_ieee_invalid_op 0
		.amdhsa_exception_fp_denorm_src 0
		.amdhsa_exception_fp_ieee_div_zero 0
		.amdhsa_exception_fp_ieee_overflow 0
		.amdhsa_exception_fp_ieee_underflow 0
		.amdhsa_exception_fp_ieee_inexact 0
		.amdhsa_exception_int_div_zero 0
	.end_amdhsa_kernel
	.section	.text._ZN9rocsparseL41csrgemm_numeric_fill_block_per_row_kernelILj1024ELj64ELj4096ELj137ELj64EiifEEvT5_PKS1_S3_NS_24const_host_device_scalarIT6_EEPKT4_S3_PKS5_S9_S3_SB_S6_S9_S3_SB_S9_S3_PS5_21rocsparse_index_base_SD_SD_SD_bbb,"axG",@progbits,_ZN9rocsparseL41csrgemm_numeric_fill_block_per_row_kernelILj1024ELj64ELj4096ELj137ELj64EiifEEvT5_PKS1_S3_NS_24const_host_device_scalarIT6_EEPKT4_S3_PKS5_S9_S3_SB_S6_S9_S3_SB_S9_S3_PS5_21rocsparse_index_base_SD_SD_SD_bbb,comdat
.Lfunc_end11:
	.size	_ZN9rocsparseL41csrgemm_numeric_fill_block_per_row_kernelILj1024ELj64ELj4096ELj137ELj64EiifEEvT5_PKS1_S3_NS_24const_host_device_scalarIT6_EEPKT4_S3_PKS5_S9_S3_SB_S6_S9_S3_SB_S9_S3_PS5_21rocsparse_index_base_SD_SD_SD_bbb, .Lfunc_end11-_ZN9rocsparseL41csrgemm_numeric_fill_block_per_row_kernelILj1024ELj64ELj4096ELj137ELj64EiifEEvT5_PKS1_S3_NS_24const_host_device_scalarIT6_EEPKT4_S3_PKS5_S9_S3_SB_S6_S9_S3_SB_S9_S3_PS5_21rocsparse_index_base_SD_SD_SD_bbb
                                        ; -- End function
	.set _ZN9rocsparseL41csrgemm_numeric_fill_block_per_row_kernelILj1024ELj64ELj4096ELj137ELj64EiifEEvT5_PKS1_S3_NS_24const_host_device_scalarIT6_EEPKT4_S3_PKS5_S9_S3_SB_S6_S9_S3_SB_S9_S3_PS5_21rocsparse_index_base_SD_SD_SD_bbb.num_vgpr, 22
	.set _ZN9rocsparseL41csrgemm_numeric_fill_block_per_row_kernelILj1024ELj64ELj4096ELj137ELj64EiifEEvT5_PKS1_S3_NS_24const_host_device_scalarIT6_EEPKT4_S3_PKS5_S9_S3_SB_S6_S9_S3_SB_S9_S3_PS5_21rocsparse_index_base_SD_SD_SD_bbb.num_agpr, 0
	.set _ZN9rocsparseL41csrgemm_numeric_fill_block_per_row_kernelILj1024ELj64ELj4096ELj137ELj64EiifEEvT5_PKS1_S3_NS_24const_host_device_scalarIT6_EEPKT4_S3_PKS5_S9_S3_SB_S6_S9_S3_SB_S9_S3_PS5_21rocsparse_index_base_SD_SD_SD_bbb.numbered_sgpr, 49
	.set _ZN9rocsparseL41csrgemm_numeric_fill_block_per_row_kernelILj1024ELj64ELj4096ELj137ELj64EiifEEvT5_PKS1_S3_NS_24const_host_device_scalarIT6_EEPKT4_S3_PKS5_S9_S3_SB_S6_S9_S3_SB_S9_S3_PS5_21rocsparse_index_base_SD_SD_SD_bbb.num_named_barrier, 0
	.set _ZN9rocsparseL41csrgemm_numeric_fill_block_per_row_kernelILj1024ELj64ELj4096ELj137ELj64EiifEEvT5_PKS1_S3_NS_24const_host_device_scalarIT6_EEPKT4_S3_PKS5_S9_S3_SB_S6_S9_S3_SB_S9_S3_PS5_21rocsparse_index_base_SD_SD_SD_bbb.private_seg_size, 0
	.set _ZN9rocsparseL41csrgemm_numeric_fill_block_per_row_kernelILj1024ELj64ELj4096ELj137ELj64EiifEEvT5_PKS1_S3_NS_24const_host_device_scalarIT6_EEPKT4_S3_PKS5_S9_S3_SB_S6_S9_S3_SB_S9_S3_PS5_21rocsparse_index_base_SD_SD_SD_bbb.uses_vcc, 1
	.set _ZN9rocsparseL41csrgemm_numeric_fill_block_per_row_kernelILj1024ELj64ELj4096ELj137ELj64EiifEEvT5_PKS1_S3_NS_24const_host_device_scalarIT6_EEPKT4_S3_PKS5_S9_S3_SB_S6_S9_S3_SB_S9_S3_PS5_21rocsparse_index_base_SD_SD_SD_bbb.uses_flat_scratch, 0
	.set _ZN9rocsparseL41csrgemm_numeric_fill_block_per_row_kernelILj1024ELj64ELj4096ELj137ELj64EiifEEvT5_PKS1_S3_NS_24const_host_device_scalarIT6_EEPKT4_S3_PKS5_S9_S3_SB_S6_S9_S3_SB_S9_S3_PS5_21rocsparse_index_base_SD_SD_SD_bbb.has_dyn_sized_stack, 0
	.set _ZN9rocsparseL41csrgemm_numeric_fill_block_per_row_kernelILj1024ELj64ELj4096ELj137ELj64EiifEEvT5_PKS1_S3_NS_24const_host_device_scalarIT6_EEPKT4_S3_PKS5_S9_S3_SB_S6_S9_S3_SB_S9_S3_PS5_21rocsparse_index_base_SD_SD_SD_bbb.has_recursion, 0
	.set _ZN9rocsparseL41csrgemm_numeric_fill_block_per_row_kernelILj1024ELj64ELj4096ELj137ELj64EiifEEvT5_PKS1_S3_NS_24const_host_device_scalarIT6_EEPKT4_S3_PKS5_S9_S3_SB_S6_S9_S3_SB_S9_S3_PS5_21rocsparse_index_base_SD_SD_SD_bbb.has_indirect_call, 0
	.section	.AMDGPU.csdata,"",@progbits
; Kernel info:
; codeLenInByte = 3164
; TotalNumSgprs: 55
; NumVgprs: 22
; NumAgprs: 0
; TotalNumVgprs: 22
; ScratchSize: 0
; MemoryBound: 0
; FloatMode: 240
; IeeeMode: 1
; LDSByteSize: 0 bytes/workgroup (compile time only)
; SGPRBlocks: 6
; VGPRBlocks: 2
; NumSGPRsForWavesPerEU: 55
; NumVGPRsForWavesPerEU: 22
; AccumOffset: 24
; Occupancy: 8
; WaveLimiterHint : 1
; COMPUTE_PGM_RSRC2:SCRATCH_EN: 0
; COMPUTE_PGM_RSRC2:USER_SGPR: 2
; COMPUTE_PGM_RSRC2:TRAP_HANDLER: 0
; COMPUTE_PGM_RSRC2:TGID_X_EN: 1
; COMPUTE_PGM_RSRC2:TGID_Y_EN: 0
; COMPUTE_PGM_RSRC2:TGID_Z_EN: 0
; COMPUTE_PGM_RSRC2:TIDIG_COMP_CNT: 0
; COMPUTE_PGM_RSRC3_GFX90A:ACCUM_OFFSET: 5
; COMPUTE_PGM_RSRC3_GFX90A:TG_SPLIT: 0
	.section	.text._ZN9rocsparseL41csrgemm_numeric_fill_block_per_row_kernelILj1024ELj64ELj8192ELj137ELj32EiifEEvT5_PKS1_S3_NS_24const_host_device_scalarIT6_EEPKT4_S3_PKS5_S9_S3_SB_S6_S9_S3_SB_S9_S3_PS5_21rocsparse_index_base_SD_SD_SD_bbb,"axG",@progbits,_ZN9rocsparseL41csrgemm_numeric_fill_block_per_row_kernelILj1024ELj64ELj8192ELj137ELj32EiifEEvT5_PKS1_S3_NS_24const_host_device_scalarIT6_EEPKT4_S3_PKS5_S9_S3_SB_S6_S9_S3_SB_S9_S3_PS5_21rocsparse_index_base_SD_SD_SD_bbb,comdat
	.globl	_ZN9rocsparseL41csrgemm_numeric_fill_block_per_row_kernelILj1024ELj64ELj8192ELj137ELj32EiifEEvT5_PKS1_S3_NS_24const_host_device_scalarIT6_EEPKT4_S3_PKS5_S9_S3_SB_S6_S9_S3_SB_S9_S3_PS5_21rocsparse_index_base_SD_SD_SD_bbb ; -- Begin function _ZN9rocsparseL41csrgemm_numeric_fill_block_per_row_kernelILj1024ELj64ELj8192ELj137ELj32EiifEEvT5_PKS1_S3_NS_24const_host_device_scalarIT6_EEPKT4_S3_PKS5_S9_S3_SB_S6_S9_S3_SB_S9_S3_PS5_21rocsparse_index_base_SD_SD_SD_bbb
	.p2align	8
	.type	_ZN9rocsparseL41csrgemm_numeric_fill_block_per_row_kernelILj1024ELj64ELj8192ELj137ELj32EiifEEvT5_PKS1_S3_NS_24const_host_device_scalarIT6_EEPKT4_S3_PKS5_S9_S3_SB_S6_S9_S3_SB_S9_S3_PS5_21rocsparse_index_base_SD_SD_SD_bbb,@function
_ZN9rocsparseL41csrgemm_numeric_fill_block_per_row_kernelILj1024ELj64ELj8192ELj137ELj32EiifEEvT5_PKS1_S3_NS_24const_host_device_scalarIT6_EEPKT4_S3_PKS5_S9_S3_SB_S6_S9_S3_SB_S9_S3_PS5_21rocsparse_index_base_SD_SD_SD_bbb: ; @_ZN9rocsparseL41csrgemm_numeric_fill_block_per_row_kernelILj1024ELj64ELj8192ELj137ELj32EiifEEvT5_PKS1_S3_NS_24const_host_device_scalarIT6_EEPKT4_S3_PKS5_S9_S3_SB_S6_S9_S3_SB_S9_S3_PS5_21rocsparse_index_base_SD_SD_SD_bbb
; %bb.0:
	s_load_dword s3, s[0:1], 0x98
	s_load_dwordx4 s[8:11], s[0:1], 0x8
	s_load_dwordx2 s[6:7], s[0:1], 0x18
	s_load_dwordx4 s[64:67], s[0:1], 0x88
	s_load_dwordx2 s[12:13], s[0:1], 0x50
	s_waitcnt lgkmcnt(0)
	s_bitcmp1_b32 s3, 0
	s_cselect_b64 s[4:5], -1, 0
	s_bitcmp1_b32 s3, 16
	s_cselect_b64 s[14:15], -1, 0
	s_xor_b64 s[16:17], s[4:5], -1
	s_or_b64 s[16:17], s[14:15], s[16:17]
	s_and_b64 vcc, exec, s[16:17]
	s_cbranch_vccnz .LBB12_2
; %bb.1:
	s_load_dword s6, s[6:7], 0x0
	s_waitcnt lgkmcnt(0)
	v_mov_b32_e32 v7, s6
	s_branch .LBB12_3
.LBB12_2:
	v_mov_b32_e32 v1, s6
	v_cndmask_b32_e64 v7, 0, v1, s[4:5]
.LBB12_3:
	s_bitcmp1_b32 s3, 8
	s_cselect_b64 s[6:7], -1, 0
	s_xor_b64 s[16:17], s[6:7], -1
	s_or_b64 s[14:15], s[14:15], s[16:17]
	s_and_b64 vcc, exec, s[14:15]
	s_cbranch_vccnz .LBB12_5
; %bb.4:
	s_load_dword s3, s[12:13], 0x0
	s_waitcnt lgkmcnt(0)
	v_mov_b32_e32 v6, s3
	s_branch .LBB12_6
.LBB12_5:
	v_mov_b32_e32 v1, s12
	v_cndmask_b32_e64 v6, 0, v1, s[6:7]
.LBB12_6:
	s_load_dword s33, s[0:1], 0x0
	v_lshl_add_u32 v1, v0, 2, 0
	v_mov_b32_e32 v2, 0
	ds_write2st64_b32 v1, v2, v2 offset0:128 offset1:144
	s_mov_b32 s3, 0
	s_waitcnt lgkmcnt(0)
	v_mov_b32_e32 v3, s33
	v_mov_b32_e32 v4, s33
	ds_write2st64_b32 v1, v3, v4 offset1:16
	ds_write2st64_b32 v1, v3, v4 offset0:32 offset1:48
	ds_write2st64_b32 v1, v2, v2 offset0:160 offset1:176
	;; [unrolled: 1-line block ×6, first 2 shown]
	s_waitcnt lgkmcnt(0)
	s_barrier
	s_load_dword s8, s[8:9], 0x0
                                        ; implicit-def: $vgpr22 : SGPR spill to VGPR lane
	s_waitcnt lgkmcnt(0)
	s_add_i32 s2, s8, s2
	s_lshl_b64 s[2:3], s[2:3], 2
	s_add_u32 s2, s10, s2
	s_addc_u32 s3, s11, s3
	s_load_dword s2, s[2:3], 0x0
	s_andn2_b64 vcc, exec, s[4:5]
	s_waitcnt lgkmcnt(0)
	v_writelane_b32 v22, s2, 0
	s_nop 1
	v_writelane_b32 v22, s3, 1
	s_cbranch_vccnz .LBB12_24
; %bb.7:
	s_load_dwordx2 s[2:3], s[0:1], 0x20
	v_readlane_b32 s4, v22, 0
	v_readlane_b32 s5, v22, 1
	s_mov_b32 s8, s4
	s_ashr_i32 s9, s4, 31
	v_writelane_b32 v22, s4, 0
	v_lshrrev_b32_e32 v2, 6, v0
	v_subrev_u32_e32 v2, s64, v2
	v_writelane_b32 v22, s5, 1
	s_lshl_b64 s[4:5], s[8:9], 2
	s_waitcnt lgkmcnt(0)
	s_add_u32 s2, s2, s4
	s_addc_u32 s3, s3, s5
	s_load_dwordx2 s[4:5], s[2:3], 0x0
	s_waitcnt lgkmcnt(0)
	s_sub_i32 s34, s5, s64
	v_add_u32_e32 v2, s4, v2
	v_cmp_gt_i32_e32 vcc, s34, v2
	s_and_saveexec_b64 s[2:3], vcc
	s_cbranch_execz .LBB12_23
; %bb.8:
	s_load_dwordx8 s[8:15], s[0:1], 0x28
	s_load_dwordx2 s[4:5], s[0:1], 0x48
	v_and_b32_e32 v3, 63, v0
	v_subrev_u32_e32 v8, s65, v3
	s_mov_b64 s[16:17], 0
	s_movk_i32 s35, 0x89
	s_branch .LBB12_10
.LBB12_9:                               ;   in Loop: Header=BB12_10 Depth=1
	s_or_b64 exec, exec, s[18:19]
	v_add_u32_e32 v2, 16, v2
	v_cmp_le_i32_e32 vcc, s34, v2
	s_or_b64 s[16:17], vcc, s[16:17]
	s_andn2_b64 exec, exec, s[16:17]
	s_cbranch_execz .LBB12_23
.LBB12_10:                              ; =>This Loop Header: Depth=1
                                        ;     Child Loop BB12_14 Depth 2
                                        ;       Child Loop BB12_17 Depth 3
	v_ashrrev_i32_e32 v3, 31, v2
	s_waitcnt lgkmcnt(0)
	v_lshl_add_u64 v[4:5], v[2:3], 2, s[8:9]
	global_load_dword v4, v[4:5], off
	s_waitcnt vmcnt(0)
	v_subrev_u32_e32 v4, s64, v4
	v_ashrrev_i32_e32 v5, 31, v4
	v_lshl_add_u64 v[4:5], v[4:5], 2, s[12:13]
	global_load_dwordx2 v[4:5], v[4:5], off
	s_waitcnt vmcnt(0)
	v_subrev_u32_e32 v9, s65, v5
	v_add_u32_e32 v4, v4, v8
	v_cmp_lt_i32_e32 vcc, v4, v9
	s_and_saveexec_b64 s[18:19], vcc
	s_cbranch_execz .LBB12_9
; %bb.11:                               ;   in Loop: Header=BB12_10 Depth=1
	v_lshl_add_u64 v[10:11], v[2:3], 2, s[10:11]
	global_load_dword v3, v[10:11], off
	s_mov_b64 s[20:21], 0
	s_waitcnt vmcnt(0)
	v_mul_f32_e32 v3, v7, v3
	s_branch .LBB12_14
.LBB12_12:                              ;   in Loop: Header=BB12_14 Depth=2
	s_or_b64 exec, exec, s[24:25]
.LBB12_13:                              ;   in Loop: Header=BB12_14 Depth=2
	s_or_b64 exec, exec, s[22:23]
	s_waitcnt vmcnt(0)
	v_mul_f32_e32 v5, v3, v5
	v_lshl_add_u32 v10, v10, 2, 0
	ds_add_f32 v10, v5 offset:32768
	v_add_u32_e32 v4, 64, v4
	v_cmp_ge_i32_e32 vcc, v4, v9
	s_or_b64 s[20:21], vcc, s[20:21]
	s_andn2_b64 exec, exec, s[20:21]
	s_cbranch_execz .LBB12_9
.LBB12_14:                              ;   Parent Loop BB12_10 Depth=1
                                        ; =>  This Loop Header: Depth=2
                                        ;       Child Loop BB12_17 Depth 3
	v_ashrrev_i32_e32 v5, 31, v4
	v_lshlrev_b64 v[10:11], 2, v[4:5]
	v_lshl_add_u64 v[12:13], s[14:15], 0, v[10:11]
	global_load_dword v12, v[12:13], off
	v_lshl_add_u64 v[10:11], s[4:5], 0, v[10:11]
	global_load_dword v5, v[10:11], off
	s_waitcnt vmcnt(1)
	v_subrev_u32_e32 v11, s65, v12
	v_mul_lo_u32 v10, v11, s35
	v_and_b32_e32 v10, 0x1fff, v10
	v_lshl_add_u32 v12, v10, 2, 0
	ds_read_b32 v13, v12
	s_waitcnt lgkmcnt(0)
	v_cmp_ne_u32_e32 vcc, v13, v11
	s_and_saveexec_b64 s[22:23], vcc
	s_cbranch_execz .LBB12_13
; %bb.15:                               ;   in Loop: Header=BB12_14 Depth=2
	s_mov_b64 s[24:25], 0
	s_branch .LBB12_17
.LBB12_16:                              ;   in Loop: Header=BB12_17 Depth=3
	s_or_b64 exec, exec, s[30:31]
	s_and_b64 s[26:27], exec, s[28:29]
	s_or_b64 s[24:25], s[26:27], s[24:25]
	s_andn2_b64 exec, exec, s[24:25]
	s_cbranch_execz .LBB12_12
.LBB12_17:                              ;   Parent Loop BB12_10 Depth=1
                                        ;     Parent Loop BB12_14 Depth=2
                                        ; =>    This Inner Loop Header: Depth=3
	v_cmp_ne_u32_e32 vcc, s33, v13
	s_mov_b64 s[26:27], 0
	s_and_saveexec_b64 s[28:29], vcc
	s_xor_b64 s[28:29], exec, s[28:29]
	s_cbranch_execz .LBB12_19
; %bb.18:                               ;   in Loop: Header=BB12_17 Depth=3
	v_add_u32_e32 v10, 1, v10
	s_mov_b64 s[26:27], exec
	v_and_b32_e32 v10, 0x1fff, v10
                                        ; implicit-def: $vgpr12
	s_andn2_saveexec_b64 s[28:29], s[28:29]
	s_cbranch_execz .LBB12_21
	s_branch .LBB12_20
.LBB12_19:                              ;   in Loop: Header=BB12_17 Depth=3
	s_andn2_saveexec_b64 s[28:29], s[28:29]
	s_cbranch_execz .LBB12_21
.LBB12_20:                              ;   in Loop: Header=BB12_17 Depth=3
	v_mov_b32_e32 v13, s33
	ds_cmpst_rtn_b32 v12, v12, v13, v11
	s_andn2_b64 s[26:27], s[26:27], exec
	s_waitcnt lgkmcnt(0)
	v_cmp_ne_u32_e32 vcc, s33, v12
	s_and_b64 s[30:31], vcc, exec
	s_or_b64 s[26:27], s[26:27], s[30:31]
.LBB12_21:                              ;   in Loop: Header=BB12_17 Depth=3
	s_or_b64 exec, exec, s[28:29]
	s_mov_b64 s[28:29], -1
                                        ; implicit-def: $vgpr12
                                        ; implicit-def: $vgpr13
	s_and_saveexec_b64 s[30:31], s[26:27]
	s_cbranch_execz .LBB12_16
; %bb.22:                               ;   in Loop: Header=BB12_17 Depth=3
	v_lshl_add_u32 v12, v10, 2, 0
	ds_read_b32 v13, v12
	s_waitcnt lgkmcnt(0)
	v_cmp_eq_u32_e32 vcc, v13, v11
	s_orn2_b64 s[28:29], vcc, exec
	s_branch .LBB12_16
.LBB12_23:
	s_or_b64 exec, exec, s[2:3]
.LBB12_24:
	s_load_dwordx2 s[20:21], s[0:1], 0x80
	s_load_dwordx2 s[2:3], s[0:1], 0x70
	s_andn2_b64 vcc, exec, s[6:7]
	s_waitcnt lgkmcnt(0)
	v_writelane_b32 v22, s2, 2
	s_nop 1
	v_writelane_b32 v22, s3, 3
	s_cbranch_vccnz .LBB12_39
; %bb.25:
	s_load_dwordx2 s[2:3], s[0:1], 0x58
	v_readlane_b32 s4, v22, 0
	v_readlane_b32 s5, v22, 1
	s_mov_b32 s6, s4
	s_ashr_i32 s7, s4, 31
	v_writelane_b32 v22, s4, 0
	v_subrev_u32_e32 v2, s67, v0
	s_nop 0
	v_writelane_b32 v22, s5, 1
	s_lshl_b64 s[4:5], s[6:7], 2
	s_waitcnt lgkmcnt(0)
	s_add_u32 s2, s2, s4
	s_addc_u32 s3, s3, s5
	s_load_dwordx2 s[4:5], s[2:3], 0x0
	s_waitcnt lgkmcnt(0)
	s_sub_i32 s18, s5, s67
	v_add_u32_e32 v2, s4, v2
	v_cmp_gt_i32_e32 vcc, s18, v2
	s_and_saveexec_b64 s[2:3], vcc
	s_cbranch_execz .LBB12_38
; %bb.26:
	s_load_dwordx4 s[4:7], s[0:1], 0x60
	s_mov_b64 s[0:1], 0
	s_movk_i32 s19, 0x89
	s_branch .LBB12_29
.LBB12_27:                              ;   in Loop: Header=BB12_29 Depth=1
	s_or_b64 exec, exec, s[10:11]
.LBB12_28:                              ;   in Loop: Header=BB12_29 Depth=1
	s_or_b64 exec, exec, s[8:9]
	s_waitcnt vmcnt(0)
	v_mul_f32_e32 v3, v6, v3
	v_lshl_add_u32 v4, v4, 2, 0
	ds_add_f32 v4, v3 offset:32768
	v_add_u32_e32 v2, 0x400, v2
	v_cmp_le_i32_e32 vcc, s18, v2
	s_or_b64 s[0:1], vcc, s[0:1]
	s_andn2_b64 exec, exec, s[0:1]
	s_cbranch_execz .LBB12_38
.LBB12_29:                              ; =>This Loop Header: Depth=1
                                        ;     Child Loop BB12_32 Depth 2
	v_ashrrev_i32_e32 v3, 31, v2
	v_lshlrev_b64 v[4:5], 2, v[2:3]
	s_waitcnt lgkmcnt(0)
	v_lshl_add_u64 v[8:9], s[4:5], 0, v[4:5]
	global_load_dword v7, v[8:9], off
	v_lshl_add_u64 v[4:5], s[6:7], 0, v[4:5]
	global_load_dword v3, v[4:5], off
	s_waitcnt vmcnt(1)
	v_subrev_u32_e32 v5, s67, v7
	v_mul_lo_u32 v4, v5, s19
	v_and_b32_e32 v4, 0x1fff, v4
	v_lshl_add_u32 v7, v4, 2, 0
	ds_read_b32 v8, v7
	s_waitcnt lgkmcnt(0)
	v_cmp_ne_u32_e32 vcc, v8, v5
	s_and_saveexec_b64 s[8:9], vcc
	s_cbranch_execz .LBB12_28
; %bb.30:                               ;   in Loop: Header=BB12_29 Depth=1
	s_mov_b64 s[10:11], 0
	s_branch .LBB12_32
.LBB12_31:                              ;   in Loop: Header=BB12_32 Depth=2
	s_or_b64 exec, exec, s[16:17]
	s_and_b64 s[12:13], exec, s[14:15]
	s_or_b64 s[10:11], s[12:13], s[10:11]
	s_andn2_b64 exec, exec, s[10:11]
	s_cbranch_execz .LBB12_27
.LBB12_32:                              ;   Parent Loop BB12_29 Depth=1
                                        ; =>  This Inner Loop Header: Depth=2
	v_cmp_ne_u32_e32 vcc, s33, v8
	s_mov_b64 s[12:13], 0
	s_and_saveexec_b64 s[14:15], vcc
	s_xor_b64 s[14:15], exec, s[14:15]
	s_cbranch_execz .LBB12_34
; %bb.33:                               ;   in Loop: Header=BB12_32 Depth=2
	v_add_u32_e32 v4, 1, v4
	s_mov_b64 s[12:13], exec
	v_and_b32_e32 v4, 0x1fff, v4
                                        ; implicit-def: $vgpr7
	s_andn2_saveexec_b64 s[14:15], s[14:15]
	s_cbranch_execz .LBB12_36
	s_branch .LBB12_35
.LBB12_34:                              ;   in Loop: Header=BB12_32 Depth=2
	s_andn2_saveexec_b64 s[14:15], s[14:15]
	s_cbranch_execz .LBB12_36
.LBB12_35:                              ;   in Loop: Header=BB12_32 Depth=2
	v_mov_b32_e32 v8, s33
	ds_cmpst_rtn_b32 v7, v7, v8, v5
	s_andn2_b64 s[12:13], s[12:13], exec
	s_waitcnt lgkmcnt(0)
	v_cmp_ne_u32_e32 vcc, s33, v7
	s_and_b64 s[16:17], vcc, exec
	s_or_b64 s[12:13], s[12:13], s[16:17]
.LBB12_36:                              ;   in Loop: Header=BB12_32 Depth=2
	s_or_b64 exec, exec, s[14:15]
	s_mov_b64 s[14:15], -1
                                        ; implicit-def: $vgpr7
                                        ; implicit-def: $vgpr8
	s_and_saveexec_b64 s[16:17], s[12:13]
	s_cbranch_execz .LBB12_31
; %bb.37:                               ;   in Loop: Header=BB12_32 Depth=2
	v_lshl_add_u32 v7, v4, 2, 0
	ds_read_b32 v8, v7
	s_waitcnt lgkmcnt(0)
	v_cmp_eq_u32_e32 vcc, v8, v5
	s_orn2_b64 s[14:15], vcc, exec
	s_branch .LBB12_31
.LBB12_38:
	s_or_b64 exec, exec, s[2:3]
.LBB12_39:
	v_writelane_b32 v22, s20, 4
	s_add_i32 s0, 0, 0x10000
	v_lshrrev_b32_e32 v4, 3, v0
	v_writelane_b32 v22, s21, 5
	v_writelane_b32 v22, s0, 6
	s_add_i32 s60, 0, 0x10004
	v_mbcnt_lo_u32_b32 v2, -1, 0
	v_and_b32_e32 v4, 0x7c, v4
	v_writelane_b32 v22, s60, 7
	s_add_i32 s60, 0, 0x10008
	v_mbcnt_hi_u32_b32 v2, -1, v2
	v_add_u32_e32 v6, s0, v4
	s_movk_i32 s0, 0x3ff
	v_writelane_b32 v22, s60, 8
	s_add_i32 s60, 0, 0x1000c
	v_sub_u32_e32 v2, 63, v2
	v_cmp_eq_u32_e32 vcc, s0, v0
	s_movk_i32 s0, 0x5f
	s_movk_i32 s2, 0x7f
	;; [unrolled: 1-line block ×29, first 2 shown]
	v_writelane_b32 v22, s60, 9
	s_add_i32 s60, 0, 0x10014
	v_lshrrev_b64 v[2:3], v2, -1
	v_cmp_lt_u32_e64 s[0:1], s0, v0
	v_cmp_lt_u32_e64 s[2:3], s2, v0
	;; [unrolled: 1-line block ×29, first 2 shown]
	v_or_b32_e32 v7, 0xfffffc00, v0
	v_mov_b32_e32 v8, 0
	s_add_i32 s79, 0, 0x10010
	v_writelane_b32 v22, s60, 10
	s_add_i32 s82, 0, 0x10018
	s_add_i32 s83, 0, 0x1001c
	s_add_i32 s84, 0, 0x10020
	s_add_i32 s85, 0, 0x10024
	s_add_i32 s86, 0, 0x10028
	s_add_i32 s87, 0, 0x1002c
	s_add_i32 s88, 0, 0x10030
	s_add_i32 s89, 0, 0x10034
	s_add_i32 s90, 0, 0x10038
	s_add_i32 s91, 0, 0x1003c
	s_add_i32 s92, 0, 0x10040
	s_add_i32 s93, 0, 0x10044
	s_add_i32 s94, 0, 0x10048
	s_add_i32 s95, 0, 0x1004c
	s_add_i32 s96, 0, 0x10050
	s_add_i32 s97, 0, 0x10054
	s_add_i32 s98, 0, 0x10058
	s_add_i32 s99, 0, 0x1005c
	s_add_i32 s72, 0, 0x10060
	s_add_i32 s73, 0, 0x10064
	s_add_i32 s70, 0, 0x10068
	s_add_i32 s68, 0, 0x1006c
	s_add_i32 s69, 0, 0x10070
	s_add_i32 s67, 0, 0x10074
	s_add_i32 s71, 0, 0x10078
	s_add_i32 s78, 0, 0x1007c
	v_cmp_lt_u32_e64 s[60:61], 31, v0
	v_cmp_lt_u32_e64 s[62:63], 63, v0
	s_mov_b64 s[74:75], 0
	s_waitcnt lgkmcnt(0)
	s_barrier
	s_branch .LBB12_41
.LBB12_40:                              ;   in Loop: Header=BB12_41 Depth=1
	s_or_b64 exec, exec, s[64:65]
	v_mov_b32_e32 v4, s78
	s_waitcnt lgkmcnt(0)
	s_barrier
	ds_read_b32 v4, v4
	v_add_u32_e32 v7, 0x400, v7
	s_movk_i32 s64, 0x1bff
	v_cmp_lt_u32_e64 s[64:65], s64, v7
	s_or_b64 s[74:75], s[64:65], s[74:75]
	s_waitcnt lgkmcnt(0)
	v_add_u32_e32 v8, v4, v8
	v_add_u32_e32 v1, 0x1000, v1
	s_andn2_b64 exec, exec, s[74:75]
	s_cbranch_execz .LBB12_107
.LBB12_41:                              ; =>This Inner Loop Header: Depth=1
	ds_read2st64_b32 v[4:5], v1 offset1:128
	s_waitcnt lgkmcnt(0)
	s_barrier
	v_cmp_gt_i32_e64 s[64:65], s33, v4
	s_bcnt1_i32_b64 s76, s[64:65]
	s_nop 0
	v_and_b32_e32 v10, s64, v2
	v_and_b32_e32 v9, s65, v3
	v_bcnt_u32_b32 v10, v10, 0
	v_bcnt_u32_b32 v9, v9, v10
	v_mov_b32_e32 v10, s76
	ds_write_b32 v6, v10
	s_waitcnt lgkmcnt(0)
	s_barrier
	s_and_saveexec_b64 s[76:77], s[60:61]
	s_cbranch_execz .LBB12_74
; %bb.42:                               ;   in Loop: Header=BB12_41 Depth=1
	v_readlane_b32 s80, v22, 6
	s_nop 1
	v_mov_b32_e32 v10, s80
	ds_read_b32 v10, v10
	s_waitcnt lgkmcnt(0)
	v_add_u32_e32 v9, v10, v9
	s_or_b64 exec, exec, s[76:77]
	s_and_saveexec_b64 s[76:77], s[62:63]
	s_cbranch_execnz .LBB12_75
.LBB12_43:                              ;   in Loop: Header=BB12_41 Depth=1
	s_or_b64 exec, exec, s[76:77]
	s_and_saveexec_b64 s[76:77], s[0:1]
	s_cbranch_execz .LBB12_76
.LBB12_44:                              ;   in Loop: Header=BB12_41 Depth=1
	v_readlane_b32 s80, v22, 8
	s_nop 1
	v_mov_b32_e32 v10, s80
	ds_read_b32 v10, v10
	s_waitcnt lgkmcnt(0)
	v_add_u32_e32 v9, v10, v9
	s_or_b64 exec, exec, s[76:77]
	s_and_saveexec_b64 s[76:77], s[2:3]
	s_cbranch_execnz .LBB12_77
.LBB12_45:                              ;   in Loop: Header=BB12_41 Depth=1
	s_or_b64 exec, exec, s[76:77]
	s_and_saveexec_b64 s[76:77], s[4:5]
	s_cbranch_execz .LBB12_78
.LBB12_46:                              ;   in Loop: Header=BB12_41 Depth=1
	v_mov_b32_e32 v10, s79
	ds_read_b32 v10, v10
	s_waitcnt lgkmcnt(0)
	v_add_u32_e32 v9, v10, v9
	s_or_b64 exec, exec, s[76:77]
	s_and_saveexec_b64 s[76:77], s[6:7]
	s_cbranch_execnz .LBB12_79
.LBB12_47:                              ;   in Loop: Header=BB12_41 Depth=1
	s_or_b64 exec, exec, s[76:77]
	s_and_saveexec_b64 s[76:77], s[8:9]
	s_cbranch_execz .LBB12_80
.LBB12_48:                              ;   in Loop: Header=BB12_41 Depth=1
	v_mov_b32_e32 v10, s82
	ds_read_b32 v10, v10
	s_waitcnt lgkmcnt(0)
	v_add_u32_e32 v9, v10, v9
	s_or_b64 exec, exec, s[76:77]
	s_and_saveexec_b64 s[76:77], s[10:11]
	s_cbranch_execnz .LBB12_81
.LBB12_49:                              ;   in Loop: Header=BB12_41 Depth=1
	s_or_b64 exec, exec, s[76:77]
	s_and_saveexec_b64 s[76:77], s[12:13]
	s_cbranch_execz .LBB12_82
.LBB12_50:                              ;   in Loop: Header=BB12_41 Depth=1
	v_mov_b32_e32 v10, s84
	ds_read_b32 v10, v10
	s_waitcnt lgkmcnt(0)
	v_add_u32_e32 v9, v10, v9
	s_or_b64 exec, exec, s[76:77]
	s_and_saveexec_b64 s[76:77], s[14:15]
	s_cbranch_execnz .LBB12_83
.LBB12_51:                              ;   in Loop: Header=BB12_41 Depth=1
	s_or_b64 exec, exec, s[76:77]
	s_and_saveexec_b64 s[76:77], s[16:17]
	s_cbranch_execz .LBB12_84
.LBB12_52:                              ;   in Loop: Header=BB12_41 Depth=1
	v_mov_b32_e32 v10, s86
	ds_read_b32 v10, v10
	s_waitcnt lgkmcnt(0)
	v_add_u32_e32 v9, v10, v9
	s_or_b64 exec, exec, s[76:77]
	s_and_saveexec_b64 s[76:77], s[18:19]
	s_cbranch_execnz .LBB12_85
.LBB12_53:                              ;   in Loop: Header=BB12_41 Depth=1
	s_or_b64 exec, exec, s[76:77]
	s_and_saveexec_b64 s[76:77], s[20:21]
	s_cbranch_execz .LBB12_86
.LBB12_54:                              ;   in Loop: Header=BB12_41 Depth=1
	v_mov_b32_e32 v10, s88
	ds_read_b32 v10, v10
	s_waitcnt lgkmcnt(0)
	v_add_u32_e32 v9, v10, v9
	s_or_b64 exec, exec, s[76:77]
	s_and_saveexec_b64 s[76:77], s[22:23]
	s_cbranch_execnz .LBB12_87
.LBB12_55:                              ;   in Loop: Header=BB12_41 Depth=1
	s_or_b64 exec, exec, s[76:77]
	s_and_saveexec_b64 s[76:77], s[24:25]
	s_cbranch_execz .LBB12_88
.LBB12_56:                              ;   in Loop: Header=BB12_41 Depth=1
	v_mov_b32_e32 v10, s90
	ds_read_b32 v10, v10
	s_waitcnt lgkmcnt(0)
	v_add_u32_e32 v9, v10, v9
	s_or_b64 exec, exec, s[76:77]
	s_and_saveexec_b64 s[76:77], s[26:27]
	s_cbranch_execnz .LBB12_89
.LBB12_57:                              ;   in Loop: Header=BB12_41 Depth=1
	s_or_b64 exec, exec, s[76:77]
	s_and_saveexec_b64 s[76:77], s[28:29]
	s_cbranch_execz .LBB12_90
.LBB12_58:                              ;   in Loop: Header=BB12_41 Depth=1
	v_mov_b32_e32 v10, s92
	ds_read_b32 v10, v10
	s_waitcnt lgkmcnt(0)
	v_add_u32_e32 v9, v10, v9
	s_or_b64 exec, exec, s[76:77]
	s_and_saveexec_b64 s[76:77], s[30:31]
	s_cbranch_execnz .LBB12_91
.LBB12_59:                              ;   in Loop: Header=BB12_41 Depth=1
	s_or_b64 exec, exec, s[76:77]
	s_and_saveexec_b64 s[76:77], s[34:35]
	s_cbranch_execz .LBB12_92
.LBB12_60:                              ;   in Loop: Header=BB12_41 Depth=1
	v_mov_b32_e32 v10, s94
	ds_read_b32 v10, v10
	s_waitcnt lgkmcnt(0)
	v_add_u32_e32 v9, v10, v9
	s_or_b64 exec, exec, s[76:77]
	s_and_saveexec_b64 s[76:77], s[36:37]
	s_cbranch_execnz .LBB12_93
.LBB12_61:                              ;   in Loop: Header=BB12_41 Depth=1
	s_or_b64 exec, exec, s[76:77]
	s_and_saveexec_b64 s[76:77], s[38:39]
	s_cbranch_execz .LBB12_94
.LBB12_62:                              ;   in Loop: Header=BB12_41 Depth=1
	v_mov_b32_e32 v10, s96
	ds_read_b32 v10, v10
	s_waitcnt lgkmcnt(0)
	v_add_u32_e32 v9, v10, v9
	s_or_b64 exec, exec, s[76:77]
	s_and_saveexec_b64 s[76:77], s[40:41]
	s_cbranch_execnz .LBB12_95
.LBB12_63:                              ;   in Loop: Header=BB12_41 Depth=1
	s_or_b64 exec, exec, s[76:77]
	s_and_saveexec_b64 s[76:77], s[42:43]
	s_cbranch_execz .LBB12_96
.LBB12_64:                              ;   in Loop: Header=BB12_41 Depth=1
	v_mov_b32_e32 v10, s98
	ds_read_b32 v10, v10
	s_waitcnt lgkmcnt(0)
	v_add_u32_e32 v9, v10, v9
	s_or_b64 exec, exec, s[76:77]
	s_and_saveexec_b64 s[76:77], s[44:45]
	s_cbranch_execnz .LBB12_97
.LBB12_65:                              ;   in Loop: Header=BB12_41 Depth=1
	s_or_b64 exec, exec, s[76:77]
	s_and_saveexec_b64 s[76:77], s[46:47]
	s_cbranch_execz .LBB12_98
.LBB12_66:                              ;   in Loop: Header=BB12_41 Depth=1
	v_mov_b32_e32 v10, s72
	ds_read_b32 v10, v10
	s_waitcnt lgkmcnt(0)
	v_add_u32_e32 v9, v10, v9
	s_or_b64 exec, exec, s[76:77]
	s_and_saveexec_b64 s[76:77], s[48:49]
	s_cbranch_execnz .LBB12_99
.LBB12_67:                              ;   in Loop: Header=BB12_41 Depth=1
	s_or_b64 exec, exec, s[76:77]
	s_and_saveexec_b64 s[76:77], s[50:51]
	s_cbranch_execz .LBB12_100
.LBB12_68:                              ;   in Loop: Header=BB12_41 Depth=1
	v_mov_b32_e32 v10, s70
	ds_read_b32 v10, v10
	s_waitcnt lgkmcnt(0)
	v_add_u32_e32 v9, v10, v9
	s_or_b64 exec, exec, s[76:77]
	s_and_saveexec_b64 s[76:77], s[52:53]
	s_cbranch_execnz .LBB12_101
.LBB12_69:                              ;   in Loop: Header=BB12_41 Depth=1
	s_or_b64 exec, exec, s[76:77]
	s_and_saveexec_b64 s[76:77], s[54:55]
	s_cbranch_execz .LBB12_102
.LBB12_70:                              ;   in Loop: Header=BB12_41 Depth=1
	v_mov_b32_e32 v10, s69
	ds_read_b32 v10, v10
	s_waitcnt lgkmcnt(0)
	v_add_u32_e32 v9, v10, v9
	s_or_b64 exec, exec, s[76:77]
	s_and_saveexec_b64 s[76:77], s[56:57]
	s_cbranch_execnz .LBB12_103
.LBB12_71:                              ;   in Loop: Header=BB12_41 Depth=1
	s_or_b64 exec, exec, s[76:77]
	s_and_saveexec_b64 s[76:77], s[58:59]
	s_cbranch_execz .LBB12_104
.LBB12_72:                              ;   in Loop: Header=BB12_41 Depth=1
	v_mov_b32_e32 v10, s71
	ds_read_b32 v10, v10
	s_waitcnt lgkmcnt(0)
	v_add_u32_e32 v9, v10, v9
	s_or_b64 exec, exec, s[76:77]
	s_and_saveexec_b64 s[76:77], s[64:65]
	s_cbranch_execnz .LBB12_105
.LBB12_73:                              ;   in Loop: Header=BB12_41 Depth=1
	s_or_b64 exec, exec, s[76:77]
	s_and_saveexec_b64 s[64:65], vcc
	s_cbranch_execz .LBB12_40
	s_branch .LBB12_106
.LBB12_74:                              ;   in Loop: Header=BB12_41 Depth=1
	s_or_b64 exec, exec, s[76:77]
	s_and_saveexec_b64 s[76:77], s[62:63]
	s_cbranch_execz .LBB12_43
.LBB12_75:                              ;   in Loop: Header=BB12_41 Depth=1
	v_readlane_b32 s80, v22, 7
	s_nop 1
	v_mov_b32_e32 v10, s80
	ds_read_b32 v10, v10
	s_waitcnt lgkmcnt(0)
	v_add_u32_e32 v9, v10, v9
	s_or_b64 exec, exec, s[76:77]
	s_and_saveexec_b64 s[76:77], s[0:1]
	s_cbranch_execnz .LBB12_44
.LBB12_76:                              ;   in Loop: Header=BB12_41 Depth=1
	s_or_b64 exec, exec, s[76:77]
	s_and_saveexec_b64 s[76:77], s[2:3]
	s_cbranch_execz .LBB12_45
.LBB12_77:                              ;   in Loop: Header=BB12_41 Depth=1
	v_readlane_b32 s80, v22, 9
	s_nop 1
	v_mov_b32_e32 v10, s80
	ds_read_b32 v10, v10
	s_waitcnt lgkmcnt(0)
	v_add_u32_e32 v9, v10, v9
	s_or_b64 exec, exec, s[76:77]
	s_and_saveexec_b64 s[76:77], s[4:5]
	s_cbranch_execnz .LBB12_46
.LBB12_78:                              ;   in Loop: Header=BB12_41 Depth=1
	s_or_b64 exec, exec, s[76:77]
	s_and_saveexec_b64 s[76:77], s[6:7]
	s_cbranch_execz .LBB12_47
.LBB12_79:                              ;   in Loop: Header=BB12_41 Depth=1
	v_readlane_b32 s80, v22, 10
	s_nop 1
	v_mov_b32_e32 v10, s80
	ds_read_b32 v10, v10
	s_waitcnt lgkmcnt(0)
	v_add_u32_e32 v9, v10, v9
	s_or_b64 exec, exec, s[76:77]
	s_and_saveexec_b64 s[76:77], s[8:9]
	s_cbranch_execnz .LBB12_48
.LBB12_80:                              ;   in Loop: Header=BB12_41 Depth=1
	s_or_b64 exec, exec, s[76:77]
	s_and_saveexec_b64 s[76:77], s[10:11]
	s_cbranch_execz .LBB12_49
.LBB12_81:                              ;   in Loop: Header=BB12_41 Depth=1
	v_mov_b32_e32 v10, s83
	ds_read_b32 v10, v10
	s_waitcnt lgkmcnt(0)
	v_add_u32_e32 v9, v10, v9
	s_or_b64 exec, exec, s[76:77]
	s_and_saveexec_b64 s[76:77], s[12:13]
	s_cbranch_execnz .LBB12_50
.LBB12_82:                              ;   in Loop: Header=BB12_41 Depth=1
	s_or_b64 exec, exec, s[76:77]
	s_and_saveexec_b64 s[76:77], s[14:15]
	s_cbranch_execz .LBB12_51
.LBB12_83:                              ;   in Loop: Header=BB12_41 Depth=1
	v_mov_b32_e32 v10, s85
	ds_read_b32 v10, v10
	s_waitcnt lgkmcnt(0)
	v_add_u32_e32 v9, v10, v9
	s_or_b64 exec, exec, s[76:77]
	s_and_saveexec_b64 s[76:77], s[16:17]
	s_cbranch_execnz .LBB12_52
.LBB12_84:                              ;   in Loop: Header=BB12_41 Depth=1
	s_or_b64 exec, exec, s[76:77]
	s_and_saveexec_b64 s[76:77], s[18:19]
	s_cbranch_execz .LBB12_53
.LBB12_85:                              ;   in Loop: Header=BB12_41 Depth=1
	v_mov_b32_e32 v10, s87
	ds_read_b32 v10, v10
	s_waitcnt lgkmcnt(0)
	v_add_u32_e32 v9, v10, v9
	s_or_b64 exec, exec, s[76:77]
	s_and_saveexec_b64 s[76:77], s[20:21]
	s_cbranch_execnz .LBB12_54
.LBB12_86:                              ;   in Loop: Header=BB12_41 Depth=1
	s_or_b64 exec, exec, s[76:77]
	s_and_saveexec_b64 s[76:77], s[22:23]
	s_cbranch_execz .LBB12_55
.LBB12_87:                              ;   in Loop: Header=BB12_41 Depth=1
	v_mov_b32_e32 v10, s89
	ds_read_b32 v10, v10
	s_waitcnt lgkmcnt(0)
	v_add_u32_e32 v9, v10, v9
	s_or_b64 exec, exec, s[76:77]
	s_and_saveexec_b64 s[76:77], s[24:25]
	s_cbranch_execnz .LBB12_56
.LBB12_88:                              ;   in Loop: Header=BB12_41 Depth=1
	s_or_b64 exec, exec, s[76:77]
	s_and_saveexec_b64 s[76:77], s[26:27]
	s_cbranch_execz .LBB12_57
.LBB12_89:                              ;   in Loop: Header=BB12_41 Depth=1
	v_mov_b32_e32 v10, s91
	ds_read_b32 v10, v10
	s_waitcnt lgkmcnt(0)
	v_add_u32_e32 v9, v10, v9
	s_or_b64 exec, exec, s[76:77]
	s_and_saveexec_b64 s[76:77], s[28:29]
	s_cbranch_execnz .LBB12_58
.LBB12_90:                              ;   in Loop: Header=BB12_41 Depth=1
	s_or_b64 exec, exec, s[76:77]
	s_and_saveexec_b64 s[76:77], s[30:31]
	s_cbranch_execz .LBB12_59
.LBB12_91:                              ;   in Loop: Header=BB12_41 Depth=1
	v_mov_b32_e32 v10, s93
	ds_read_b32 v10, v10
	s_waitcnt lgkmcnt(0)
	v_add_u32_e32 v9, v10, v9
	s_or_b64 exec, exec, s[76:77]
	s_and_saveexec_b64 s[76:77], s[34:35]
	s_cbranch_execnz .LBB12_60
.LBB12_92:                              ;   in Loop: Header=BB12_41 Depth=1
	s_or_b64 exec, exec, s[76:77]
	s_and_saveexec_b64 s[76:77], s[36:37]
	s_cbranch_execz .LBB12_61
.LBB12_93:                              ;   in Loop: Header=BB12_41 Depth=1
	v_mov_b32_e32 v10, s95
	ds_read_b32 v10, v10
	s_waitcnt lgkmcnt(0)
	v_add_u32_e32 v9, v10, v9
	s_or_b64 exec, exec, s[76:77]
	s_and_saveexec_b64 s[76:77], s[38:39]
	s_cbranch_execnz .LBB12_62
.LBB12_94:                              ;   in Loop: Header=BB12_41 Depth=1
	s_or_b64 exec, exec, s[76:77]
	s_and_saveexec_b64 s[76:77], s[40:41]
	s_cbranch_execz .LBB12_63
.LBB12_95:                              ;   in Loop: Header=BB12_41 Depth=1
	v_mov_b32_e32 v10, s97
	ds_read_b32 v10, v10
	s_waitcnt lgkmcnt(0)
	v_add_u32_e32 v9, v10, v9
	s_or_b64 exec, exec, s[76:77]
	s_and_saveexec_b64 s[76:77], s[42:43]
	s_cbranch_execnz .LBB12_64
.LBB12_96:                              ;   in Loop: Header=BB12_41 Depth=1
	s_or_b64 exec, exec, s[76:77]
	s_and_saveexec_b64 s[76:77], s[44:45]
	s_cbranch_execz .LBB12_65
.LBB12_97:                              ;   in Loop: Header=BB12_41 Depth=1
	v_mov_b32_e32 v10, s99
	ds_read_b32 v10, v10
	s_waitcnt lgkmcnt(0)
	v_add_u32_e32 v9, v10, v9
	s_or_b64 exec, exec, s[76:77]
	s_and_saveexec_b64 s[76:77], s[46:47]
	s_cbranch_execnz .LBB12_66
.LBB12_98:                              ;   in Loop: Header=BB12_41 Depth=1
	s_or_b64 exec, exec, s[76:77]
	s_and_saveexec_b64 s[76:77], s[48:49]
	s_cbranch_execz .LBB12_67
.LBB12_99:                              ;   in Loop: Header=BB12_41 Depth=1
	v_mov_b32_e32 v10, s73
	ds_read_b32 v10, v10
	s_waitcnt lgkmcnt(0)
	v_add_u32_e32 v9, v10, v9
	s_or_b64 exec, exec, s[76:77]
	s_and_saveexec_b64 s[76:77], s[50:51]
	s_cbranch_execnz .LBB12_68
.LBB12_100:                             ;   in Loop: Header=BB12_41 Depth=1
	s_or_b64 exec, exec, s[76:77]
	s_and_saveexec_b64 s[76:77], s[52:53]
	s_cbranch_execz .LBB12_69
.LBB12_101:                             ;   in Loop: Header=BB12_41 Depth=1
	v_mov_b32_e32 v10, s68
	ds_read_b32 v10, v10
	s_waitcnt lgkmcnt(0)
	v_add_u32_e32 v9, v10, v9
	s_or_b64 exec, exec, s[76:77]
	s_and_saveexec_b64 s[76:77], s[54:55]
	s_cbranch_execnz .LBB12_70
.LBB12_102:                             ;   in Loop: Header=BB12_41 Depth=1
	s_or_b64 exec, exec, s[76:77]
	s_and_saveexec_b64 s[76:77], s[56:57]
	s_cbranch_execz .LBB12_71
.LBB12_103:                             ;   in Loop: Header=BB12_41 Depth=1
	v_mov_b32_e32 v10, s67
	ds_read_b32 v10, v10
	s_waitcnt lgkmcnt(0)
	v_add_u32_e32 v9, v10, v9
	s_or_b64 exec, exec, s[76:77]
	s_and_saveexec_b64 s[76:77], s[58:59]
	s_cbranch_execnz .LBB12_72
.LBB12_104:                             ;   in Loop: Header=BB12_41 Depth=1
	s_or_b64 exec, exec, s[76:77]
	s_and_saveexec_b64 s[76:77], s[64:65]
	s_cbranch_execz .LBB12_73
.LBB12_105:                             ;   in Loop: Header=BB12_41 Depth=1
	v_add3_u32 v10, v8, -1, v9
	v_lshl_add_u32 v10, v10, 2, 0
	v_add_u32_e32 v11, v8, v9
	v_lshl_add_u32 v11, v11, 2, 0
	ds_write_b32 v10, v4
	ds_write_b32 v11, v5 offset:32764
	s_or_b64 exec, exec, s[76:77]
	s_and_saveexec_b64 s[64:65], vcc
	s_cbranch_execz .LBB12_40
.LBB12_106:                             ;   in Loop: Header=BB12_41 Depth=1
	v_mov_b32_e32 v4, s78
	ds_write_b32 v4, v9
	s_branch .LBB12_40
.LBB12_107:
	s_or_b64 exec, exec, s[74:75]
	v_readlane_b32 s0, v22, 0
	v_readlane_b32 s1, v22, 1
	s_ashr_i32 s1, s0, 31
	s_lshl_b64 s[0:1], s[0:1], 2
	v_readlane_b32 s2, v22, 2
	v_readlane_b32 s3, v22, 3
	s_add_u32 s2, s2, s0
	s_addc_u32 s3, s3, s1
	s_load_dwordx2 s[0:1], s[2:3], 0x0
	s_waitcnt lgkmcnt(0)
	s_sub_i32 s14, s1, s0
	v_cmp_gt_i32_e32 vcc, s14, v0
	s_and_saveexec_b64 s[2:3], vcc
	v_readlane_b32 s22, v22, 4
	v_readlane_b32 s23, v22, 5
	s_cbranch_execz .LBB12_121
; %bb.108:
	s_sub_i32 s8, s0, s66
	v_sub_co_u32_e64 v1, s[0:1], s14, 2
	s_nop 0
	v_readfirstlane_b32 s2, v1
	s_lshr_b32 s2, s2, 1
	s_add_i32 s2, s2, 1
	s_xor_b64 s[0:1], s[0:1], -1
	s_and_b32 s15, s14, -2
	s_and_b32 s3, s2, 7
	s_and_b32 s16, s2, -8
	s_cmp_lg_u32 s3, 0
	v_cmp_lt_u32_e32 vcc, 13, v1
	s_cselect_b64 s[4:5], -1, 0
	s_cmp_lg_u32 s14, s15
	v_cndmask_b32_e64 v1, 0, 1, vcc
	s_cselect_b64 s[10:11], -1, 0
	s_lshl_b32 s17, s3, 3
	v_cndmask_b32_e64 v2, 0, 1, s[0:1]
	v_cmp_ne_u32_e64 s[2:3], 1, v1
	v_cndmask_b32_e64 v1, 0, 1, s[4:5]
	s_mov_b32 s9, 0
	s_mov_b64 s[12:13], 0
	v_cmp_ne_u32_e64 s[0:1], 1, v2
	v_cmp_ne_u32_e64 s[4:5], 1, v1
	s_branch .LBB12_110
.LBB12_109:                             ;   in Loop: Header=BB12_110 Depth=1
	v_add_u32_e32 v0, 0x400, v0
	v_ashrrev_i32_e32 v5, 31, v4
	v_cmp_le_i32_e32 vcc, s14, v0
	v_lshl_add_u64 v[4:5], v[4:5], 2, s[22:23]
	s_or_b64 s[12:13], vcc, s[12:13]
	s_waitcnt lgkmcnt(0)
	global_store_dword v[4:5], v3, off
	s_andn2_b64 exec, exec, s[12:13]
	s_cbranch_execz .LBB12_121
.LBB12_110:                             ; =>This Loop Header: Depth=1
                                        ;     Child Loop BB12_113 Depth 2
                                        ;     Child Loop BB12_116 Depth 2
	;; [unrolled: 1-line block ×3, first 2 shown]
	v_lshl_add_u32 v1, v0, 2, 0
	ds_read2st64_b32 v[2:3], v1 offset1:128
	s_and_b64 vcc, exec, s[0:1]
	v_mov_b32_e32 v4, s8
	s_mov_b32 s18, 0
	s_mov_b64 s[6:7], -1
	s_cbranch_vccnz .LBB12_118
; %bb.111:                              ;   in Loop: Header=BB12_110 Depth=1
	s_and_b64 vcc, exec, s[2:3]
	v_mov_b64_e32 v[4:5], s[8:9]
	s_cbranch_vccnz .LBB12_114
; %bb.112:                              ;   in Loop: Header=BB12_110 Depth=1
	s_mov_b32 s19, 0
	v_mov_b32_e32 v4, s8
	v_mov_b32_e32 v5, 0
	s_mov_b32 s20, s16
.LBB12_113:                             ;   Parent Loop BB12_110 Depth=1
                                        ; =>  This Inner Loop Header: Depth=2
	v_mov_b32_e32 v1, s19
	ds_read2_b32 v[6:7], v1 offset1:1
	ds_read2_b32 v[8:9], v1 offset0:2 offset1:3
	ds_read2_b32 v[10:11], v1 offset0:4 offset1:5
	;; [unrolled: 1-line block ×7, first 2 shown]
	s_waitcnt lgkmcnt(7)
	v_cmp_gt_i32_e32 vcc, v2, v7
	s_waitcnt lgkmcnt(5)
	v_cmp_gt_i32_e64 s[6:7], v2, v10
	s_add_i32 s18, s18, 16
	v_cndmask_b32_e64 v1, 0, 1, vcc
	v_cmp_gt_i32_e32 vcc, v2, v6
	v_cndmask_b32_e64 v7, 0, 1, s[6:7]
	v_cmp_gt_i32_e64 s[6:7], v2, v11
	v_cndmask_b32_e64 v6, 0, 1, vcc
	v_cmp_gt_i32_e32 vcc, v2, v9
	v_cndmask_b32_e64 v9, 0, 1, s[6:7]
	s_waitcnt lgkmcnt(3)
	v_cmp_gt_i32_e64 s[6:7], v2, v15
	v_addc_co_u32_e32 v1, vcc, v5, v1, vcc
	s_nop 0
	v_cndmask_b32_e64 v10, 0, 1, s[6:7]
	v_cmp_gt_i32_e64 s[6:7], v2, v14
	v_cmp_gt_i32_e32 vcc, v2, v12
	s_add_i32 s19, s19, 64
	v_cndmask_b32_e64 v11, 0, 1, s[6:7]
	s_waitcnt lgkmcnt(1)
	v_cmp_gt_i32_e64 s[6:7], v2, v18
	s_add_i32 s20, s20, -8
	s_cmp_lg_u32 s20, 0
	v_cndmask_b32_e64 v14, 0, 1, s[6:7]
	v_cmp_gt_i32_e64 s[6:7], v2, v19
	s_nop 1
	v_cndmask_b32_e64 v15, 0, 1, s[6:7]
	v_cmp_gt_i32_e64 s[6:7], v2, v8
	s_nop 1
	v_addc_co_u32_e64 v4, s[6:7], v4, v6, s[6:7]
	v_cmp_gt_i32_e64 s[6:7], v2, v13
	v_addc_co_u32_e32 v4, vcc, v4, v7, vcc
	s_nop 0
	v_addc_co_u32_e64 v1, s[6:7], v1, v9, s[6:7]
	v_cmp_gt_i32_e32 vcc, v2, v17
	v_cmp_gt_i32_e64 s[6:7], v2, v16
	s_nop 0
	v_addc_co_u32_e32 v1, vcc, v1, v10, vcc
	v_addc_co_u32_e64 v4, s[6:7], v4, v11, s[6:7]
	s_waitcnt lgkmcnt(0)
	v_cmp_gt_i32_e32 vcc, v2, v20
	v_cmp_gt_i32_e64 s[6:7], v2, v21
	s_nop 0
	v_addc_co_u32_e32 v4, vcc, v4, v14, vcc
	v_addc_co_u32_e64 v5, s[6:7], v1, v15, s[6:7]
	s_cbranch_scc1 .LBB12_113
.LBB12_114:                             ;   in Loop: Header=BB12_110 Depth=1
	s_and_b64 vcc, exec, s[4:5]
	s_cbranch_vccnz .LBB12_117
; %bb.115:                              ;   in Loop: Header=BB12_110 Depth=1
	s_lshl_b32 s6, s18, 2
	s_add_i32 s6, s6, 0
	s_mov_b32 s7, s17
.LBB12_116:                             ;   Parent Loop BB12_110 Depth=1
                                        ; =>  This Inner Loop Header: Depth=2
	v_mov_b32_e32 v1, s6
	ds_read2_b32 v[6:7], v1 offset1:1
	s_add_i32 s6, s6, 8
	s_add_i32 s7, s7, -8
	s_cmp_lg_u32 s7, 0
	s_waitcnt lgkmcnt(0)
	v_cmp_gt_i32_e32 vcc, v2, v7
	s_nop 1
	v_addc_co_u32_e32 v5, vcc, 0, v5, vcc
	v_cmp_gt_i32_e32 vcc, v2, v6
	s_nop 1
	v_addc_co_u32_e32 v4, vcc, 0, v4, vcc
	s_cbranch_scc1 .LBB12_116
.LBB12_117:                             ;   in Loop: Header=BB12_110 Depth=1
	v_add_u32_e32 v4, v4, v5
	s_mov_b32 s18, s15
	s_mov_b64 s[6:7], s[10:11]
.LBB12_118:                             ;   in Loop: Header=BB12_110 Depth=1
	s_and_b64 vcc, exec, s[6:7]
	s_cbranch_vccz .LBB12_109
; %bb.119:                              ;   in Loop: Header=BB12_110 Depth=1
	s_lshl_b32 s6, s18, 2
	s_add_i32 s6, s6, 0
.LBB12_120:                             ;   Parent Loop BB12_110 Depth=1
                                        ; =>  This Inner Loop Header: Depth=2
	v_mov_b32_e32 v1, s6
	ds_read_b32 v1, v1
	s_add_i32 s18, s18, 1
	s_add_i32 s6, s6, 4
	s_cmp_ge_i32 s18, s14
	s_waitcnt lgkmcnt(0)
	v_cmp_gt_i32_e32 vcc, v2, v1
	s_nop 1
	v_addc_co_u32_e32 v4, vcc, 0, v4, vcc
	s_cbranch_scc0 .LBB12_120
	s_branch .LBB12_109
.LBB12_121:
	s_endpgm
	.section	.rodata,"a",@progbits
	.p2align	6, 0x0
	.amdhsa_kernel _ZN9rocsparseL41csrgemm_numeric_fill_block_per_row_kernelILj1024ELj64ELj8192ELj137ELj32EiifEEvT5_PKS1_S3_NS_24const_host_device_scalarIT6_EEPKT4_S3_PKS5_S9_S3_SB_S6_S9_S3_SB_S9_S3_PS5_21rocsparse_index_base_SD_SD_SD_bbb
		.amdhsa_group_segment_fixed_size 0
		.amdhsa_private_segment_fixed_size 0
		.amdhsa_kernarg_size 156
		.amdhsa_user_sgpr_count 2
		.amdhsa_user_sgpr_dispatch_ptr 0
		.amdhsa_user_sgpr_queue_ptr 0
		.amdhsa_user_sgpr_kernarg_segment_ptr 1
		.amdhsa_user_sgpr_dispatch_id 0
		.amdhsa_user_sgpr_kernarg_preload_length 0
		.amdhsa_user_sgpr_kernarg_preload_offset 0
		.amdhsa_user_sgpr_private_segment_size 0
		.amdhsa_uses_dynamic_stack 0
		.amdhsa_enable_private_segment 0
		.amdhsa_system_sgpr_workgroup_id_x 1
		.amdhsa_system_sgpr_workgroup_id_y 0
		.amdhsa_system_sgpr_workgroup_id_z 0
		.amdhsa_system_sgpr_workgroup_info 0
		.amdhsa_system_vgpr_workitem_id 0
		.amdhsa_next_free_vgpr 23
		.amdhsa_next_free_sgpr 100
		.amdhsa_accum_offset 24
		.amdhsa_reserve_vcc 1
		.amdhsa_float_round_mode_32 0
		.amdhsa_float_round_mode_16_64 0
		.amdhsa_float_denorm_mode_32 3
		.amdhsa_float_denorm_mode_16_64 3
		.amdhsa_dx10_clamp 1
		.amdhsa_ieee_mode 1
		.amdhsa_fp16_overflow 0
		.amdhsa_tg_split 0
		.amdhsa_exception_fp_ieee_invalid_op 0
		.amdhsa_exception_fp_denorm_src 0
		.amdhsa_exception_fp_ieee_div_zero 0
		.amdhsa_exception_fp_ieee_overflow 0
		.amdhsa_exception_fp_ieee_underflow 0
		.amdhsa_exception_fp_ieee_inexact 0
		.amdhsa_exception_int_div_zero 0
	.end_amdhsa_kernel
	.section	.text._ZN9rocsparseL41csrgemm_numeric_fill_block_per_row_kernelILj1024ELj64ELj8192ELj137ELj32EiifEEvT5_PKS1_S3_NS_24const_host_device_scalarIT6_EEPKT4_S3_PKS5_S9_S3_SB_S6_S9_S3_SB_S9_S3_PS5_21rocsparse_index_base_SD_SD_SD_bbb,"axG",@progbits,_ZN9rocsparseL41csrgemm_numeric_fill_block_per_row_kernelILj1024ELj64ELj8192ELj137ELj32EiifEEvT5_PKS1_S3_NS_24const_host_device_scalarIT6_EEPKT4_S3_PKS5_S9_S3_SB_S6_S9_S3_SB_S9_S3_PS5_21rocsparse_index_base_SD_SD_SD_bbb,comdat
.Lfunc_end12:
	.size	_ZN9rocsparseL41csrgemm_numeric_fill_block_per_row_kernelILj1024ELj64ELj8192ELj137ELj32EiifEEvT5_PKS1_S3_NS_24const_host_device_scalarIT6_EEPKT4_S3_PKS5_S9_S3_SB_S6_S9_S3_SB_S9_S3_PS5_21rocsparse_index_base_SD_SD_SD_bbb, .Lfunc_end12-_ZN9rocsparseL41csrgemm_numeric_fill_block_per_row_kernelILj1024ELj64ELj8192ELj137ELj32EiifEEvT5_PKS1_S3_NS_24const_host_device_scalarIT6_EEPKT4_S3_PKS5_S9_S3_SB_S6_S9_S3_SB_S9_S3_PS5_21rocsparse_index_base_SD_SD_SD_bbb
                                        ; -- End function
	.set _ZN9rocsparseL41csrgemm_numeric_fill_block_per_row_kernelILj1024ELj64ELj8192ELj137ELj32EiifEEvT5_PKS1_S3_NS_24const_host_device_scalarIT6_EEPKT4_S3_PKS5_S9_S3_SB_S6_S9_S3_SB_S9_S3_PS5_21rocsparse_index_base_SD_SD_SD_bbb.num_vgpr, 23
	.set _ZN9rocsparseL41csrgemm_numeric_fill_block_per_row_kernelILj1024ELj64ELj8192ELj137ELj32EiifEEvT5_PKS1_S3_NS_24const_host_device_scalarIT6_EEPKT4_S3_PKS5_S9_S3_SB_S6_S9_S3_SB_S9_S3_PS5_21rocsparse_index_base_SD_SD_SD_bbb.num_agpr, 0
	.set _ZN9rocsparseL41csrgemm_numeric_fill_block_per_row_kernelILj1024ELj64ELj8192ELj137ELj32EiifEEvT5_PKS1_S3_NS_24const_host_device_scalarIT6_EEPKT4_S3_PKS5_S9_S3_SB_S6_S9_S3_SB_S9_S3_PS5_21rocsparse_index_base_SD_SD_SD_bbb.numbered_sgpr, 100
	.set _ZN9rocsparseL41csrgemm_numeric_fill_block_per_row_kernelILj1024ELj64ELj8192ELj137ELj32EiifEEvT5_PKS1_S3_NS_24const_host_device_scalarIT6_EEPKT4_S3_PKS5_S9_S3_SB_S6_S9_S3_SB_S9_S3_PS5_21rocsparse_index_base_SD_SD_SD_bbb.num_named_barrier, 0
	.set _ZN9rocsparseL41csrgemm_numeric_fill_block_per_row_kernelILj1024ELj64ELj8192ELj137ELj32EiifEEvT5_PKS1_S3_NS_24const_host_device_scalarIT6_EEPKT4_S3_PKS5_S9_S3_SB_S6_S9_S3_SB_S9_S3_PS5_21rocsparse_index_base_SD_SD_SD_bbb.private_seg_size, 0
	.set _ZN9rocsparseL41csrgemm_numeric_fill_block_per_row_kernelILj1024ELj64ELj8192ELj137ELj32EiifEEvT5_PKS1_S3_NS_24const_host_device_scalarIT6_EEPKT4_S3_PKS5_S9_S3_SB_S6_S9_S3_SB_S9_S3_PS5_21rocsparse_index_base_SD_SD_SD_bbb.uses_vcc, 1
	.set _ZN9rocsparseL41csrgemm_numeric_fill_block_per_row_kernelILj1024ELj64ELj8192ELj137ELj32EiifEEvT5_PKS1_S3_NS_24const_host_device_scalarIT6_EEPKT4_S3_PKS5_S9_S3_SB_S6_S9_S3_SB_S9_S3_PS5_21rocsparse_index_base_SD_SD_SD_bbb.uses_flat_scratch, 0
	.set _ZN9rocsparseL41csrgemm_numeric_fill_block_per_row_kernelILj1024ELj64ELj8192ELj137ELj32EiifEEvT5_PKS1_S3_NS_24const_host_device_scalarIT6_EEPKT4_S3_PKS5_S9_S3_SB_S6_S9_S3_SB_S9_S3_PS5_21rocsparse_index_base_SD_SD_SD_bbb.has_dyn_sized_stack, 0
	.set _ZN9rocsparseL41csrgemm_numeric_fill_block_per_row_kernelILj1024ELj64ELj8192ELj137ELj32EiifEEvT5_PKS1_S3_NS_24const_host_device_scalarIT6_EEPKT4_S3_PKS5_S9_S3_SB_S6_S9_S3_SB_S9_S3_PS5_21rocsparse_index_base_SD_SD_SD_bbb.has_recursion, 0
	.set _ZN9rocsparseL41csrgemm_numeric_fill_block_per_row_kernelILj1024ELj64ELj8192ELj137ELj32EiifEEvT5_PKS1_S3_NS_24const_host_device_scalarIT6_EEPKT4_S3_PKS5_S9_S3_SB_S6_S9_S3_SB_S9_S3_PS5_21rocsparse_index_base_SD_SD_SD_bbb.has_indirect_call, 0
	.section	.AMDGPU.csdata,"",@progbits
; Kernel info:
; codeLenInByte = 4696
; TotalNumSgprs: 106
; NumVgprs: 23
; NumAgprs: 0
; TotalNumVgprs: 23
; ScratchSize: 0
; MemoryBound: 0
; FloatMode: 240
; IeeeMode: 1
; LDSByteSize: 0 bytes/workgroup (compile time only)
; SGPRBlocks: 13
; VGPRBlocks: 2
; NumSGPRsForWavesPerEU: 106
; NumVGPRsForWavesPerEU: 23
; AccumOffset: 24
; Occupancy: 7
; WaveLimiterHint : 1
; COMPUTE_PGM_RSRC2:SCRATCH_EN: 0
; COMPUTE_PGM_RSRC2:USER_SGPR: 2
; COMPUTE_PGM_RSRC2:TRAP_HANDLER: 0
; COMPUTE_PGM_RSRC2:TGID_X_EN: 1
; COMPUTE_PGM_RSRC2:TGID_Y_EN: 0
; COMPUTE_PGM_RSRC2:TGID_Z_EN: 0
; COMPUTE_PGM_RSRC2:TIDIG_COMP_CNT: 0
; COMPUTE_PGM_RSRC3_GFX90A:ACCUM_OFFSET: 5
; COMPUTE_PGM_RSRC3_GFX90A:TG_SPLIT: 0
	.section	.text._ZN9rocsparseL41csrgemm_numeric_fill_block_per_row_kernelILj1024ELj64ELj8192ELj137ELj64EiifEEvT5_PKS1_S3_NS_24const_host_device_scalarIT6_EEPKT4_S3_PKS5_S9_S3_SB_S6_S9_S3_SB_S9_S3_PS5_21rocsparse_index_base_SD_SD_SD_bbb,"axG",@progbits,_ZN9rocsparseL41csrgemm_numeric_fill_block_per_row_kernelILj1024ELj64ELj8192ELj137ELj64EiifEEvT5_PKS1_S3_NS_24const_host_device_scalarIT6_EEPKT4_S3_PKS5_S9_S3_SB_S6_S9_S3_SB_S9_S3_PS5_21rocsparse_index_base_SD_SD_SD_bbb,comdat
	.globl	_ZN9rocsparseL41csrgemm_numeric_fill_block_per_row_kernelILj1024ELj64ELj8192ELj137ELj64EiifEEvT5_PKS1_S3_NS_24const_host_device_scalarIT6_EEPKT4_S3_PKS5_S9_S3_SB_S6_S9_S3_SB_S9_S3_PS5_21rocsparse_index_base_SD_SD_SD_bbb ; -- Begin function _ZN9rocsparseL41csrgemm_numeric_fill_block_per_row_kernelILj1024ELj64ELj8192ELj137ELj64EiifEEvT5_PKS1_S3_NS_24const_host_device_scalarIT6_EEPKT4_S3_PKS5_S9_S3_SB_S6_S9_S3_SB_S9_S3_PS5_21rocsparse_index_base_SD_SD_SD_bbb
	.p2align	8
	.type	_ZN9rocsparseL41csrgemm_numeric_fill_block_per_row_kernelILj1024ELj64ELj8192ELj137ELj64EiifEEvT5_PKS1_S3_NS_24const_host_device_scalarIT6_EEPKT4_S3_PKS5_S9_S3_SB_S6_S9_S3_SB_S9_S3_PS5_21rocsparse_index_base_SD_SD_SD_bbb,@function
_ZN9rocsparseL41csrgemm_numeric_fill_block_per_row_kernelILj1024ELj64ELj8192ELj137ELj64EiifEEvT5_PKS1_S3_NS_24const_host_device_scalarIT6_EEPKT4_S3_PKS5_S9_S3_SB_S6_S9_S3_SB_S9_S3_PS5_21rocsparse_index_base_SD_SD_SD_bbb: ; @_ZN9rocsparseL41csrgemm_numeric_fill_block_per_row_kernelILj1024ELj64ELj8192ELj137ELj64EiifEEvT5_PKS1_S3_NS_24const_host_device_scalarIT6_EEPKT4_S3_PKS5_S9_S3_SB_S6_S9_S3_SB_S9_S3_PS5_21rocsparse_index_base_SD_SD_SD_bbb
; %bb.0:
	s_load_dword s3, s[0:1], 0x98
	s_load_dwordx4 s[8:11], s[0:1], 0x8
	s_load_dwordx2 s[6:7], s[0:1], 0x18
	s_load_dwordx4 s[36:39], s[0:1], 0x88
	s_load_dwordx2 s[12:13], s[0:1], 0x50
	s_waitcnt lgkmcnt(0)
	s_bitcmp1_b32 s3, 0
	s_cselect_b64 s[4:5], -1, 0
	s_bitcmp1_b32 s3, 16
	s_cselect_b64 s[14:15], -1, 0
	s_xor_b64 s[16:17], s[4:5], -1
	s_or_b64 s[16:17], s[14:15], s[16:17]
	s_and_b64 vcc, exec, s[16:17]
	s_cbranch_vccnz .LBB13_2
; %bb.1:
	s_load_dword s6, s[6:7], 0x0
	s_waitcnt lgkmcnt(0)
	v_mov_b32_e32 v8, s6
	s_branch .LBB13_3
.LBB13_2:
	v_mov_b32_e32 v1, s6
	v_cndmask_b32_e64 v8, 0, v1, s[4:5]
.LBB13_3:
	s_bitcmp1_b32 s3, 8
	s_cselect_b64 s[6:7], -1, 0
	s_xor_b64 s[16:17], s[6:7], -1
	s_or_b64 s[14:15], s[14:15], s[16:17]
	s_and_b64 vcc, exec, s[14:15]
	s_cbranch_vccnz .LBB13_5
; %bb.4:
	s_load_dword s3, s[12:13], 0x0
	s_waitcnt lgkmcnt(0)
	v_mov_b32_e32 v6, s3
	s_branch .LBB13_6
.LBB13_5:
	v_mov_b32_e32 v1, s12
	v_cndmask_b32_e64 v6, 0, v1, s[6:7]
.LBB13_6:
	s_load_dword s33, s[0:1], 0x0
	v_lshl_add_u32 v1, v0, 2, 0
	v_mov_b32_e32 v2, 0
	ds_write2st64_b32 v1, v2, v2 offset0:128 offset1:144
	s_mov_b32 s3, 0
	s_waitcnt lgkmcnt(0)
	v_mov_b32_e32 v3, s33
	v_mov_b32_e32 v4, s33
	ds_write2st64_b32 v1, v3, v4 offset1:16
	ds_write2st64_b32 v1, v3, v4 offset0:32 offset1:48
	ds_write2st64_b32 v1, v2, v2 offset0:160 offset1:176
	;; [unrolled: 1-line block ×6, first 2 shown]
	s_waitcnt lgkmcnt(0)
	s_barrier
	s_load_dword s8, s[8:9], 0x0
	v_lshrrev_b32_e32 v7, 6, v0
	s_waitcnt lgkmcnt(0)
	s_add_i32 s2, s8, s2
	s_lshl_b64 s[2:3], s[2:3], 2
	s_add_u32 s2, s10, s2
	s_addc_u32 s3, s11, s3
	s_load_dword s40, s[2:3], 0x0
	s_andn2_b64 vcc, exec, s[4:5]
	s_cbranch_vccnz .LBB13_24
; %bb.7:
	s_load_dwordx2 s[2:3], s[0:1], 0x20
	s_waitcnt lgkmcnt(0)
	s_ashr_i32 s41, s40, 31
	s_lshl_b64 s[4:5], s[40:41], 2
	v_subrev_u32_e32 v2, s36, v7
	s_add_u32 s2, s2, s4
	s_addc_u32 s3, s3, s5
	s_load_dwordx2 s[4:5], s[2:3], 0x0
	s_waitcnt lgkmcnt(0)
	s_sub_i32 s34, s5, s36
	v_add_u32_e32 v2, s4, v2
	v_cmp_gt_i32_e32 vcc, s34, v2
	s_and_saveexec_b64 s[2:3], vcc
	s_cbranch_execz .LBB13_23
; %bb.8:
	s_load_dwordx8 s[8:15], s[0:1], 0x28
	s_load_dwordx2 s[4:5], s[0:1], 0x48
	v_and_b32_e32 v3, 63, v0
	v_subrev_u32_e32 v9, s37, v3
	s_mov_b64 s[16:17], 0
	s_movk_i32 s35, 0x89
	s_branch .LBB13_10
.LBB13_9:                               ;   in Loop: Header=BB13_10 Depth=1
	s_or_b64 exec, exec, s[18:19]
	v_add_u32_e32 v2, 16, v2
	v_cmp_le_i32_e32 vcc, s34, v2
	s_or_b64 s[16:17], vcc, s[16:17]
	s_andn2_b64 exec, exec, s[16:17]
	s_cbranch_execz .LBB13_23
.LBB13_10:                              ; =>This Loop Header: Depth=1
                                        ;     Child Loop BB13_14 Depth 2
                                        ;       Child Loop BB13_17 Depth 3
	v_ashrrev_i32_e32 v3, 31, v2
	s_waitcnt lgkmcnt(0)
	v_lshl_add_u64 v[4:5], v[2:3], 2, s[8:9]
	global_load_dword v4, v[4:5], off
	s_waitcnt vmcnt(0)
	v_subrev_u32_e32 v4, s36, v4
	v_ashrrev_i32_e32 v5, 31, v4
	v_lshl_add_u64 v[4:5], v[4:5], 2, s[12:13]
	global_load_dwordx2 v[4:5], v[4:5], off
	s_waitcnt vmcnt(0)
	v_subrev_u32_e32 v10, s37, v5
	v_add_u32_e32 v4, v4, v9
	v_cmp_lt_i32_e32 vcc, v4, v10
	s_and_saveexec_b64 s[18:19], vcc
	s_cbranch_execz .LBB13_9
; %bb.11:                               ;   in Loop: Header=BB13_10 Depth=1
	v_lshl_add_u64 v[12:13], v[2:3], 2, s[10:11]
	global_load_dword v3, v[12:13], off
	s_mov_b64 s[20:21], 0
	s_waitcnt vmcnt(0)
	v_mul_f32_e32 v3, v8, v3
	s_branch .LBB13_14
.LBB13_12:                              ;   in Loop: Header=BB13_14 Depth=2
	s_or_b64 exec, exec, s[24:25]
.LBB13_13:                              ;   in Loop: Header=BB13_14 Depth=2
	s_or_b64 exec, exec, s[22:23]
	s_waitcnt vmcnt(0)
	v_mul_f32_e32 v5, v3, v5
	v_lshl_add_u32 v11, v11, 2, 0
	ds_add_f32 v11, v5 offset:32768
	v_add_u32_e32 v4, 64, v4
	v_cmp_ge_i32_e32 vcc, v4, v10
	s_or_b64 s[20:21], vcc, s[20:21]
	s_andn2_b64 exec, exec, s[20:21]
	s_cbranch_execz .LBB13_9
.LBB13_14:                              ;   Parent Loop BB13_10 Depth=1
                                        ; =>  This Loop Header: Depth=2
                                        ;       Child Loop BB13_17 Depth 3
	v_ashrrev_i32_e32 v5, 31, v4
	v_lshlrev_b64 v[12:13], 2, v[4:5]
	v_lshl_add_u64 v[14:15], s[14:15], 0, v[12:13]
	global_load_dword v11, v[14:15], off
	v_lshl_add_u64 v[12:13], s[4:5], 0, v[12:13]
	global_load_dword v5, v[12:13], off
	s_waitcnt vmcnt(1)
	v_subrev_u32_e32 v12, s37, v11
	v_mul_lo_u32 v11, v12, s35
	v_and_b32_e32 v11, 0x1fff, v11
	v_lshl_add_u32 v13, v11, 2, 0
	ds_read_b32 v14, v13
	s_waitcnt lgkmcnt(0)
	v_cmp_ne_u32_e32 vcc, v14, v12
	s_and_saveexec_b64 s[22:23], vcc
	s_cbranch_execz .LBB13_13
; %bb.15:                               ;   in Loop: Header=BB13_14 Depth=2
	s_mov_b64 s[24:25], 0
	s_branch .LBB13_17
.LBB13_16:                              ;   in Loop: Header=BB13_17 Depth=3
	s_or_b64 exec, exec, s[30:31]
	s_and_b64 s[26:27], exec, s[28:29]
	s_or_b64 s[24:25], s[26:27], s[24:25]
	s_andn2_b64 exec, exec, s[24:25]
	s_cbranch_execz .LBB13_12
.LBB13_17:                              ;   Parent Loop BB13_10 Depth=1
                                        ;     Parent Loop BB13_14 Depth=2
                                        ; =>    This Inner Loop Header: Depth=3
	v_cmp_ne_u32_e32 vcc, s33, v14
	s_mov_b64 s[26:27], 0
	s_and_saveexec_b64 s[28:29], vcc
	s_xor_b64 s[28:29], exec, s[28:29]
	s_cbranch_execz .LBB13_19
; %bb.18:                               ;   in Loop: Header=BB13_17 Depth=3
	v_add_u32_e32 v11, 1, v11
	s_mov_b64 s[26:27], exec
	v_and_b32_e32 v11, 0x1fff, v11
                                        ; implicit-def: $vgpr13
	s_andn2_saveexec_b64 s[28:29], s[28:29]
	s_cbranch_execz .LBB13_21
	s_branch .LBB13_20
.LBB13_19:                              ;   in Loop: Header=BB13_17 Depth=3
	s_andn2_saveexec_b64 s[28:29], s[28:29]
	s_cbranch_execz .LBB13_21
.LBB13_20:                              ;   in Loop: Header=BB13_17 Depth=3
	v_mov_b32_e32 v14, s33
	ds_cmpst_rtn_b32 v13, v13, v14, v12
	s_andn2_b64 s[26:27], s[26:27], exec
	s_waitcnt lgkmcnt(0)
	v_cmp_ne_u32_e32 vcc, s33, v13
	s_and_b64 s[30:31], vcc, exec
	s_or_b64 s[26:27], s[26:27], s[30:31]
.LBB13_21:                              ;   in Loop: Header=BB13_17 Depth=3
	s_or_b64 exec, exec, s[28:29]
	s_mov_b64 s[28:29], -1
                                        ; implicit-def: $vgpr13
                                        ; implicit-def: $vgpr14
	s_and_saveexec_b64 s[30:31], s[26:27]
	s_cbranch_execz .LBB13_16
; %bb.22:                               ;   in Loop: Header=BB13_17 Depth=3
	v_lshl_add_u32 v13, v11, 2, 0
	ds_read_b32 v14, v13
	s_waitcnt lgkmcnt(0)
	v_cmp_eq_u32_e32 vcc, v14, v12
	s_orn2_b64 s[28:29], vcc, exec
	s_branch .LBB13_16
.LBB13_23:
	s_or_b64 exec, exec, s[2:3]
.LBB13_24:
	s_load_dwordx2 s[34:35], s[0:1], 0x80
	s_load_dwordx2 s[36:37], s[0:1], 0x70
	s_andn2_b64 vcc, exec, s[6:7]
	s_cbranch_vccnz .LBB13_39
; %bb.25:
	s_load_dwordx2 s[2:3], s[0:1], 0x58
	s_waitcnt lgkmcnt(0)
	s_ashr_i32 s41, s40, 31
	s_lshl_b64 s[4:5], s[40:41], 2
	v_subrev_u32_e32 v2, s39, v0
	s_add_u32 s2, s2, s4
	s_addc_u32 s3, s3, s5
	s_load_dwordx2 s[4:5], s[2:3], 0x0
	s_waitcnt lgkmcnt(0)
	s_sub_i32 s18, s5, s39
	v_add_u32_e32 v2, s4, v2
	v_cmp_gt_i32_e32 vcc, s18, v2
	s_and_saveexec_b64 s[2:3], vcc
	s_cbranch_execz .LBB13_38
; %bb.26:
	s_load_dwordx4 s[4:7], s[0:1], 0x60
	s_mov_b64 s[0:1], 0
	s_movk_i32 s19, 0x89
	s_branch .LBB13_29
.LBB13_27:                              ;   in Loop: Header=BB13_29 Depth=1
	s_or_b64 exec, exec, s[10:11]
.LBB13_28:                              ;   in Loop: Header=BB13_29 Depth=1
	s_or_b64 exec, exec, s[8:9]
	s_waitcnt vmcnt(0)
	v_mul_f32_e32 v3, v6, v3
	v_lshl_add_u32 v4, v4, 2, 0
	ds_add_f32 v4, v3 offset:32768
	v_add_u32_e32 v2, 0x400, v2
	v_cmp_le_i32_e32 vcc, s18, v2
	s_or_b64 s[0:1], vcc, s[0:1]
	s_andn2_b64 exec, exec, s[0:1]
	s_cbranch_execz .LBB13_38
.LBB13_29:                              ; =>This Loop Header: Depth=1
                                        ;     Child Loop BB13_32 Depth 2
	v_ashrrev_i32_e32 v3, 31, v2
	v_lshlrev_b64 v[4:5], 2, v[2:3]
	s_waitcnt lgkmcnt(0)
	v_lshl_add_u64 v[8:9], s[4:5], 0, v[4:5]
	global_load_dword v8, v[8:9], off
	v_lshl_add_u64 v[4:5], s[6:7], 0, v[4:5]
	global_load_dword v3, v[4:5], off
	s_waitcnt vmcnt(1)
	v_subrev_u32_e32 v5, s39, v8
	v_mul_lo_u32 v4, v5, s19
	v_and_b32_e32 v4, 0x1fff, v4
	v_lshl_add_u32 v8, v4, 2, 0
	ds_read_b32 v9, v8
	s_waitcnt lgkmcnt(0)
	v_cmp_ne_u32_e32 vcc, v9, v5
	s_and_saveexec_b64 s[8:9], vcc
	s_cbranch_execz .LBB13_28
; %bb.30:                               ;   in Loop: Header=BB13_29 Depth=1
	s_mov_b64 s[10:11], 0
	s_branch .LBB13_32
.LBB13_31:                              ;   in Loop: Header=BB13_32 Depth=2
	s_or_b64 exec, exec, s[16:17]
	s_and_b64 s[12:13], exec, s[14:15]
	s_or_b64 s[10:11], s[12:13], s[10:11]
	s_andn2_b64 exec, exec, s[10:11]
	s_cbranch_execz .LBB13_27
.LBB13_32:                              ;   Parent Loop BB13_29 Depth=1
                                        ; =>  This Inner Loop Header: Depth=2
	v_cmp_ne_u32_e32 vcc, s33, v9
	s_mov_b64 s[12:13], 0
	s_and_saveexec_b64 s[14:15], vcc
	s_xor_b64 s[14:15], exec, s[14:15]
	s_cbranch_execz .LBB13_34
; %bb.33:                               ;   in Loop: Header=BB13_32 Depth=2
	v_add_u32_e32 v4, 1, v4
	s_mov_b64 s[12:13], exec
	v_and_b32_e32 v4, 0x1fff, v4
                                        ; implicit-def: $vgpr8
	s_andn2_saveexec_b64 s[14:15], s[14:15]
	s_cbranch_execz .LBB13_36
	s_branch .LBB13_35
.LBB13_34:                              ;   in Loop: Header=BB13_32 Depth=2
	s_andn2_saveexec_b64 s[14:15], s[14:15]
	s_cbranch_execz .LBB13_36
.LBB13_35:                              ;   in Loop: Header=BB13_32 Depth=2
	v_mov_b32_e32 v9, s33
	ds_cmpst_rtn_b32 v8, v8, v9, v5
	s_andn2_b64 s[12:13], s[12:13], exec
	s_waitcnt lgkmcnt(0)
	v_cmp_ne_u32_e32 vcc, s33, v8
	s_and_b64 s[16:17], vcc, exec
	s_or_b64 s[12:13], s[12:13], s[16:17]
.LBB13_36:                              ;   in Loop: Header=BB13_32 Depth=2
	s_or_b64 exec, exec, s[14:15]
	s_mov_b64 s[14:15], -1
                                        ; implicit-def: $vgpr8
                                        ; implicit-def: $vgpr9
	s_and_saveexec_b64 s[16:17], s[12:13]
	s_cbranch_execz .LBB13_31
; %bb.37:                               ;   in Loop: Header=BB13_32 Depth=2
	v_lshl_add_u32 v8, v4, 2, 0
	ds_read_b32 v9, v8
	s_waitcnt lgkmcnt(0)
	v_cmp_eq_u32_e32 vcc, v9, v5
	s_orn2_b64 s[14:15], vcc, exec
	s_branch .LBB13_31
.LBB13_38:
	s_or_b64 exec, exec, s[2:3]
.LBB13_39:
	v_mbcnt_lo_u32_b32 v2, -1, 0
	v_mbcnt_hi_u32_b32 v2, -1, v2
	v_sub_u32_e32 v2, 63, v2
	s_add_i32 s39, 0, 0x10000
	s_movk_i32 s0, 0x3ff
	s_movk_i32 s2, 0x7f
	;; [unrolled: 1-line block ×15, first 2 shown]
	s_add_i32 s59, 0, 0x1003c
	v_lshrrev_b64 v[2:3], v2, -1
	v_lshl_add_u32 v6, v7, 2, s39
	v_cmp_eq_u32_e32 vcc, s0, v0
	v_cmp_lt_u32_e64 s[0:1], 63, v0
	v_cmp_lt_u32_e64 s[2:3], s2, v0
	;; [unrolled: 1-line block ×15, first 2 shown]
	v_or_b32_e32 v7, 0xfffffc00, v0
	s_mov_b64 s[42:43], 0
	v_mov_b32_e32 v8, 0
	s_add_i32 s41, 0, 0x10004
	s_add_i32 s46, 0, 0x10008
	;; [unrolled: 1-line block ×14, first 2 shown]
	v_mov_b32_e32 v9, s59
	s_movk_i32 s60, 0x1bff
	s_waitcnt lgkmcnt(0)
	s_barrier
	s_branch .LBB13_41
.LBB13_40:                              ;   in Loop: Header=BB13_41 Depth=1
	s_or_b64 exec, exec, s[30:31]
	s_waitcnt lgkmcnt(0)
	s_barrier
	ds_read_b32 v4, v9
	v_add_u32_e32 v7, 0x400, v7
	v_cmp_lt_u32_e64 s[30:31], s60, v7
	s_or_b64 s[42:43], s[30:31], s[42:43]
	v_add_u32_e32 v1, 0x1000, v1
	s_waitcnt lgkmcnt(0)
	v_add_u32_e32 v8, v4, v8
	s_andn2_b64 exec, exec, s[42:43]
	s_cbranch_execz .LBB13_75
.LBB13_41:                              ; =>This Inner Loop Header: Depth=1
	ds_read2st64_b32 v[4:5], v1 offset1:128
	s_waitcnt lgkmcnt(0)
	s_barrier
	v_cmp_gt_i32_e64 s[30:31], s33, v4
	s_bcnt1_i32_b64 s44, s[30:31]
	s_nop 0
	v_and_b32_e32 v11, s30, v2
	v_and_b32_e32 v10, s31, v3
	v_bcnt_u32_b32 v11, v11, 0
	v_bcnt_u32_b32 v10, v10, v11
	v_mov_b32_e32 v11, s44
	ds_write_b32 v6, v11
	s_waitcnt lgkmcnt(0)
	s_barrier
	s_and_saveexec_b64 s[44:45], s[0:1]
	s_cbranch_execz .LBB13_58
; %bb.42:                               ;   in Loop: Header=BB13_41 Depth=1
	v_mov_b32_e32 v11, s39
	ds_read_b32 v11, v11
	s_waitcnt lgkmcnt(0)
	v_add_u32_e32 v10, v11, v10
	s_or_b64 exec, exec, s[44:45]
	s_and_saveexec_b64 s[44:45], s[2:3]
	s_cbranch_execnz .LBB13_59
.LBB13_43:                              ;   in Loop: Header=BB13_41 Depth=1
	s_or_b64 exec, exec, s[44:45]
	s_and_saveexec_b64 s[44:45], s[4:5]
	s_cbranch_execz .LBB13_60
.LBB13_44:                              ;   in Loop: Header=BB13_41 Depth=1
	v_mov_b32_e32 v11, s46
	ds_read_b32 v11, v11
	s_waitcnt lgkmcnt(0)
	v_add_u32_e32 v10, v11, v10
	s_or_b64 exec, exec, s[44:45]
	s_and_saveexec_b64 s[44:45], s[6:7]
	s_cbranch_execnz .LBB13_61
.LBB13_45:                              ;   in Loop: Header=BB13_41 Depth=1
	s_or_b64 exec, exec, s[44:45]
	s_and_saveexec_b64 s[44:45], s[8:9]
	s_cbranch_execz .LBB13_62
.LBB13_46:                              ;   in Loop: Header=BB13_41 Depth=1
	v_mov_b32_e32 v11, s48
	ds_read_b32 v11, v11
	s_waitcnt lgkmcnt(0)
	v_add_u32_e32 v10, v11, v10
	s_or_b64 exec, exec, s[44:45]
	s_and_saveexec_b64 s[44:45], s[10:11]
	s_cbranch_execnz .LBB13_63
.LBB13_47:                              ;   in Loop: Header=BB13_41 Depth=1
	s_or_b64 exec, exec, s[44:45]
	s_and_saveexec_b64 s[44:45], s[12:13]
	s_cbranch_execz .LBB13_64
.LBB13_48:                              ;   in Loop: Header=BB13_41 Depth=1
	v_mov_b32_e32 v11, s50
	ds_read_b32 v11, v11
	s_waitcnt lgkmcnt(0)
	v_add_u32_e32 v10, v11, v10
	s_or_b64 exec, exec, s[44:45]
	s_and_saveexec_b64 s[44:45], s[14:15]
	s_cbranch_execnz .LBB13_65
.LBB13_49:                              ;   in Loop: Header=BB13_41 Depth=1
	s_or_b64 exec, exec, s[44:45]
	s_and_saveexec_b64 s[44:45], s[16:17]
	s_cbranch_execz .LBB13_66
.LBB13_50:                              ;   in Loop: Header=BB13_41 Depth=1
	v_mov_b32_e32 v11, s52
	ds_read_b32 v11, v11
	s_waitcnt lgkmcnt(0)
	v_add_u32_e32 v10, v11, v10
	s_or_b64 exec, exec, s[44:45]
	s_and_saveexec_b64 s[44:45], s[18:19]
	s_cbranch_execnz .LBB13_67
.LBB13_51:                              ;   in Loop: Header=BB13_41 Depth=1
	s_or_b64 exec, exec, s[44:45]
	s_and_saveexec_b64 s[44:45], s[20:21]
	s_cbranch_execz .LBB13_68
.LBB13_52:                              ;   in Loop: Header=BB13_41 Depth=1
	v_mov_b32_e32 v11, s54
	ds_read_b32 v11, v11
	s_waitcnt lgkmcnt(0)
	v_add_u32_e32 v10, v11, v10
	s_or_b64 exec, exec, s[44:45]
	s_and_saveexec_b64 s[44:45], s[22:23]
	s_cbranch_execnz .LBB13_69
.LBB13_53:                              ;   in Loop: Header=BB13_41 Depth=1
	s_or_b64 exec, exec, s[44:45]
	s_and_saveexec_b64 s[44:45], s[24:25]
	s_cbranch_execz .LBB13_70
.LBB13_54:                              ;   in Loop: Header=BB13_41 Depth=1
	v_mov_b32_e32 v11, s56
	ds_read_b32 v11, v11
	s_waitcnt lgkmcnt(0)
	v_add_u32_e32 v10, v11, v10
	s_or_b64 exec, exec, s[44:45]
	s_and_saveexec_b64 s[44:45], s[26:27]
	s_cbranch_execnz .LBB13_71
.LBB13_55:                              ;   in Loop: Header=BB13_41 Depth=1
	s_or_b64 exec, exec, s[44:45]
	s_and_saveexec_b64 s[44:45], s[28:29]
	s_cbranch_execz .LBB13_72
.LBB13_56:                              ;   in Loop: Header=BB13_41 Depth=1
	v_mov_b32_e32 v11, s58
	ds_read_b32 v11, v11
	s_waitcnt lgkmcnt(0)
	v_add_u32_e32 v10, v11, v10
	s_or_b64 exec, exec, s[44:45]
	s_and_saveexec_b64 s[44:45], s[30:31]
	s_cbranch_execnz .LBB13_73
.LBB13_57:                              ;   in Loop: Header=BB13_41 Depth=1
	s_or_b64 exec, exec, s[44:45]
	s_and_saveexec_b64 s[30:31], vcc
	s_cbranch_execz .LBB13_40
	s_branch .LBB13_74
.LBB13_58:                              ;   in Loop: Header=BB13_41 Depth=1
	s_or_b64 exec, exec, s[44:45]
	s_and_saveexec_b64 s[44:45], s[2:3]
	s_cbranch_execz .LBB13_43
.LBB13_59:                              ;   in Loop: Header=BB13_41 Depth=1
	v_mov_b32_e32 v11, s41
	ds_read_b32 v11, v11
	s_waitcnt lgkmcnt(0)
	v_add_u32_e32 v10, v11, v10
	s_or_b64 exec, exec, s[44:45]
	s_and_saveexec_b64 s[44:45], s[4:5]
	s_cbranch_execnz .LBB13_44
.LBB13_60:                              ;   in Loop: Header=BB13_41 Depth=1
	s_or_b64 exec, exec, s[44:45]
	s_and_saveexec_b64 s[44:45], s[6:7]
	s_cbranch_execz .LBB13_45
.LBB13_61:                              ;   in Loop: Header=BB13_41 Depth=1
	v_mov_b32_e32 v11, s47
	ds_read_b32 v11, v11
	s_waitcnt lgkmcnt(0)
	v_add_u32_e32 v10, v11, v10
	s_or_b64 exec, exec, s[44:45]
	s_and_saveexec_b64 s[44:45], s[8:9]
	s_cbranch_execnz .LBB13_46
.LBB13_62:                              ;   in Loop: Header=BB13_41 Depth=1
	s_or_b64 exec, exec, s[44:45]
	s_and_saveexec_b64 s[44:45], s[10:11]
	s_cbranch_execz .LBB13_47
.LBB13_63:                              ;   in Loop: Header=BB13_41 Depth=1
	v_mov_b32_e32 v11, s49
	ds_read_b32 v11, v11
	s_waitcnt lgkmcnt(0)
	v_add_u32_e32 v10, v11, v10
	s_or_b64 exec, exec, s[44:45]
	s_and_saveexec_b64 s[44:45], s[12:13]
	s_cbranch_execnz .LBB13_48
.LBB13_64:                              ;   in Loop: Header=BB13_41 Depth=1
	s_or_b64 exec, exec, s[44:45]
	s_and_saveexec_b64 s[44:45], s[14:15]
	s_cbranch_execz .LBB13_49
.LBB13_65:                              ;   in Loop: Header=BB13_41 Depth=1
	v_mov_b32_e32 v11, s51
	ds_read_b32 v11, v11
	s_waitcnt lgkmcnt(0)
	v_add_u32_e32 v10, v11, v10
	s_or_b64 exec, exec, s[44:45]
	s_and_saveexec_b64 s[44:45], s[16:17]
	s_cbranch_execnz .LBB13_50
.LBB13_66:                              ;   in Loop: Header=BB13_41 Depth=1
	s_or_b64 exec, exec, s[44:45]
	s_and_saveexec_b64 s[44:45], s[18:19]
	s_cbranch_execz .LBB13_51
.LBB13_67:                              ;   in Loop: Header=BB13_41 Depth=1
	v_mov_b32_e32 v11, s53
	ds_read_b32 v11, v11
	s_waitcnt lgkmcnt(0)
	v_add_u32_e32 v10, v11, v10
	s_or_b64 exec, exec, s[44:45]
	s_and_saveexec_b64 s[44:45], s[20:21]
	s_cbranch_execnz .LBB13_52
.LBB13_68:                              ;   in Loop: Header=BB13_41 Depth=1
	s_or_b64 exec, exec, s[44:45]
	s_and_saveexec_b64 s[44:45], s[22:23]
	s_cbranch_execz .LBB13_53
.LBB13_69:                              ;   in Loop: Header=BB13_41 Depth=1
	v_mov_b32_e32 v11, s55
	ds_read_b32 v11, v11
	s_waitcnt lgkmcnt(0)
	v_add_u32_e32 v10, v11, v10
	s_or_b64 exec, exec, s[44:45]
	s_and_saveexec_b64 s[44:45], s[24:25]
	s_cbranch_execnz .LBB13_54
.LBB13_70:                              ;   in Loop: Header=BB13_41 Depth=1
	s_or_b64 exec, exec, s[44:45]
	s_and_saveexec_b64 s[44:45], s[26:27]
	s_cbranch_execz .LBB13_55
.LBB13_71:                              ;   in Loop: Header=BB13_41 Depth=1
	v_mov_b32_e32 v11, s57
	ds_read_b32 v11, v11
	s_waitcnt lgkmcnt(0)
	v_add_u32_e32 v10, v11, v10
	s_or_b64 exec, exec, s[44:45]
	s_and_saveexec_b64 s[44:45], s[28:29]
	s_cbranch_execnz .LBB13_56
.LBB13_72:                              ;   in Loop: Header=BB13_41 Depth=1
	s_or_b64 exec, exec, s[44:45]
	s_and_saveexec_b64 s[44:45], s[30:31]
	s_cbranch_execz .LBB13_57
.LBB13_73:                              ;   in Loop: Header=BB13_41 Depth=1
	v_add3_u32 v11, v8, -1, v10
	v_lshl_add_u32 v11, v11, 2, 0
	v_add_u32_e32 v12, v8, v10
	v_lshl_add_u32 v12, v12, 2, 0
	ds_write_b32 v11, v4
	ds_write_b32 v12, v5 offset:32764
	s_or_b64 exec, exec, s[44:45]
	s_and_saveexec_b64 s[30:31], vcc
	s_cbranch_execz .LBB13_40
.LBB13_74:                              ;   in Loop: Header=BB13_41 Depth=1
	v_mov_b32_e32 v4, s59
	ds_write_b32 v4, v10
	s_branch .LBB13_40
.LBB13_75:
	s_or_b64 exec, exec, s[42:43]
	s_ashr_i32 s41, s40, 31
	s_lshl_b64 s[0:1], s[40:41], 2
	s_add_u32 s2, s36, s0
	s_addc_u32 s3, s37, s1
	s_load_dwordx2 s[0:1], s[2:3], 0x0
	s_waitcnt lgkmcnt(0)
	s_sub_i32 s14, s1, s0
	v_cmp_gt_i32_e32 vcc, s14, v0
	s_and_saveexec_b64 s[2:3], vcc
	s_cbranch_execz .LBB13_89
; %bb.76:
	s_sub_i32 s8, s0, s38
	v_sub_co_u32_e64 v1, s[0:1], s14, 2
	s_nop 0
	v_readfirstlane_b32 s2, v1
	s_lshr_b32 s2, s2, 1
	s_add_i32 s2, s2, 1
	s_xor_b64 s[0:1], s[0:1], -1
	s_and_b32 s15, s14, -2
	s_and_b32 s3, s2, 7
	s_and_b32 s16, s2, -8
	s_cmp_lg_u32 s3, 0
	v_cmp_lt_u32_e32 vcc, 13, v1
	s_cselect_b64 s[4:5], -1, 0
	s_cmp_lg_u32 s14, s15
	v_cndmask_b32_e64 v1, 0, 1, vcc
	s_cselect_b64 s[10:11], -1, 0
	s_lshl_b32 s17, s3, 3
	v_cndmask_b32_e64 v2, 0, 1, s[0:1]
	v_cmp_ne_u32_e64 s[2:3], 1, v1
	v_cndmask_b32_e64 v1, 0, 1, s[4:5]
	s_mov_b32 s9, 0
	s_mov_b64 s[12:13], 0
	v_cmp_ne_u32_e64 s[0:1], 1, v2
	v_cmp_ne_u32_e64 s[4:5], 1, v1
	s_branch .LBB13_78
.LBB13_77:                              ;   in Loop: Header=BB13_78 Depth=1
	v_add_u32_e32 v0, 0x400, v0
	v_ashrrev_i32_e32 v5, 31, v4
	v_cmp_le_i32_e32 vcc, s14, v0
	v_lshl_add_u64 v[4:5], v[4:5], 2, s[34:35]
	s_or_b64 s[12:13], vcc, s[12:13]
	s_waitcnt lgkmcnt(0)
	global_store_dword v[4:5], v3, off
	s_andn2_b64 exec, exec, s[12:13]
	s_cbranch_execz .LBB13_89
.LBB13_78:                              ; =>This Loop Header: Depth=1
                                        ;     Child Loop BB13_81 Depth 2
                                        ;     Child Loop BB13_84 Depth 2
	;; [unrolled: 1-line block ×3, first 2 shown]
	v_lshl_add_u32 v1, v0, 2, 0
	ds_read2st64_b32 v[2:3], v1 offset1:128
	s_and_b64 vcc, exec, s[0:1]
	v_mov_b32_e32 v4, s8
	s_mov_b32 s18, 0
	s_mov_b64 s[6:7], -1
	s_cbranch_vccnz .LBB13_86
; %bb.79:                               ;   in Loop: Header=BB13_78 Depth=1
	s_and_b64 vcc, exec, s[2:3]
	v_mov_b64_e32 v[4:5], s[8:9]
	s_cbranch_vccnz .LBB13_82
; %bb.80:                               ;   in Loop: Header=BB13_78 Depth=1
	s_mov_b32 s19, 0
	v_mov_b32_e32 v4, s8
	v_mov_b32_e32 v5, 0
	s_mov_b32 s20, s16
.LBB13_81:                              ;   Parent Loop BB13_78 Depth=1
                                        ; =>  This Inner Loop Header: Depth=2
	v_mov_b32_e32 v1, s19
	ds_read2_b32 v[6:7], v1 offset1:1
	ds_read2_b32 v[8:9], v1 offset0:2 offset1:3
	ds_read2_b32 v[10:11], v1 offset0:4 offset1:5
	;; [unrolled: 1-line block ×7, first 2 shown]
	s_waitcnt lgkmcnt(7)
	v_cmp_gt_i32_e32 vcc, v2, v7
	s_waitcnt lgkmcnt(5)
	v_cmp_gt_i32_e64 s[6:7], v2, v10
	s_add_i32 s18, s18, 16
	v_cndmask_b32_e64 v1, 0, 1, vcc
	v_cmp_gt_i32_e32 vcc, v2, v6
	v_cndmask_b32_e64 v7, 0, 1, s[6:7]
	v_cmp_gt_i32_e64 s[6:7], v2, v11
	v_cndmask_b32_e64 v6, 0, 1, vcc
	v_cmp_gt_i32_e32 vcc, v2, v9
	v_cndmask_b32_e64 v9, 0, 1, s[6:7]
	s_waitcnt lgkmcnt(3)
	v_cmp_gt_i32_e64 s[6:7], v2, v15
	v_addc_co_u32_e32 v1, vcc, v5, v1, vcc
	s_nop 0
	v_cndmask_b32_e64 v10, 0, 1, s[6:7]
	v_cmp_gt_i32_e64 s[6:7], v2, v14
	v_cmp_gt_i32_e32 vcc, v2, v12
	s_add_i32 s19, s19, 64
	v_cndmask_b32_e64 v11, 0, 1, s[6:7]
	s_waitcnt lgkmcnt(1)
	v_cmp_gt_i32_e64 s[6:7], v2, v18
	s_add_i32 s20, s20, -8
	s_cmp_lg_u32 s20, 0
	v_cndmask_b32_e64 v14, 0, 1, s[6:7]
	v_cmp_gt_i32_e64 s[6:7], v2, v19
	s_nop 1
	v_cndmask_b32_e64 v15, 0, 1, s[6:7]
	v_cmp_gt_i32_e64 s[6:7], v2, v8
	s_nop 1
	v_addc_co_u32_e64 v4, s[6:7], v4, v6, s[6:7]
	v_cmp_gt_i32_e64 s[6:7], v2, v13
	v_addc_co_u32_e32 v4, vcc, v4, v7, vcc
	s_nop 0
	v_addc_co_u32_e64 v1, s[6:7], v1, v9, s[6:7]
	v_cmp_gt_i32_e32 vcc, v2, v17
	v_cmp_gt_i32_e64 s[6:7], v2, v16
	s_nop 0
	v_addc_co_u32_e32 v1, vcc, v1, v10, vcc
	v_addc_co_u32_e64 v4, s[6:7], v4, v11, s[6:7]
	s_waitcnt lgkmcnt(0)
	v_cmp_gt_i32_e32 vcc, v2, v20
	v_cmp_gt_i32_e64 s[6:7], v2, v21
	s_nop 0
	v_addc_co_u32_e32 v4, vcc, v4, v14, vcc
	v_addc_co_u32_e64 v5, s[6:7], v1, v15, s[6:7]
	s_cbranch_scc1 .LBB13_81
.LBB13_82:                              ;   in Loop: Header=BB13_78 Depth=1
	s_and_b64 vcc, exec, s[4:5]
	s_cbranch_vccnz .LBB13_85
; %bb.83:                               ;   in Loop: Header=BB13_78 Depth=1
	s_lshl_b32 s6, s18, 2
	s_add_i32 s6, s6, 0
	s_mov_b32 s7, s17
.LBB13_84:                              ;   Parent Loop BB13_78 Depth=1
                                        ; =>  This Inner Loop Header: Depth=2
	v_mov_b32_e32 v1, s6
	ds_read2_b32 v[6:7], v1 offset1:1
	s_add_i32 s6, s6, 8
	s_add_i32 s7, s7, -8
	s_cmp_lg_u32 s7, 0
	s_waitcnt lgkmcnt(0)
	v_cmp_gt_i32_e32 vcc, v2, v7
	s_nop 1
	v_addc_co_u32_e32 v5, vcc, 0, v5, vcc
	v_cmp_gt_i32_e32 vcc, v2, v6
	s_nop 1
	v_addc_co_u32_e32 v4, vcc, 0, v4, vcc
	s_cbranch_scc1 .LBB13_84
.LBB13_85:                              ;   in Loop: Header=BB13_78 Depth=1
	v_add_u32_e32 v4, v4, v5
	s_mov_b32 s18, s15
	s_mov_b64 s[6:7], s[10:11]
.LBB13_86:                              ;   in Loop: Header=BB13_78 Depth=1
	s_and_b64 vcc, exec, s[6:7]
	s_cbranch_vccz .LBB13_77
; %bb.87:                               ;   in Loop: Header=BB13_78 Depth=1
	s_lshl_b32 s6, s18, 2
	s_add_i32 s6, s6, 0
.LBB13_88:                              ;   Parent Loop BB13_78 Depth=1
                                        ; =>  This Inner Loop Header: Depth=2
	v_mov_b32_e32 v1, s6
	ds_read_b32 v1, v1
	s_add_i32 s18, s18, 1
	s_add_i32 s6, s6, 4
	s_cmp_ge_i32 s18, s14
	s_waitcnt lgkmcnt(0)
	v_cmp_gt_i32_e32 vcc, v2, v1
	s_nop 1
	v_addc_co_u32_e32 v4, vcc, 0, v4, vcc
	s_cbranch_scc0 .LBB13_88
	s_branch .LBB13_77
.LBB13_89:
	s_endpgm
	.section	.rodata,"a",@progbits
	.p2align	6, 0x0
	.amdhsa_kernel _ZN9rocsparseL41csrgemm_numeric_fill_block_per_row_kernelILj1024ELj64ELj8192ELj137ELj64EiifEEvT5_PKS1_S3_NS_24const_host_device_scalarIT6_EEPKT4_S3_PKS5_S9_S3_SB_S6_S9_S3_SB_S9_S3_PS5_21rocsparse_index_base_SD_SD_SD_bbb
		.amdhsa_group_segment_fixed_size 0
		.amdhsa_private_segment_fixed_size 0
		.amdhsa_kernarg_size 156
		.amdhsa_user_sgpr_count 2
		.amdhsa_user_sgpr_dispatch_ptr 0
		.amdhsa_user_sgpr_queue_ptr 0
		.amdhsa_user_sgpr_kernarg_segment_ptr 1
		.amdhsa_user_sgpr_dispatch_id 0
		.amdhsa_user_sgpr_kernarg_preload_length 0
		.amdhsa_user_sgpr_kernarg_preload_offset 0
		.amdhsa_user_sgpr_private_segment_size 0
		.amdhsa_uses_dynamic_stack 0
		.amdhsa_enable_private_segment 0
		.amdhsa_system_sgpr_workgroup_id_x 1
		.amdhsa_system_sgpr_workgroup_id_y 0
		.amdhsa_system_sgpr_workgroup_id_z 0
		.amdhsa_system_sgpr_workgroup_info 0
		.amdhsa_system_vgpr_workitem_id 0
		.amdhsa_next_free_vgpr 22
		.amdhsa_next_free_sgpr 61
		.amdhsa_accum_offset 24
		.amdhsa_reserve_vcc 1
		.amdhsa_float_round_mode_32 0
		.amdhsa_float_round_mode_16_64 0
		.amdhsa_float_denorm_mode_32 3
		.amdhsa_float_denorm_mode_16_64 3
		.amdhsa_dx10_clamp 1
		.amdhsa_ieee_mode 1
		.amdhsa_fp16_overflow 0
		.amdhsa_tg_split 0
		.amdhsa_exception_fp_ieee_invalid_op 0
		.amdhsa_exception_fp_denorm_src 0
		.amdhsa_exception_fp_ieee_div_zero 0
		.amdhsa_exception_fp_ieee_overflow 0
		.amdhsa_exception_fp_ieee_underflow 0
		.amdhsa_exception_fp_ieee_inexact 0
		.amdhsa_exception_int_div_zero 0
	.end_amdhsa_kernel
	.section	.text._ZN9rocsparseL41csrgemm_numeric_fill_block_per_row_kernelILj1024ELj64ELj8192ELj137ELj64EiifEEvT5_PKS1_S3_NS_24const_host_device_scalarIT6_EEPKT4_S3_PKS5_S9_S3_SB_S6_S9_S3_SB_S9_S3_PS5_21rocsparse_index_base_SD_SD_SD_bbb,"axG",@progbits,_ZN9rocsparseL41csrgemm_numeric_fill_block_per_row_kernelILj1024ELj64ELj8192ELj137ELj64EiifEEvT5_PKS1_S3_NS_24const_host_device_scalarIT6_EEPKT4_S3_PKS5_S9_S3_SB_S6_S9_S3_SB_S9_S3_PS5_21rocsparse_index_base_SD_SD_SD_bbb,comdat
.Lfunc_end13:
	.size	_ZN9rocsparseL41csrgemm_numeric_fill_block_per_row_kernelILj1024ELj64ELj8192ELj137ELj64EiifEEvT5_PKS1_S3_NS_24const_host_device_scalarIT6_EEPKT4_S3_PKS5_S9_S3_SB_S6_S9_S3_SB_S9_S3_PS5_21rocsparse_index_base_SD_SD_SD_bbb, .Lfunc_end13-_ZN9rocsparseL41csrgemm_numeric_fill_block_per_row_kernelILj1024ELj64ELj8192ELj137ELj64EiifEEvT5_PKS1_S3_NS_24const_host_device_scalarIT6_EEPKT4_S3_PKS5_S9_S3_SB_S6_S9_S3_SB_S9_S3_PS5_21rocsparse_index_base_SD_SD_SD_bbb
                                        ; -- End function
	.set _ZN9rocsparseL41csrgemm_numeric_fill_block_per_row_kernelILj1024ELj64ELj8192ELj137ELj64EiifEEvT5_PKS1_S3_NS_24const_host_device_scalarIT6_EEPKT4_S3_PKS5_S9_S3_SB_S6_S9_S3_SB_S9_S3_PS5_21rocsparse_index_base_SD_SD_SD_bbb.num_vgpr, 22
	.set _ZN9rocsparseL41csrgemm_numeric_fill_block_per_row_kernelILj1024ELj64ELj8192ELj137ELj64EiifEEvT5_PKS1_S3_NS_24const_host_device_scalarIT6_EEPKT4_S3_PKS5_S9_S3_SB_S6_S9_S3_SB_S9_S3_PS5_21rocsparse_index_base_SD_SD_SD_bbb.num_agpr, 0
	.set _ZN9rocsparseL41csrgemm_numeric_fill_block_per_row_kernelILj1024ELj64ELj8192ELj137ELj64EiifEEvT5_PKS1_S3_NS_24const_host_device_scalarIT6_EEPKT4_S3_PKS5_S9_S3_SB_S6_S9_S3_SB_S9_S3_PS5_21rocsparse_index_base_SD_SD_SD_bbb.numbered_sgpr, 61
	.set _ZN9rocsparseL41csrgemm_numeric_fill_block_per_row_kernelILj1024ELj64ELj8192ELj137ELj64EiifEEvT5_PKS1_S3_NS_24const_host_device_scalarIT6_EEPKT4_S3_PKS5_S9_S3_SB_S6_S9_S3_SB_S9_S3_PS5_21rocsparse_index_base_SD_SD_SD_bbb.num_named_barrier, 0
	.set _ZN9rocsparseL41csrgemm_numeric_fill_block_per_row_kernelILj1024ELj64ELj8192ELj137ELj64EiifEEvT5_PKS1_S3_NS_24const_host_device_scalarIT6_EEPKT4_S3_PKS5_S9_S3_SB_S6_S9_S3_SB_S9_S3_PS5_21rocsparse_index_base_SD_SD_SD_bbb.private_seg_size, 0
	.set _ZN9rocsparseL41csrgemm_numeric_fill_block_per_row_kernelILj1024ELj64ELj8192ELj137ELj64EiifEEvT5_PKS1_S3_NS_24const_host_device_scalarIT6_EEPKT4_S3_PKS5_S9_S3_SB_S6_S9_S3_SB_S9_S3_PS5_21rocsparse_index_base_SD_SD_SD_bbb.uses_vcc, 1
	.set _ZN9rocsparseL41csrgemm_numeric_fill_block_per_row_kernelILj1024ELj64ELj8192ELj137ELj64EiifEEvT5_PKS1_S3_NS_24const_host_device_scalarIT6_EEPKT4_S3_PKS5_S9_S3_SB_S6_S9_S3_SB_S9_S3_PS5_21rocsparse_index_base_SD_SD_SD_bbb.uses_flat_scratch, 0
	.set _ZN9rocsparseL41csrgemm_numeric_fill_block_per_row_kernelILj1024ELj64ELj8192ELj137ELj64EiifEEvT5_PKS1_S3_NS_24const_host_device_scalarIT6_EEPKT4_S3_PKS5_S9_S3_SB_S6_S9_S3_SB_S9_S3_PS5_21rocsparse_index_base_SD_SD_SD_bbb.has_dyn_sized_stack, 0
	.set _ZN9rocsparseL41csrgemm_numeric_fill_block_per_row_kernelILj1024ELj64ELj8192ELj137ELj64EiifEEvT5_PKS1_S3_NS_24const_host_device_scalarIT6_EEPKT4_S3_PKS5_S9_S3_SB_S6_S9_S3_SB_S9_S3_PS5_21rocsparse_index_base_SD_SD_SD_bbb.has_recursion, 0
	.set _ZN9rocsparseL41csrgemm_numeric_fill_block_per_row_kernelILj1024ELj64ELj8192ELj137ELj64EiifEEvT5_PKS1_S3_NS_24const_host_device_scalarIT6_EEPKT4_S3_PKS5_S9_S3_SB_S6_S9_S3_SB_S9_S3_PS5_21rocsparse_index_base_SD_SD_SD_bbb.has_indirect_call, 0
	.section	.AMDGPU.csdata,"",@progbits
; Kernel info:
; codeLenInByte = 3380
; TotalNumSgprs: 67
; NumVgprs: 22
; NumAgprs: 0
; TotalNumVgprs: 22
; ScratchSize: 0
; MemoryBound: 0
; FloatMode: 240
; IeeeMode: 1
; LDSByteSize: 0 bytes/workgroup (compile time only)
; SGPRBlocks: 8
; VGPRBlocks: 2
; NumSGPRsForWavesPerEU: 67
; NumVGPRsForWavesPerEU: 22
; AccumOffset: 24
; Occupancy: 8
; WaveLimiterHint : 1
; COMPUTE_PGM_RSRC2:SCRATCH_EN: 0
; COMPUTE_PGM_RSRC2:USER_SGPR: 2
; COMPUTE_PGM_RSRC2:TRAP_HANDLER: 0
; COMPUTE_PGM_RSRC2:TGID_X_EN: 1
; COMPUTE_PGM_RSRC2:TGID_Y_EN: 0
; COMPUTE_PGM_RSRC2:TGID_Z_EN: 0
; COMPUTE_PGM_RSRC2:TIDIG_COMP_CNT: 0
; COMPUTE_PGM_RSRC3_GFX90A:ACCUM_OFFSET: 5
; COMPUTE_PGM_RSRC3_GFX90A:TG_SPLIT: 0
	.section	.text._ZN9rocsparseL41csrgemm_numeric_fill_block_per_row_kernelILj1024ELj64ELj16384ELj137ELj32EiifEEvT5_PKS1_S3_NS_24const_host_device_scalarIT6_EEPKT4_S3_PKS5_S9_S3_SB_S6_S9_S3_SB_S9_S3_PS5_21rocsparse_index_base_SD_SD_SD_bbb,"axG",@progbits,_ZN9rocsparseL41csrgemm_numeric_fill_block_per_row_kernelILj1024ELj64ELj16384ELj137ELj32EiifEEvT5_PKS1_S3_NS_24const_host_device_scalarIT6_EEPKT4_S3_PKS5_S9_S3_SB_S6_S9_S3_SB_S9_S3_PS5_21rocsparse_index_base_SD_SD_SD_bbb,comdat
	.globl	_ZN9rocsparseL41csrgemm_numeric_fill_block_per_row_kernelILj1024ELj64ELj16384ELj137ELj32EiifEEvT5_PKS1_S3_NS_24const_host_device_scalarIT6_EEPKT4_S3_PKS5_S9_S3_SB_S6_S9_S3_SB_S9_S3_PS5_21rocsparse_index_base_SD_SD_SD_bbb ; -- Begin function _ZN9rocsparseL41csrgemm_numeric_fill_block_per_row_kernelILj1024ELj64ELj16384ELj137ELj32EiifEEvT5_PKS1_S3_NS_24const_host_device_scalarIT6_EEPKT4_S3_PKS5_S9_S3_SB_S6_S9_S3_SB_S9_S3_PS5_21rocsparse_index_base_SD_SD_SD_bbb
	.p2align	8
	.type	_ZN9rocsparseL41csrgemm_numeric_fill_block_per_row_kernelILj1024ELj64ELj16384ELj137ELj32EiifEEvT5_PKS1_S3_NS_24const_host_device_scalarIT6_EEPKT4_S3_PKS5_S9_S3_SB_S6_S9_S3_SB_S9_S3_PS5_21rocsparse_index_base_SD_SD_SD_bbb,@function
_ZN9rocsparseL41csrgemm_numeric_fill_block_per_row_kernelILj1024ELj64ELj16384ELj137ELj32EiifEEvT5_PKS1_S3_NS_24const_host_device_scalarIT6_EEPKT4_S3_PKS5_S9_S3_SB_S6_S9_S3_SB_S9_S3_PS5_21rocsparse_index_base_SD_SD_SD_bbb: ; @_ZN9rocsparseL41csrgemm_numeric_fill_block_per_row_kernelILj1024ELj64ELj16384ELj137ELj32EiifEEvT5_PKS1_S3_NS_24const_host_device_scalarIT6_EEPKT4_S3_PKS5_S9_S3_SB_S6_S9_S3_SB_S9_S3_PS5_21rocsparse_index_base_SD_SD_SD_bbb
; %bb.0:
	s_load_dword s3, s[0:1], 0x98
	s_load_dwordx4 s[64:67], s[0:1], 0x88
	s_load_dwordx2 s[4:5], s[0:1], 0x18
	s_load_dwordx2 s[16:17], s[0:1], 0x50
	s_waitcnt lgkmcnt(0)
	s_bitcmp1_b32 s3, 0
	s_cselect_b64 s[6:7], -1, 0
	s_bitcmp1_b32 s3, 16
	s_cselect_b64 s[18:19], -1, 0
	s_xor_b64 s[8:9], s[6:7], -1
	s_or_b64 s[8:9], s[18:19], s[8:9]
	s_and_b64 vcc, exec, s[8:9]
	s_cbranch_vccnz .LBB14_2
; %bb.1:
	s_load_dword s4, s[4:5], 0x0
	s_waitcnt lgkmcnt(0)
	v_mov_b32_e32 v8, s4
	s_branch .LBB14_3
.LBB14_2:
	v_mov_b32_e32 v1, s4
	v_cndmask_b32_e64 v8, 0, v1, s[6:7]
.LBB14_3:
	s_load_dwordx2 s[4:5], s[0:1], 0x80
                                        ; implicit-def: $vgpr22 : SGPR spill to VGPR lane
	s_load_dwordx2 s[28:29], s[0:1], 0x58
	s_load_dwordx4 s[24:27], s[0:1], 0x8
	s_load_dwordx8 s[8:15], s[0:1], 0x20
	s_bitcmp1_b32 s3, 8
	s_waitcnt lgkmcnt(0)
	v_writelane_b32 v22, s4, 0
	s_nop 1
	v_writelane_b32 v22, s5, 1
	s_load_dwordx2 s[4:5], s[0:1], 0x70
	s_waitcnt lgkmcnt(0)
	v_writelane_b32 v22, s4, 2
	s_nop 1
	v_writelane_b32 v22, s5, 3
	s_cselect_b64 s[4:5], -1, 0
	s_xor_b64 s[20:21], s[4:5], -1
	s_or_b64 s[18:19], s[18:19], s[20:21]
	s_and_b64 vcc, exec, s[18:19]
	s_cbranch_vccnz .LBB14_5
; %bb.4:
	s_load_dword s3, s[16:17], 0x0
	s_waitcnt lgkmcnt(0)
	v_mov_b32_e32 v7, s3
	s_branch .LBB14_6
.LBB14_5:
	v_mov_b32_e32 v1, s16
	v_cndmask_b32_e64 v7, 0, v1, s[4:5]
.LBB14_6:
	s_load_dwordx4 s[20:23], s[0:1], 0x40
	s_load_dword s33, s[0:1], 0x0
	s_load_dwordx4 s[16:19], s[0:1], 0x60
	v_or_b32_e32 v1, 0xfffffc00, v0
	v_lshl_add_u32 v6, v0, 2, 0
	s_mov_b64 s[0:1], 0
	s_waitcnt lgkmcnt(0)
	v_mov_b32_e32 v5, s33
	v_mov_b32_e32 v2, 0
	s_movk_i32 s3, 0x3bff
	v_mov_b32_e32 v3, v6
	v_mov_b32_e32 v4, v1
.LBB14_7:                               ; =>This Inner Loop Header: Depth=1
	v_add_u32_e32 v4, 0x400, v4
	v_cmp_lt_u32_e32 vcc, s3, v4
	ds_write_b32 v3, v5
	v_add_u32_e32 v9, 0x10000, v3
	v_add_u32_e32 v3, 0x1000, v3
	s_or_b64 s[0:1], vcc, s[0:1]
	ds_write_b32 v9, v2
	s_andn2_b64 exec, exec, s[0:1]
	s_cbranch_execnz .LBB14_7
; %bb.8:
	s_or_b64 exec, exec, s[0:1]
	s_waitcnt lgkmcnt(0)
	s_barrier
	s_load_dword s0, s[24:25], 0x0
	s_mov_b32 s1, 0
	s_waitcnt lgkmcnt(0)
	s_add_i32 s0, s0, s2
	s_lshl_b64 s[0:1], s[0:1], 2
	s_add_u32 s0, s26, s0
	s_addc_u32 s1, s27, s1
	s_load_dword s40, s[0:1], 0x0
	s_and_b64 vcc, exec, s[6:7]
	s_cbranch_vccz .LBB14_26
; %bb.9:
	s_waitcnt lgkmcnt(0)
	s_ashr_i32 s41, s40, 31
	s_lshl_b64 s[0:1], s[40:41], 2
	s_add_u32 s0, s8, s0
	s_addc_u32 s1, s9, s1
	s_load_dwordx2 s[2:3], s[0:1], 0x0
	v_lshrrev_b32_e32 v2, 6, v0
	v_subrev_u32_e32 v2, s64, v2
	s_waitcnt lgkmcnt(0)
	s_sub_i32 s38, s3, s64
	v_add_u32_e32 v2, s2, v2
	v_cmp_gt_i32_e32 vcc, s38, v2
	s_and_saveexec_b64 s[0:1], vcc
	s_cbranch_execz .LBB14_25
; %bb.10:
	v_and_b32_e32 v3, 63, v0
	v_subrev_u32_e32 v9, s65, v3
	s_mov_b64 s[2:3], 0
	s_movk_i32 s39, 0x89
	s_branch .LBB14_12
.LBB14_11:                              ;   in Loop: Header=BB14_12 Depth=1
	s_or_b64 exec, exec, s[6:7]
	v_add_u32_e32 v2, 16, v2
	v_cmp_le_i32_e32 vcc, s38, v2
	s_or_b64 s[2:3], vcc, s[2:3]
	s_andn2_b64 exec, exec, s[2:3]
	s_cbranch_execz .LBB14_25
.LBB14_12:                              ; =>This Loop Header: Depth=1
                                        ;     Child Loop BB14_16 Depth 2
                                        ;       Child Loop BB14_19 Depth 3
	v_ashrrev_i32_e32 v3, 31, v2
	v_lshl_add_u64 v[4:5], v[2:3], 2, s[10:11]
	global_load_dword v4, v[4:5], off
	s_waitcnt vmcnt(0)
	v_subrev_u32_e32 v4, s64, v4
	v_ashrrev_i32_e32 v5, 31, v4
	v_lshl_add_u64 v[4:5], v[4:5], 2, s[14:15]
	global_load_dwordx2 v[4:5], v[4:5], off
	s_waitcnt vmcnt(0)
	v_subrev_u32_e32 v10, s65, v5
	v_add_u32_e32 v4, v4, v9
	v_cmp_lt_i32_e32 vcc, v4, v10
	s_and_saveexec_b64 s[6:7], vcc
	s_cbranch_execz .LBB14_11
; %bb.13:                               ;   in Loop: Header=BB14_12 Depth=1
	v_lshl_add_u64 v[12:13], v[2:3], 2, s[12:13]
	global_load_dword v3, v[12:13], off
	s_mov_b64 s[8:9], 0
	s_waitcnt vmcnt(0)
	v_mul_f32_e32 v3, v8, v3
	s_branch .LBB14_16
.LBB14_14:                              ;   in Loop: Header=BB14_16 Depth=2
	s_or_b64 exec, exec, s[26:27]
.LBB14_15:                              ;   in Loop: Header=BB14_16 Depth=2
	s_or_b64 exec, exec, s[24:25]
	v_lshl_add_u32 v11, v11, 2, 0
	s_waitcnt vmcnt(0)
	v_mul_f32_e32 v5, v3, v5
	v_add_u32_e32 v11, 0x10000, v11
	ds_add_f32 v11, v5
	v_add_u32_e32 v4, 64, v4
	v_cmp_ge_i32_e32 vcc, v4, v10
	s_or_b64 s[8:9], vcc, s[8:9]
	s_andn2_b64 exec, exec, s[8:9]
	s_cbranch_execz .LBB14_11
.LBB14_16:                              ;   Parent Loop BB14_12 Depth=1
                                        ; =>  This Loop Header: Depth=2
                                        ;       Child Loop BB14_19 Depth 3
	v_ashrrev_i32_e32 v5, 31, v4
	v_lshlrev_b64 v[12:13], 2, v[4:5]
	v_lshl_add_u64 v[14:15], s[20:21], 0, v[12:13]
	global_load_dword v11, v[14:15], off
	v_lshl_add_u64 v[12:13], s[22:23], 0, v[12:13]
	global_load_dword v5, v[12:13], off
	s_waitcnt vmcnt(1)
	v_subrev_u32_e32 v12, s65, v11
	v_mul_lo_u32 v11, v12, s39
	v_and_b32_e32 v11, 0x3fff, v11
	v_lshl_add_u32 v13, v11, 2, 0
	ds_read_b32 v14, v13
	s_waitcnt lgkmcnt(0)
	v_cmp_ne_u32_e32 vcc, v14, v12
	s_and_saveexec_b64 s[24:25], vcc
	s_cbranch_execz .LBB14_15
; %bb.17:                               ;   in Loop: Header=BB14_16 Depth=2
	s_mov_b64 s[26:27], 0
	s_branch .LBB14_19
.LBB14_18:                              ;   in Loop: Header=BB14_19 Depth=3
	s_or_b64 exec, exec, s[36:37]
	s_and_b64 s[30:31], exec, s[34:35]
	s_or_b64 s[26:27], s[30:31], s[26:27]
	s_andn2_b64 exec, exec, s[26:27]
	s_cbranch_execz .LBB14_14
.LBB14_19:                              ;   Parent Loop BB14_12 Depth=1
                                        ;     Parent Loop BB14_16 Depth=2
                                        ; =>    This Inner Loop Header: Depth=3
	v_cmp_ne_u32_e32 vcc, s33, v14
	s_mov_b64 s[30:31], 0
	s_and_saveexec_b64 s[34:35], vcc
	s_xor_b64 s[34:35], exec, s[34:35]
	s_cbranch_execz .LBB14_21
; %bb.20:                               ;   in Loop: Header=BB14_19 Depth=3
	v_add_u32_e32 v11, 1, v11
	s_mov_b64 s[30:31], exec
	v_and_b32_e32 v11, 0x3fff, v11
                                        ; implicit-def: $vgpr13
	s_andn2_saveexec_b64 s[34:35], s[34:35]
	s_cbranch_execz .LBB14_23
	s_branch .LBB14_22
.LBB14_21:                              ;   in Loop: Header=BB14_19 Depth=3
	s_andn2_saveexec_b64 s[34:35], s[34:35]
	s_cbranch_execz .LBB14_23
.LBB14_22:                              ;   in Loop: Header=BB14_19 Depth=3
	v_mov_b32_e32 v14, s33
	ds_cmpst_rtn_b32 v13, v13, v14, v12
	s_andn2_b64 s[30:31], s[30:31], exec
	s_waitcnt lgkmcnt(0)
	v_cmp_ne_u32_e32 vcc, s33, v13
	s_and_b64 s[36:37], vcc, exec
	s_or_b64 s[30:31], s[30:31], s[36:37]
.LBB14_23:                              ;   in Loop: Header=BB14_19 Depth=3
	s_or_b64 exec, exec, s[34:35]
	s_mov_b64 s[34:35], -1
                                        ; implicit-def: $vgpr13
                                        ; implicit-def: $vgpr14
	s_and_saveexec_b64 s[36:37], s[30:31]
	s_cbranch_execz .LBB14_18
; %bb.24:                               ;   in Loop: Header=BB14_19 Depth=3
	v_lshl_add_u32 v13, v11, 2, 0
	ds_read_b32 v14, v13
	s_waitcnt lgkmcnt(0)
	v_cmp_eq_u32_e32 vcc, v14, v12
	s_orn2_b64 s[34:35], vcc, exec
	s_branch .LBB14_18
.LBB14_25:
	s_or_b64 exec, exec, s[0:1]
.LBB14_26:
	s_andn2_b64 vcc, exec, s[4:5]
	s_cbranch_vccnz .LBB14_41
; %bb.27:
	s_waitcnt lgkmcnt(0)
	s_ashr_i32 s41, s40, 31
	s_lshl_b64 s[0:1], s[40:41], 2
	s_add_u32 s0, s28, s0
	s_addc_u32 s1, s29, s1
	s_load_dwordx2 s[2:3], s[0:1], 0x0
	v_subrev_u32_e32 v2, s67, v0
	s_waitcnt lgkmcnt(0)
	s_sub_i32 s14, s3, s67
	v_add_u32_e32 v2, s2, v2
	v_cmp_gt_i32_e32 vcc, s14, v2
	s_and_saveexec_b64 s[0:1], vcc
	s_cbranch_execz .LBB14_40
; %bb.28:
	s_mov_b64 s[2:3], 0
	s_movk_i32 s15, 0x89
	s_branch .LBB14_31
.LBB14_29:                              ;   in Loop: Header=BB14_31 Depth=1
	s_or_b64 exec, exec, s[6:7]
.LBB14_30:                              ;   in Loop: Header=BB14_31 Depth=1
	s_or_b64 exec, exec, s[4:5]
	v_lshl_add_u32 v4, v4, 2, 0
	s_waitcnt vmcnt(0)
	v_mul_f32_e32 v3, v7, v3
	v_add_u32_e32 v4, 0x10000, v4
	ds_add_f32 v4, v3
	v_add_u32_e32 v2, 0x400, v2
	v_cmp_le_i32_e32 vcc, s14, v2
	s_or_b64 s[2:3], vcc, s[2:3]
	s_andn2_b64 exec, exec, s[2:3]
	s_cbranch_execz .LBB14_40
.LBB14_31:                              ; =>This Loop Header: Depth=1
                                        ;     Child Loop BB14_34 Depth 2
	v_ashrrev_i32_e32 v3, 31, v2
	v_lshlrev_b64 v[4:5], 2, v[2:3]
	v_lshl_add_u64 v[8:9], s[16:17], 0, v[4:5]
	global_load_dword v8, v[8:9], off
	v_lshl_add_u64 v[4:5], s[18:19], 0, v[4:5]
	global_load_dword v3, v[4:5], off
	s_waitcnt vmcnt(1)
	v_subrev_u32_e32 v5, s67, v8
	v_mul_lo_u32 v4, v5, s15
	v_and_b32_e32 v4, 0x3fff, v4
	v_lshl_add_u32 v8, v4, 2, 0
	ds_read_b32 v9, v8
	s_waitcnt lgkmcnt(0)
	v_cmp_ne_u32_e32 vcc, v9, v5
	s_and_saveexec_b64 s[4:5], vcc
	s_cbranch_execz .LBB14_30
; %bb.32:                               ;   in Loop: Header=BB14_31 Depth=1
	s_mov_b64 s[6:7], 0
	s_branch .LBB14_34
.LBB14_33:                              ;   in Loop: Header=BB14_34 Depth=2
	s_or_b64 exec, exec, s[12:13]
	s_and_b64 s[8:9], exec, s[10:11]
	s_or_b64 s[6:7], s[8:9], s[6:7]
	s_andn2_b64 exec, exec, s[6:7]
	s_cbranch_execz .LBB14_29
.LBB14_34:                              ;   Parent Loop BB14_31 Depth=1
                                        ; =>  This Inner Loop Header: Depth=2
	v_cmp_ne_u32_e32 vcc, s33, v9
	s_mov_b64 s[8:9], 0
	s_and_saveexec_b64 s[10:11], vcc
	s_xor_b64 s[10:11], exec, s[10:11]
	s_cbranch_execz .LBB14_36
; %bb.35:                               ;   in Loop: Header=BB14_34 Depth=2
	v_add_u32_e32 v4, 1, v4
	s_mov_b64 s[8:9], exec
	v_and_b32_e32 v4, 0x3fff, v4
                                        ; implicit-def: $vgpr8
	s_andn2_saveexec_b64 s[10:11], s[10:11]
	s_cbranch_execz .LBB14_38
	s_branch .LBB14_37
.LBB14_36:                              ;   in Loop: Header=BB14_34 Depth=2
	s_andn2_saveexec_b64 s[10:11], s[10:11]
	s_cbranch_execz .LBB14_38
.LBB14_37:                              ;   in Loop: Header=BB14_34 Depth=2
	v_mov_b32_e32 v9, s33
	ds_cmpst_rtn_b32 v8, v8, v9, v5
	s_andn2_b64 s[8:9], s[8:9], exec
	s_waitcnt lgkmcnt(0)
	v_cmp_ne_u32_e32 vcc, s33, v8
	s_and_b64 s[12:13], vcc, exec
	s_or_b64 s[8:9], s[8:9], s[12:13]
.LBB14_38:                              ;   in Loop: Header=BB14_34 Depth=2
	s_or_b64 exec, exec, s[10:11]
	s_mov_b64 s[10:11], -1
                                        ; implicit-def: $vgpr8
                                        ; implicit-def: $vgpr9
	s_and_saveexec_b64 s[12:13], s[8:9]
	s_cbranch_execz .LBB14_33
; %bb.39:                               ;   in Loop: Header=BB14_34 Depth=2
	v_lshl_add_u32 v8, v4, 2, 0
	ds_read_b32 v9, v8
	s_waitcnt lgkmcnt(0)
	v_cmp_eq_u32_e32 vcc, v9, v5
	s_orn2_b64 s[10:11], vcc, exec
	s_branch .LBB14_33
.LBB14_40:
	s_or_b64 exec, exec, s[0:1]
.LBB14_41:
	s_waitcnt lgkmcnt(0)
	v_writelane_b32 v22, s40, 4
	s_add_i32 s0, 0, 0x20000
	v_lshrrev_b32_e32 v4, 3, v0
	v_writelane_b32 v22, s41, 5
	v_writelane_b32 v22, s0, 6
	s_add_i32 s60, 0, 0x20004
	v_mbcnt_lo_u32_b32 v2, -1, 0
	v_and_b32_e32 v4, 0x7c, v4
	v_writelane_b32 v22, s60, 7
	s_add_i32 s60, 0, 0x20008
	v_mbcnt_hi_u32_b32 v2, -1, v2
	v_add_u32_e32 v4, s0, v4
	s_movk_i32 s0, 0x3ff
	v_writelane_b32 v22, s60, 8
	s_add_i32 s60, 0, 0x2000c
	v_sub_u32_e32 v2, 63, v2
	v_cmp_eq_u32_e32 vcc, s0, v0
	s_movk_i32 s0, 0x5f
	s_movk_i32 s2, 0x7f
	;; [unrolled: 1-line block ×29, first 2 shown]
	v_writelane_b32 v22, s60, 9
	s_add_i32 s60, 0, 0x20014
	v_lshrrev_b64 v[2:3], v2, -1
	v_cmp_lt_u32_e64 s[0:1], s0, v0
	v_cmp_lt_u32_e64 s[2:3], s2, v0
	;; [unrolled: 1-line block ×29, first 2 shown]
	v_mov_b32_e32 v5, 0
	s_add_i32 s79, 0, 0x20010
	v_writelane_b32 v22, s60, 10
	s_add_i32 s82, 0, 0x20018
	s_add_i32 s83, 0, 0x2001c
	;; [unrolled: 1-line block ×26, first 2 shown]
	v_cmp_lt_u32_e64 s[60:61], 31, v0
	v_cmp_lt_u32_e64 s[62:63], 63, v0
	s_mov_b64 s[74:75], 0
	s_barrier
	s_branch .LBB14_43
.LBB14_42:                              ;   in Loop: Header=BB14_43 Depth=1
	s_or_b64 exec, exec, s[64:65]
	v_mov_b32_e32 v7, s78
	s_waitcnt lgkmcnt(0)
	s_barrier
	ds_read_b32 v7, v7
	v_add_u32_e32 v1, 0x400, v1
	s_movk_i32 s64, 0x3bff
	v_cmp_lt_u32_e64 s[64:65], s64, v1
	s_or_b64 s[74:75], s[64:65], s[74:75]
	s_waitcnt lgkmcnt(0)
	v_add_u32_e32 v5, v7, v5
	v_add_u32_e32 v6, 0x1000, v6
	s_andn2_b64 exec, exec, s[74:75]
	s_cbranch_execz .LBB14_109
.LBB14_43:                              ; =>This Inner Loop Header: Depth=1
	ds_read_b32 v8, v6
	v_add_u32_e32 v7, 0x10000, v6
	ds_read_b32 v9, v7
	s_waitcnt lgkmcnt(0)
	s_barrier
	v_cmp_gt_i32_e64 s[64:65], s33, v8
	s_bcnt1_i32_b64 s76, s[64:65]
	s_nop 0
	v_and_b32_e32 v10, s64, v2
	v_and_b32_e32 v7, s65, v3
	v_bcnt_u32_b32 v10, v10, 0
	v_bcnt_u32_b32 v7, v7, v10
	v_mov_b32_e32 v10, s76
	ds_write_b32 v4, v10
	s_waitcnt lgkmcnt(0)
	s_barrier
	s_and_saveexec_b64 s[76:77], s[60:61]
	s_cbranch_execz .LBB14_76
; %bb.44:                               ;   in Loop: Header=BB14_43 Depth=1
	v_readlane_b32 s80, v22, 6
	s_nop 1
	v_mov_b32_e32 v10, s80
	ds_read_b32 v10, v10
	s_waitcnt lgkmcnt(0)
	v_add_u32_e32 v7, v10, v7
	s_or_b64 exec, exec, s[76:77]
	s_and_saveexec_b64 s[76:77], s[62:63]
	s_cbranch_execnz .LBB14_77
.LBB14_45:                              ;   in Loop: Header=BB14_43 Depth=1
	s_or_b64 exec, exec, s[76:77]
	s_and_saveexec_b64 s[76:77], s[0:1]
	s_cbranch_execz .LBB14_78
.LBB14_46:                              ;   in Loop: Header=BB14_43 Depth=1
	v_readlane_b32 s80, v22, 8
	s_nop 1
	v_mov_b32_e32 v10, s80
	ds_read_b32 v10, v10
	s_waitcnt lgkmcnt(0)
	v_add_u32_e32 v7, v10, v7
	s_or_b64 exec, exec, s[76:77]
	s_and_saveexec_b64 s[76:77], s[2:3]
	s_cbranch_execnz .LBB14_79
.LBB14_47:                              ;   in Loop: Header=BB14_43 Depth=1
	s_or_b64 exec, exec, s[76:77]
	s_and_saveexec_b64 s[76:77], s[4:5]
	s_cbranch_execz .LBB14_80
.LBB14_48:                              ;   in Loop: Header=BB14_43 Depth=1
	v_mov_b32_e32 v10, s79
	ds_read_b32 v10, v10
	s_waitcnt lgkmcnt(0)
	v_add_u32_e32 v7, v10, v7
	s_or_b64 exec, exec, s[76:77]
	s_and_saveexec_b64 s[76:77], s[6:7]
	s_cbranch_execnz .LBB14_81
.LBB14_49:                              ;   in Loop: Header=BB14_43 Depth=1
	s_or_b64 exec, exec, s[76:77]
	s_and_saveexec_b64 s[76:77], s[8:9]
	s_cbranch_execz .LBB14_82
.LBB14_50:                              ;   in Loop: Header=BB14_43 Depth=1
	v_mov_b32_e32 v10, s82
	ds_read_b32 v10, v10
	s_waitcnt lgkmcnt(0)
	v_add_u32_e32 v7, v10, v7
	s_or_b64 exec, exec, s[76:77]
	s_and_saveexec_b64 s[76:77], s[10:11]
	s_cbranch_execnz .LBB14_83
.LBB14_51:                              ;   in Loop: Header=BB14_43 Depth=1
	s_or_b64 exec, exec, s[76:77]
	s_and_saveexec_b64 s[76:77], s[12:13]
	s_cbranch_execz .LBB14_84
.LBB14_52:                              ;   in Loop: Header=BB14_43 Depth=1
	v_mov_b32_e32 v10, s84
	ds_read_b32 v10, v10
	s_waitcnt lgkmcnt(0)
	v_add_u32_e32 v7, v10, v7
	s_or_b64 exec, exec, s[76:77]
	s_and_saveexec_b64 s[76:77], s[14:15]
	s_cbranch_execnz .LBB14_85
.LBB14_53:                              ;   in Loop: Header=BB14_43 Depth=1
	s_or_b64 exec, exec, s[76:77]
	s_and_saveexec_b64 s[76:77], s[16:17]
	s_cbranch_execz .LBB14_86
.LBB14_54:                              ;   in Loop: Header=BB14_43 Depth=1
	v_mov_b32_e32 v10, s86
	ds_read_b32 v10, v10
	s_waitcnt lgkmcnt(0)
	v_add_u32_e32 v7, v10, v7
	s_or_b64 exec, exec, s[76:77]
	s_and_saveexec_b64 s[76:77], s[18:19]
	s_cbranch_execnz .LBB14_87
.LBB14_55:                              ;   in Loop: Header=BB14_43 Depth=1
	s_or_b64 exec, exec, s[76:77]
	s_and_saveexec_b64 s[76:77], s[20:21]
	s_cbranch_execz .LBB14_88
.LBB14_56:                              ;   in Loop: Header=BB14_43 Depth=1
	v_mov_b32_e32 v10, s88
	ds_read_b32 v10, v10
	s_waitcnt lgkmcnt(0)
	v_add_u32_e32 v7, v10, v7
	s_or_b64 exec, exec, s[76:77]
	s_and_saveexec_b64 s[76:77], s[22:23]
	s_cbranch_execnz .LBB14_89
.LBB14_57:                              ;   in Loop: Header=BB14_43 Depth=1
	s_or_b64 exec, exec, s[76:77]
	s_and_saveexec_b64 s[76:77], s[24:25]
	s_cbranch_execz .LBB14_90
.LBB14_58:                              ;   in Loop: Header=BB14_43 Depth=1
	v_mov_b32_e32 v10, s90
	ds_read_b32 v10, v10
	s_waitcnt lgkmcnt(0)
	v_add_u32_e32 v7, v10, v7
	s_or_b64 exec, exec, s[76:77]
	s_and_saveexec_b64 s[76:77], s[26:27]
	s_cbranch_execnz .LBB14_91
.LBB14_59:                              ;   in Loop: Header=BB14_43 Depth=1
	s_or_b64 exec, exec, s[76:77]
	s_and_saveexec_b64 s[76:77], s[28:29]
	s_cbranch_execz .LBB14_92
.LBB14_60:                              ;   in Loop: Header=BB14_43 Depth=1
	v_mov_b32_e32 v10, s92
	ds_read_b32 v10, v10
	s_waitcnt lgkmcnt(0)
	v_add_u32_e32 v7, v10, v7
	s_or_b64 exec, exec, s[76:77]
	s_and_saveexec_b64 s[76:77], s[30:31]
	s_cbranch_execnz .LBB14_93
.LBB14_61:                              ;   in Loop: Header=BB14_43 Depth=1
	s_or_b64 exec, exec, s[76:77]
	s_and_saveexec_b64 s[76:77], s[34:35]
	s_cbranch_execz .LBB14_94
.LBB14_62:                              ;   in Loop: Header=BB14_43 Depth=1
	v_mov_b32_e32 v10, s94
	ds_read_b32 v10, v10
	s_waitcnt lgkmcnt(0)
	v_add_u32_e32 v7, v10, v7
	s_or_b64 exec, exec, s[76:77]
	s_and_saveexec_b64 s[76:77], s[36:37]
	s_cbranch_execnz .LBB14_95
.LBB14_63:                              ;   in Loop: Header=BB14_43 Depth=1
	s_or_b64 exec, exec, s[76:77]
	s_and_saveexec_b64 s[76:77], s[38:39]
	s_cbranch_execz .LBB14_96
.LBB14_64:                              ;   in Loop: Header=BB14_43 Depth=1
	v_mov_b32_e32 v10, s96
	ds_read_b32 v10, v10
	s_waitcnt lgkmcnt(0)
	v_add_u32_e32 v7, v10, v7
	s_or_b64 exec, exec, s[76:77]
	s_and_saveexec_b64 s[76:77], s[40:41]
	s_cbranch_execnz .LBB14_97
.LBB14_65:                              ;   in Loop: Header=BB14_43 Depth=1
	s_or_b64 exec, exec, s[76:77]
	s_and_saveexec_b64 s[76:77], s[42:43]
	s_cbranch_execz .LBB14_98
.LBB14_66:                              ;   in Loop: Header=BB14_43 Depth=1
	v_mov_b32_e32 v10, s98
	ds_read_b32 v10, v10
	s_waitcnt lgkmcnt(0)
	v_add_u32_e32 v7, v10, v7
	s_or_b64 exec, exec, s[76:77]
	s_and_saveexec_b64 s[76:77], s[44:45]
	s_cbranch_execnz .LBB14_99
.LBB14_67:                              ;   in Loop: Header=BB14_43 Depth=1
	s_or_b64 exec, exec, s[76:77]
	s_and_saveexec_b64 s[76:77], s[46:47]
	s_cbranch_execz .LBB14_100
.LBB14_68:                              ;   in Loop: Header=BB14_43 Depth=1
	v_mov_b32_e32 v10, s70
	ds_read_b32 v10, v10
	s_waitcnt lgkmcnt(0)
	v_add_u32_e32 v7, v10, v7
	s_or_b64 exec, exec, s[76:77]
	s_and_saveexec_b64 s[76:77], s[48:49]
	s_cbranch_execnz .LBB14_101
.LBB14_69:                              ;   in Loop: Header=BB14_43 Depth=1
	s_or_b64 exec, exec, s[76:77]
	s_and_saveexec_b64 s[76:77], s[50:51]
	s_cbranch_execz .LBB14_102
.LBB14_70:                              ;   in Loop: Header=BB14_43 Depth=1
	v_mov_b32_e32 v10, s72
	ds_read_b32 v10, v10
	s_waitcnt lgkmcnt(0)
	v_add_u32_e32 v7, v10, v7
	s_or_b64 exec, exec, s[76:77]
	s_and_saveexec_b64 s[76:77], s[52:53]
	s_cbranch_execnz .LBB14_103
.LBB14_71:                              ;   in Loop: Header=BB14_43 Depth=1
	s_or_b64 exec, exec, s[76:77]
	s_and_saveexec_b64 s[76:77], s[54:55]
	s_cbranch_execz .LBB14_104
.LBB14_72:                              ;   in Loop: Header=BB14_43 Depth=1
	v_mov_b32_e32 v10, s69
	ds_read_b32 v10, v10
	s_waitcnt lgkmcnt(0)
	v_add_u32_e32 v7, v10, v7
	s_or_b64 exec, exec, s[76:77]
	s_and_saveexec_b64 s[76:77], s[56:57]
	s_cbranch_execnz .LBB14_105
.LBB14_73:                              ;   in Loop: Header=BB14_43 Depth=1
	s_or_b64 exec, exec, s[76:77]
	s_and_saveexec_b64 s[76:77], s[58:59]
	s_cbranch_execz .LBB14_106
.LBB14_74:                              ;   in Loop: Header=BB14_43 Depth=1
	v_mov_b32_e32 v10, s73
	ds_read_b32 v10, v10
	s_waitcnt lgkmcnt(0)
	v_add_u32_e32 v7, v10, v7
	s_or_b64 exec, exec, s[76:77]
	s_and_saveexec_b64 s[76:77], s[64:65]
	s_cbranch_execnz .LBB14_107
.LBB14_75:                              ;   in Loop: Header=BB14_43 Depth=1
	s_or_b64 exec, exec, s[76:77]
	s_and_saveexec_b64 s[64:65], vcc
	s_cbranch_execz .LBB14_42
	s_branch .LBB14_108
.LBB14_76:                              ;   in Loop: Header=BB14_43 Depth=1
	s_or_b64 exec, exec, s[76:77]
	s_and_saveexec_b64 s[76:77], s[62:63]
	s_cbranch_execz .LBB14_45
.LBB14_77:                              ;   in Loop: Header=BB14_43 Depth=1
	v_readlane_b32 s80, v22, 7
	s_nop 1
	v_mov_b32_e32 v10, s80
	ds_read_b32 v10, v10
	s_waitcnt lgkmcnt(0)
	v_add_u32_e32 v7, v10, v7
	s_or_b64 exec, exec, s[76:77]
	s_and_saveexec_b64 s[76:77], s[0:1]
	s_cbranch_execnz .LBB14_46
.LBB14_78:                              ;   in Loop: Header=BB14_43 Depth=1
	s_or_b64 exec, exec, s[76:77]
	s_and_saveexec_b64 s[76:77], s[2:3]
	s_cbranch_execz .LBB14_47
.LBB14_79:                              ;   in Loop: Header=BB14_43 Depth=1
	v_readlane_b32 s80, v22, 9
	s_nop 1
	v_mov_b32_e32 v10, s80
	ds_read_b32 v10, v10
	s_waitcnt lgkmcnt(0)
	v_add_u32_e32 v7, v10, v7
	s_or_b64 exec, exec, s[76:77]
	s_and_saveexec_b64 s[76:77], s[4:5]
	s_cbranch_execnz .LBB14_48
.LBB14_80:                              ;   in Loop: Header=BB14_43 Depth=1
	s_or_b64 exec, exec, s[76:77]
	s_and_saveexec_b64 s[76:77], s[6:7]
	s_cbranch_execz .LBB14_49
.LBB14_81:                              ;   in Loop: Header=BB14_43 Depth=1
	v_readlane_b32 s80, v22, 10
	s_nop 1
	v_mov_b32_e32 v10, s80
	ds_read_b32 v10, v10
	s_waitcnt lgkmcnt(0)
	v_add_u32_e32 v7, v10, v7
	s_or_b64 exec, exec, s[76:77]
	s_and_saveexec_b64 s[76:77], s[8:9]
	s_cbranch_execnz .LBB14_50
.LBB14_82:                              ;   in Loop: Header=BB14_43 Depth=1
	s_or_b64 exec, exec, s[76:77]
	s_and_saveexec_b64 s[76:77], s[10:11]
	s_cbranch_execz .LBB14_51
.LBB14_83:                              ;   in Loop: Header=BB14_43 Depth=1
	v_mov_b32_e32 v10, s83
	ds_read_b32 v10, v10
	s_waitcnt lgkmcnt(0)
	v_add_u32_e32 v7, v10, v7
	s_or_b64 exec, exec, s[76:77]
	s_and_saveexec_b64 s[76:77], s[12:13]
	s_cbranch_execnz .LBB14_52
.LBB14_84:                              ;   in Loop: Header=BB14_43 Depth=1
	s_or_b64 exec, exec, s[76:77]
	s_and_saveexec_b64 s[76:77], s[14:15]
	s_cbranch_execz .LBB14_53
.LBB14_85:                              ;   in Loop: Header=BB14_43 Depth=1
	v_mov_b32_e32 v10, s85
	ds_read_b32 v10, v10
	s_waitcnt lgkmcnt(0)
	v_add_u32_e32 v7, v10, v7
	s_or_b64 exec, exec, s[76:77]
	s_and_saveexec_b64 s[76:77], s[16:17]
	s_cbranch_execnz .LBB14_54
.LBB14_86:                              ;   in Loop: Header=BB14_43 Depth=1
	s_or_b64 exec, exec, s[76:77]
	s_and_saveexec_b64 s[76:77], s[18:19]
	s_cbranch_execz .LBB14_55
.LBB14_87:                              ;   in Loop: Header=BB14_43 Depth=1
	v_mov_b32_e32 v10, s87
	ds_read_b32 v10, v10
	s_waitcnt lgkmcnt(0)
	v_add_u32_e32 v7, v10, v7
	s_or_b64 exec, exec, s[76:77]
	s_and_saveexec_b64 s[76:77], s[20:21]
	s_cbranch_execnz .LBB14_56
.LBB14_88:                              ;   in Loop: Header=BB14_43 Depth=1
	s_or_b64 exec, exec, s[76:77]
	s_and_saveexec_b64 s[76:77], s[22:23]
	s_cbranch_execz .LBB14_57
.LBB14_89:                              ;   in Loop: Header=BB14_43 Depth=1
	v_mov_b32_e32 v10, s89
	ds_read_b32 v10, v10
	s_waitcnt lgkmcnt(0)
	v_add_u32_e32 v7, v10, v7
	s_or_b64 exec, exec, s[76:77]
	s_and_saveexec_b64 s[76:77], s[24:25]
	s_cbranch_execnz .LBB14_58
.LBB14_90:                              ;   in Loop: Header=BB14_43 Depth=1
	s_or_b64 exec, exec, s[76:77]
	s_and_saveexec_b64 s[76:77], s[26:27]
	s_cbranch_execz .LBB14_59
.LBB14_91:                              ;   in Loop: Header=BB14_43 Depth=1
	v_mov_b32_e32 v10, s91
	ds_read_b32 v10, v10
	s_waitcnt lgkmcnt(0)
	v_add_u32_e32 v7, v10, v7
	s_or_b64 exec, exec, s[76:77]
	s_and_saveexec_b64 s[76:77], s[28:29]
	s_cbranch_execnz .LBB14_60
.LBB14_92:                              ;   in Loop: Header=BB14_43 Depth=1
	s_or_b64 exec, exec, s[76:77]
	s_and_saveexec_b64 s[76:77], s[30:31]
	s_cbranch_execz .LBB14_61
.LBB14_93:                              ;   in Loop: Header=BB14_43 Depth=1
	v_mov_b32_e32 v10, s93
	ds_read_b32 v10, v10
	s_waitcnt lgkmcnt(0)
	v_add_u32_e32 v7, v10, v7
	s_or_b64 exec, exec, s[76:77]
	s_and_saveexec_b64 s[76:77], s[34:35]
	s_cbranch_execnz .LBB14_62
.LBB14_94:                              ;   in Loop: Header=BB14_43 Depth=1
	s_or_b64 exec, exec, s[76:77]
	s_and_saveexec_b64 s[76:77], s[36:37]
	s_cbranch_execz .LBB14_63
.LBB14_95:                              ;   in Loop: Header=BB14_43 Depth=1
	v_mov_b32_e32 v10, s95
	ds_read_b32 v10, v10
	s_waitcnt lgkmcnt(0)
	v_add_u32_e32 v7, v10, v7
	s_or_b64 exec, exec, s[76:77]
	s_and_saveexec_b64 s[76:77], s[38:39]
	s_cbranch_execnz .LBB14_64
.LBB14_96:                              ;   in Loop: Header=BB14_43 Depth=1
	s_or_b64 exec, exec, s[76:77]
	s_and_saveexec_b64 s[76:77], s[40:41]
	s_cbranch_execz .LBB14_65
.LBB14_97:                              ;   in Loop: Header=BB14_43 Depth=1
	v_mov_b32_e32 v10, s97
	ds_read_b32 v10, v10
	s_waitcnt lgkmcnt(0)
	v_add_u32_e32 v7, v10, v7
	s_or_b64 exec, exec, s[76:77]
	s_and_saveexec_b64 s[76:77], s[42:43]
	s_cbranch_execnz .LBB14_66
.LBB14_98:                              ;   in Loop: Header=BB14_43 Depth=1
	s_or_b64 exec, exec, s[76:77]
	s_and_saveexec_b64 s[76:77], s[44:45]
	s_cbranch_execz .LBB14_67
.LBB14_99:                              ;   in Loop: Header=BB14_43 Depth=1
	v_mov_b32_e32 v10, s99
	ds_read_b32 v10, v10
	s_waitcnt lgkmcnt(0)
	v_add_u32_e32 v7, v10, v7
	s_or_b64 exec, exec, s[76:77]
	s_and_saveexec_b64 s[76:77], s[46:47]
	s_cbranch_execnz .LBB14_68
.LBB14_100:                             ;   in Loop: Header=BB14_43 Depth=1
	s_or_b64 exec, exec, s[76:77]
	s_and_saveexec_b64 s[76:77], s[48:49]
	s_cbranch_execz .LBB14_69
.LBB14_101:                             ;   in Loop: Header=BB14_43 Depth=1
	v_mov_b32_e32 v10, s71
	ds_read_b32 v10, v10
	s_waitcnt lgkmcnt(0)
	v_add_u32_e32 v7, v10, v7
	s_or_b64 exec, exec, s[76:77]
	s_and_saveexec_b64 s[76:77], s[50:51]
	s_cbranch_execnz .LBB14_70
.LBB14_102:                             ;   in Loop: Header=BB14_43 Depth=1
	s_or_b64 exec, exec, s[76:77]
	s_and_saveexec_b64 s[76:77], s[52:53]
	s_cbranch_execz .LBB14_71
.LBB14_103:                             ;   in Loop: Header=BB14_43 Depth=1
	v_mov_b32_e32 v10, s68
	ds_read_b32 v10, v10
	s_waitcnt lgkmcnt(0)
	v_add_u32_e32 v7, v10, v7
	s_or_b64 exec, exec, s[76:77]
	s_and_saveexec_b64 s[76:77], s[54:55]
	s_cbranch_execnz .LBB14_72
.LBB14_104:                             ;   in Loop: Header=BB14_43 Depth=1
	s_or_b64 exec, exec, s[76:77]
	s_and_saveexec_b64 s[76:77], s[56:57]
	s_cbranch_execz .LBB14_73
.LBB14_105:                             ;   in Loop: Header=BB14_43 Depth=1
	v_mov_b32_e32 v10, s67
	ds_read_b32 v10, v10
	s_waitcnt lgkmcnt(0)
	v_add_u32_e32 v7, v10, v7
	s_or_b64 exec, exec, s[76:77]
	s_and_saveexec_b64 s[76:77], s[58:59]
	s_cbranch_execnz .LBB14_74
.LBB14_106:                             ;   in Loop: Header=BB14_43 Depth=1
	s_or_b64 exec, exec, s[76:77]
	s_and_saveexec_b64 s[76:77], s[64:65]
	s_cbranch_execz .LBB14_75
.LBB14_107:                             ;   in Loop: Header=BB14_43 Depth=1
	v_add3_u32 v10, v5, -1, v7
	v_lshl_add_u32 v10, v10, 2, 0
	v_add_u32_e32 v11, v5, v7
	v_lshl_add_u32 v11, v11, 2, 0
	ds_write_b32 v10, v8
	ds_write_b32 v11, v9 offset:65532
	s_or_b64 exec, exec, s[76:77]
	s_and_saveexec_b64 s[64:65], vcc
	s_cbranch_execz .LBB14_42
.LBB14_108:                             ;   in Loop: Header=BB14_43 Depth=1
	v_mov_b32_e32 v8, s78
	ds_write_b32 v8, v7
	s_branch .LBB14_42
.LBB14_109:
	s_or_b64 exec, exec, s[74:75]
	v_readlane_b32 s0, v22, 4
	v_readlane_b32 s1, v22, 5
	s_ashr_i32 s1, s0, 31
	s_lshl_b64 s[0:1], s[0:1], 2
	v_readlane_b32 s2, v22, 2
	v_readlane_b32 s3, v22, 3
	s_add_u32 s2, s2, s0
	s_addc_u32 s3, s3, s1
	s_load_dwordx2 s[0:1], s[2:3], 0x0
	s_waitcnt lgkmcnt(0)
	s_sub_i32 s14, s1, s0
	v_cmp_gt_i32_e32 vcc, s14, v0
	s_and_saveexec_b64 s[2:3], vcc
	s_cbranch_execz .LBB14_123
; %bb.110:
	s_sub_i32 s8, s0, s66
	v_sub_co_u32_e64 v1, s[0:1], s14, 2
	s_nop 0
	v_readfirstlane_b32 s2, v1
	s_lshr_b32 s2, s2, 1
	s_add_i32 s2, s2, 1
	s_xor_b64 s[0:1], s[0:1], -1
	s_and_b32 s15, s14, -2
	s_and_b32 s3, s2, 7
	s_and_b32 s16, s2, -8
	s_cmp_lg_u32 s3, 0
	v_cmp_lt_u32_e32 vcc, 13, v1
	s_cselect_b64 s[4:5], -1, 0
	s_cmp_lg_u32 s14, s15
	v_cndmask_b32_e64 v1, 0, 1, vcc
	s_cselect_b64 s[10:11], -1, 0
	s_lshl_b32 s17, s3, 3
	v_cndmask_b32_e64 v2, 0, 1, s[0:1]
	v_cmp_ne_u32_e64 s[2:3], 1, v1
	v_cndmask_b32_e64 v1, 0, 1, s[4:5]
	s_mov_b32 s9, 0
	s_mov_b64 s[12:13], 0
	v_cmp_ne_u32_e64 s[0:1], 1, v2
	v_cmp_ne_u32_e64 s[4:5], 1, v1
	s_branch .LBB14_112
.LBB14_111:                             ;   in Loop: Header=BB14_112 Depth=1
	v_readlane_b32 s6, v22, 0
	v_add_u32_e32 v0, 0x400, v0
	v_ashrrev_i32_e32 v3, 31, v2
	v_readlane_b32 s7, v22, 1
	v_cmp_le_i32_e32 vcc, s14, v0
	s_or_b64 s[12:13], vcc, s[12:13]
	v_lshl_add_u64 v[2:3], v[2:3], 2, s[6:7]
	s_waitcnt lgkmcnt(0)
	global_store_dword v[2:3], v1, off
	s_andn2_b64 exec, exec, s[12:13]
	s_cbranch_execz .LBB14_123
.LBB14_112:                             ; =>This Loop Header: Depth=1
                                        ;     Child Loop BB14_115 Depth 2
                                        ;     Child Loop BB14_118 Depth 2
	;; [unrolled: 1-line block ×3, first 2 shown]
	v_lshl_add_u32 v1, v0, 2, 0
	v_add_u32_e32 v2, 0x10000, v1
	ds_read_b32 v4, v1
	ds_read_b32 v1, v2
	s_and_b64 vcc, exec, s[0:1]
	v_mov_b32_e32 v2, s8
	s_mov_b32 s18, 0
	s_mov_b64 s[6:7], -1
	s_cbranch_vccnz .LBB14_120
; %bb.113:                              ;   in Loop: Header=BB14_112 Depth=1
	s_and_b64 vcc, exec, s[2:3]
	v_mov_b64_e32 v[2:3], s[8:9]
	s_cbranch_vccnz .LBB14_116
; %bb.114:                              ;   in Loop: Header=BB14_112 Depth=1
	s_mov_b32 s19, 0
	v_mov_b32_e32 v2, s8
	v_mov_b32_e32 v3, 0
	s_mov_b32 s20, s16
.LBB14_115:                             ;   Parent Loop BB14_112 Depth=1
                                        ; =>  This Inner Loop Header: Depth=2
	v_mov_b32_e32 v5, s19
	ds_read2_b32 v[6:7], v5 offset1:1
	ds_read2_b32 v[8:9], v5 offset0:2 offset1:3
	ds_read2_b32 v[10:11], v5 offset0:4 offset1:5
	;; [unrolled: 1-line block ×7, first 2 shown]
	s_waitcnt lgkmcnt(7)
	v_cmp_gt_i32_e32 vcc, v4, v7
	s_waitcnt lgkmcnt(5)
	v_cmp_gt_i32_e64 s[6:7], v4, v10
	s_add_i32 s18, s18, 16
	v_cndmask_b32_e64 v5, 0, 1, vcc
	v_cmp_gt_i32_e32 vcc, v4, v6
	v_cndmask_b32_e64 v7, 0, 1, s[6:7]
	v_cmp_gt_i32_e64 s[6:7], v4, v11
	v_cndmask_b32_e64 v6, 0, 1, vcc
	v_cmp_gt_i32_e32 vcc, v4, v9
	v_cndmask_b32_e64 v9, 0, 1, s[6:7]
	s_waitcnt lgkmcnt(3)
	v_cmp_gt_i32_e64 s[6:7], v4, v15
	v_addc_co_u32_e32 v3, vcc, v3, v5, vcc
	s_nop 0
	v_cndmask_b32_e64 v10, 0, 1, s[6:7]
	v_cmp_gt_i32_e64 s[6:7], v4, v14
	v_cmp_gt_i32_e32 vcc, v4, v12
	s_add_i32 s19, s19, 64
	v_cndmask_b32_e64 v11, 0, 1, s[6:7]
	s_waitcnt lgkmcnt(1)
	v_cmp_gt_i32_e64 s[6:7], v4, v18
	s_add_i32 s20, s20, -8
	s_cmp_lg_u32 s20, 0
	v_cndmask_b32_e64 v14, 0, 1, s[6:7]
	v_cmp_gt_i32_e64 s[6:7], v4, v19
	s_nop 1
	v_cndmask_b32_e64 v15, 0, 1, s[6:7]
	v_cmp_gt_i32_e64 s[6:7], v4, v8
	s_nop 1
	v_addc_co_u32_e64 v2, s[6:7], v2, v6, s[6:7]
	v_cmp_gt_i32_e64 s[6:7], v4, v13
	v_addc_co_u32_e32 v2, vcc, v2, v7, vcc
	s_nop 0
	v_addc_co_u32_e64 v3, s[6:7], v3, v9, s[6:7]
	v_cmp_gt_i32_e32 vcc, v4, v17
	v_cmp_gt_i32_e64 s[6:7], v4, v16
	s_nop 0
	v_addc_co_u32_e32 v3, vcc, v3, v10, vcc
	v_addc_co_u32_e64 v2, s[6:7], v2, v11, s[6:7]
	s_waitcnt lgkmcnt(0)
	v_cmp_gt_i32_e32 vcc, v4, v20
	v_cmp_gt_i32_e64 s[6:7], v4, v21
	s_nop 0
	v_addc_co_u32_e32 v2, vcc, v2, v14, vcc
	v_addc_co_u32_e64 v3, s[6:7], v3, v15, s[6:7]
	s_cbranch_scc1 .LBB14_115
.LBB14_116:                             ;   in Loop: Header=BB14_112 Depth=1
	s_and_b64 vcc, exec, s[4:5]
	s_cbranch_vccnz .LBB14_119
; %bb.117:                              ;   in Loop: Header=BB14_112 Depth=1
	s_lshl_b32 s6, s18, 2
	s_add_i32 s6, s6, 0
	s_mov_b32 s7, s17
.LBB14_118:                             ;   Parent Loop BB14_112 Depth=1
                                        ; =>  This Inner Loop Header: Depth=2
	v_mov_b32_e32 v5, s6
	ds_read2_b32 v[6:7], v5 offset1:1
	s_add_i32 s6, s6, 8
	s_add_i32 s7, s7, -8
	s_cmp_lg_u32 s7, 0
	s_waitcnt lgkmcnt(0)
	v_cmp_gt_i32_e32 vcc, v4, v7
	s_nop 1
	v_addc_co_u32_e32 v3, vcc, 0, v3, vcc
	v_cmp_gt_i32_e32 vcc, v4, v6
	s_nop 1
	v_addc_co_u32_e32 v2, vcc, 0, v2, vcc
	s_cbranch_scc1 .LBB14_118
.LBB14_119:                             ;   in Loop: Header=BB14_112 Depth=1
	v_add_u32_e32 v2, v2, v3
	s_mov_b32 s18, s15
	s_mov_b64 s[6:7], s[10:11]
.LBB14_120:                             ;   in Loop: Header=BB14_112 Depth=1
	s_and_b64 vcc, exec, s[6:7]
	s_cbranch_vccz .LBB14_111
; %bb.121:                              ;   in Loop: Header=BB14_112 Depth=1
	s_lshl_b32 s6, s18, 2
	s_add_i32 s6, s6, 0
.LBB14_122:                             ;   Parent Loop BB14_112 Depth=1
                                        ; =>  This Inner Loop Header: Depth=2
	v_mov_b32_e32 v3, s6
	ds_read_b32 v3, v3
	s_add_i32 s18, s18, 1
	s_add_i32 s6, s6, 4
	s_cmp_ge_i32 s18, s14
	s_waitcnt lgkmcnt(0)
	v_cmp_gt_i32_e32 vcc, v4, v3
	s_nop 1
	v_addc_co_u32_e32 v2, vcc, 0, v2, vcc
	s_cbranch_scc0 .LBB14_122
	s_branch .LBB14_111
.LBB14_123:
	s_endpgm
	.section	.rodata,"a",@progbits
	.p2align	6, 0x0
	.amdhsa_kernel _ZN9rocsparseL41csrgemm_numeric_fill_block_per_row_kernelILj1024ELj64ELj16384ELj137ELj32EiifEEvT5_PKS1_S3_NS_24const_host_device_scalarIT6_EEPKT4_S3_PKS5_S9_S3_SB_S6_S9_S3_SB_S9_S3_PS5_21rocsparse_index_base_SD_SD_SD_bbb
		.amdhsa_group_segment_fixed_size 0
		.amdhsa_private_segment_fixed_size 0
		.amdhsa_kernarg_size 156
		.amdhsa_user_sgpr_count 2
		.amdhsa_user_sgpr_dispatch_ptr 0
		.amdhsa_user_sgpr_queue_ptr 0
		.amdhsa_user_sgpr_kernarg_segment_ptr 1
		.amdhsa_user_sgpr_dispatch_id 0
		.amdhsa_user_sgpr_kernarg_preload_length 0
		.amdhsa_user_sgpr_kernarg_preload_offset 0
		.amdhsa_user_sgpr_private_segment_size 0
		.amdhsa_uses_dynamic_stack 0
		.amdhsa_enable_private_segment 0
		.amdhsa_system_sgpr_workgroup_id_x 1
		.amdhsa_system_sgpr_workgroup_id_y 0
		.amdhsa_system_sgpr_workgroup_id_z 0
		.amdhsa_system_sgpr_workgroup_info 0
		.amdhsa_system_vgpr_workitem_id 0
		.amdhsa_next_free_vgpr 23
		.amdhsa_next_free_sgpr 100
		.amdhsa_accum_offset 24
		.amdhsa_reserve_vcc 1
		.amdhsa_float_round_mode_32 0
		.amdhsa_float_round_mode_16_64 0
		.amdhsa_float_denorm_mode_32 3
		.amdhsa_float_denorm_mode_16_64 3
		.amdhsa_dx10_clamp 1
		.amdhsa_ieee_mode 1
		.amdhsa_fp16_overflow 0
		.amdhsa_tg_split 0
		.amdhsa_exception_fp_ieee_invalid_op 0
		.amdhsa_exception_fp_denorm_src 0
		.amdhsa_exception_fp_ieee_div_zero 0
		.amdhsa_exception_fp_ieee_overflow 0
		.amdhsa_exception_fp_ieee_underflow 0
		.amdhsa_exception_fp_ieee_inexact 0
		.amdhsa_exception_int_div_zero 0
	.end_amdhsa_kernel
	.section	.text._ZN9rocsparseL41csrgemm_numeric_fill_block_per_row_kernelILj1024ELj64ELj16384ELj137ELj32EiifEEvT5_PKS1_S3_NS_24const_host_device_scalarIT6_EEPKT4_S3_PKS5_S9_S3_SB_S6_S9_S3_SB_S9_S3_PS5_21rocsparse_index_base_SD_SD_SD_bbb,"axG",@progbits,_ZN9rocsparseL41csrgemm_numeric_fill_block_per_row_kernelILj1024ELj64ELj16384ELj137ELj32EiifEEvT5_PKS1_S3_NS_24const_host_device_scalarIT6_EEPKT4_S3_PKS5_S9_S3_SB_S6_S9_S3_SB_S9_S3_PS5_21rocsparse_index_base_SD_SD_SD_bbb,comdat
.Lfunc_end14:
	.size	_ZN9rocsparseL41csrgemm_numeric_fill_block_per_row_kernelILj1024ELj64ELj16384ELj137ELj32EiifEEvT5_PKS1_S3_NS_24const_host_device_scalarIT6_EEPKT4_S3_PKS5_S9_S3_SB_S6_S9_S3_SB_S9_S3_PS5_21rocsparse_index_base_SD_SD_SD_bbb, .Lfunc_end14-_ZN9rocsparseL41csrgemm_numeric_fill_block_per_row_kernelILj1024ELj64ELj16384ELj137ELj32EiifEEvT5_PKS1_S3_NS_24const_host_device_scalarIT6_EEPKT4_S3_PKS5_S9_S3_SB_S6_S9_S3_SB_S9_S3_PS5_21rocsparse_index_base_SD_SD_SD_bbb
                                        ; -- End function
	.set _ZN9rocsparseL41csrgemm_numeric_fill_block_per_row_kernelILj1024ELj64ELj16384ELj137ELj32EiifEEvT5_PKS1_S3_NS_24const_host_device_scalarIT6_EEPKT4_S3_PKS5_S9_S3_SB_S6_S9_S3_SB_S9_S3_PS5_21rocsparse_index_base_SD_SD_SD_bbb.num_vgpr, 23
	.set _ZN9rocsparseL41csrgemm_numeric_fill_block_per_row_kernelILj1024ELj64ELj16384ELj137ELj32EiifEEvT5_PKS1_S3_NS_24const_host_device_scalarIT6_EEPKT4_S3_PKS5_S9_S3_SB_S6_S9_S3_SB_S9_S3_PS5_21rocsparse_index_base_SD_SD_SD_bbb.num_agpr, 0
	.set _ZN9rocsparseL41csrgemm_numeric_fill_block_per_row_kernelILj1024ELj64ELj16384ELj137ELj32EiifEEvT5_PKS1_S3_NS_24const_host_device_scalarIT6_EEPKT4_S3_PKS5_S9_S3_SB_S6_S9_S3_SB_S9_S3_PS5_21rocsparse_index_base_SD_SD_SD_bbb.numbered_sgpr, 100
	.set _ZN9rocsparseL41csrgemm_numeric_fill_block_per_row_kernelILj1024ELj64ELj16384ELj137ELj32EiifEEvT5_PKS1_S3_NS_24const_host_device_scalarIT6_EEPKT4_S3_PKS5_S9_S3_SB_S6_S9_S3_SB_S9_S3_PS5_21rocsparse_index_base_SD_SD_SD_bbb.num_named_barrier, 0
	.set _ZN9rocsparseL41csrgemm_numeric_fill_block_per_row_kernelILj1024ELj64ELj16384ELj137ELj32EiifEEvT5_PKS1_S3_NS_24const_host_device_scalarIT6_EEPKT4_S3_PKS5_S9_S3_SB_S6_S9_S3_SB_S9_S3_PS5_21rocsparse_index_base_SD_SD_SD_bbb.private_seg_size, 0
	.set _ZN9rocsparseL41csrgemm_numeric_fill_block_per_row_kernelILj1024ELj64ELj16384ELj137ELj32EiifEEvT5_PKS1_S3_NS_24const_host_device_scalarIT6_EEPKT4_S3_PKS5_S9_S3_SB_S6_S9_S3_SB_S9_S3_PS5_21rocsparse_index_base_SD_SD_SD_bbb.uses_vcc, 1
	.set _ZN9rocsparseL41csrgemm_numeric_fill_block_per_row_kernelILj1024ELj64ELj16384ELj137ELj32EiifEEvT5_PKS1_S3_NS_24const_host_device_scalarIT6_EEPKT4_S3_PKS5_S9_S3_SB_S6_S9_S3_SB_S9_S3_PS5_21rocsparse_index_base_SD_SD_SD_bbb.uses_flat_scratch, 0
	.set _ZN9rocsparseL41csrgemm_numeric_fill_block_per_row_kernelILj1024ELj64ELj16384ELj137ELj32EiifEEvT5_PKS1_S3_NS_24const_host_device_scalarIT6_EEPKT4_S3_PKS5_S9_S3_SB_S6_S9_S3_SB_S9_S3_PS5_21rocsparse_index_base_SD_SD_SD_bbb.has_dyn_sized_stack, 0
	.set _ZN9rocsparseL41csrgemm_numeric_fill_block_per_row_kernelILj1024ELj64ELj16384ELj137ELj32EiifEEvT5_PKS1_S3_NS_24const_host_device_scalarIT6_EEPKT4_S3_PKS5_S9_S3_SB_S6_S9_S3_SB_S9_S3_PS5_21rocsparse_index_base_SD_SD_SD_bbb.has_recursion, 0
	.set _ZN9rocsparseL41csrgemm_numeric_fill_block_per_row_kernelILj1024ELj64ELj16384ELj137ELj32EiifEEvT5_PKS1_S3_NS_24const_host_device_scalarIT6_EEPKT4_S3_PKS5_S9_S3_SB_S6_S9_S3_SB_S9_S3_PS5_21rocsparse_index_base_SD_SD_SD_bbb.has_indirect_call, 0
	.section	.AMDGPU.csdata,"",@progbits
; Kernel info:
; codeLenInByte = 4660
; TotalNumSgprs: 106
; NumVgprs: 23
; NumAgprs: 0
; TotalNumVgprs: 23
; ScratchSize: 0
; MemoryBound: 0
; FloatMode: 240
; IeeeMode: 1
; LDSByteSize: 0 bytes/workgroup (compile time only)
; SGPRBlocks: 13
; VGPRBlocks: 2
; NumSGPRsForWavesPerEU: 106
; NumVGPRsForWavesPerEU: 23
; AccumOffset: 24
; Occupancy: 7
; WaveLimiterHint : 1
; COMPUTE_PGM_RSRC2:SCRATCH_EN: 0
; COMPUTE_PGM_RSRC2:USER_SGPR: 2
; COMPUTE_PGM_RSRC2:TRAP_HANDLER: 0
; COMPUTE_PGM_RSRC2:TGID_X_EN: 1
; COMPUTE_PGM_RSRC2:TGID_Y_EN: 0
; COMPUTE_PGM_RSRC2:TGID_Z_EN: 0
; COMPUTE_PGM_RSRC2:TIDIG_COMP_CNT: 0
; COMPUTE_PGM_RSRC3_GFX90A:ACCUM_OFFSET: 5
; COMPUTE_PGM_RSRC3_GFX90A:TG_SPLIT: 0
	.section	.text._ZN9rocsparseL41csrgemm_numeric_fill_block_per_row_kernelILj1024ELj64ELj16384ELj137ELj64EiifEEvT5_PKS1_S3_NS_24const_host_device_scalarIT6_EEPKT4_S3_PKS5_S9_S3_SB_S6_S9_S3_SB_S9_S3_PS5_21rocsparse_index_base_SD_SD_SD_bbb,"axG",@progbits,_ZN9rocsparseL41csrgemm_numeric_fill_block_per_row_kernelILj1024ELj64ELj16384ELj137ELj64EiifEEvT5_PKS1_S3_NS_24const_host_device_scalarIT6_EEPKT4_S3_PKS5_S9_S3_SB_S6_S9_S3_SB_S9_S3_PS5_21rocsparse_index_base_SD_SD_SD_bbb,comdat
	.globl	_ZN9rocsparseL41csrgemm_numeric_fill_block_per_row_kernelILj1024ELj64ELj16384ELj137ELj64EiifEEvT5_PKS1_S3_NS_24const_host_device_scalarIT6_EEPKT4_S3_PKS5_S9_S3_SB_S6_S9_S3_SB_S9_S3_PS5_21rocsparse_index_base_SD_SD_SD_bbb ; -- Begin function _ZN9rocsparseL41csrgemm_numeric_fill_block_per_row_kernelILj1024ELj64ELj16384ELj137ELj64EiifEEvT5_PKS1_S3_NS_24const_host_device_scalarIT6_EEPKT4_S3_PKS5_S9_S3_SB_S6_S9_S3_SB_S9_S3_PS5_21rocsparse_index_base_SD_SD_SD_bbb
	.p2align	8
	.type	_ZN9rocsparseL41csrgemm_numeric_fill_block_per_row_kernelILj1024ELj64ELj16384ELj137ELj64EiifEEvT5_PKS1_S3_NS_24const_host_device_scalarIT6_EEPKT4_S3_PKS5_S9_S3_SB_S6_S9_S3_SB_S9_S3_PS5_21rocsparse_index_base_SD_SD_SD_bbb,@function
_ZN9rocsparseL41csrgemm_numeric_fill_block_per_row_kernelILj1024ELj64ELj16384ELj137ELj64EiifEEvT5_PKS1_S3_NS_24const_host_device_scalarIT6_EEPKT4_S3_PKS5_S9_S3_SB_S6_S9_S3_SB_S9_S3_PS5_21rocsparse_index_base_SD_SD_SD_bbb: ; @_ZN9rocsparseL41csrgemm_numeric_fill_block_per_row_kernelILj1024ELj64ELj16384ELj137ELj64EiifEEvT5_PKS1_S3_NS_24const_host_device_scalarIT6_EEPKT4_S3_PKS5_S9_S3_SB_S6_S9_S3_SB_S9_S3_PS5_21rocsparse_index_base_SD_SD_SD_bbb
; %bb.0:
	s_load_dword s3, s[0:1], 0x98
	s_load_dwordx4 s[36:39], s[0:1], 0x88
	s_load_dwordx2 s[4:5], s[0:1], 0x18
	s_load_dwordx2 s[16:17], s[0:1], 0x50
	s_waitcnt lgkmcnt(0)
	s_bitcmp1_b32 s3, 0
	s_cselect_b64 s[6:7], -1, 0
	s_bitcmp1_b32 s3, 16
	s_cselect_b64 s[18:19], -1, 0
	s_xor_b64 s[8:9], s[6:7], -1
	s_or_b64 s[8:9], s[18:19], s[8:9]
	s_and_b64 vcc, exec, s[8:9]
	s_cbranch_vccnz .LBB15_2
; %bb.1:
	s_load_dword s4, s[4:5], 0x0
	s_waitcnt lgkmcnt(0)
	v_mov_b32_e32 v9, s4
	s_branch .LBB15_3
.LBB15_2:
	v_mov_b32_e32 v1, s4
	v_cndmask_b32_e64 v9, 0, v1, s[6:7]
.LBB15_3:
	s_load_dwordx2 s[34:35], s[0:1], 0x80
	s_load_dwordx2 s[40:41], s[0:1], 0x70
	;; [unrolled: 1-line block ×3, first 2 shown]
	s_load_dwordx4 s[24:27], s[0:1], 0x8
	s_load_dwordx8 s[8:15], s[0:1], 0x20
	s_bitcmp1_b32 s3, 8
	s_cselect_b64 s[4:5], -1, 0
	s_xor_b64 s[20:21], s[4:5], -1
	s_or_b64 s[18:19], s[18:19], s[20:21]
	s_and_b64 vcc, exec, s[18:19]
	s_cbranch_vccnz .LBB15_5
; %bb.4:
	s_load_dword s3, s[16:17], 0x0
	s_waitcnt lgkmcnt(0)
	v_mov_b32_e32 v7, s3
	s_branch .LBB15_6
.LBB15_5:
	v_mov_b32_e32 v1, s16
	v_cndmask_b32_e64 v7, 0, v1, s[4:5]
.LBB15_6:
	s_load_dwordx4 s[20:23], s[0:1], 0x40
	s_load_dword s33, s[0:1], 0x0
	s_load_dwordx4 s[16:19], s[0:1], 0x60
	v_or_b32_e32 v1, 0xfffffc00, v0
	v_lshl_add_u32 v6, v0, 2, 0
	s_mov_b64 s[0:1], 0
	s_waitcnt lgkmcnt(0)
	v_mov_b32_e32 v5, s33
	v_mov_b32_e32 v2, 0
	s_movk_i32 s3, 0x3bff
	v_mov_b32_e32 v3, v6
	v_mov_b32_e32 v4, v1
.LBB15_7:                               ; =>This Inner Loop Header: Depth=1
	v_add_u32_e32 v4, 0x400, v4
	v_cmp_lt_u32_e32 vcc, s3, v4
	ds_write_b32 v3, v5
	v_add_u32_e32 v8, 0x10000, v3
	v_add_u32_e32 v3, 0x1000, v3
	s_or_b64 s[0:1], vcc, s[0:1]
	ds_write_b32 v8, v2
	s_andn2_b64 exec, exec, s[0:1]
	s_cbranch_execnz .LBB15_7
; %bb.8:
	s_or_b64 exec, exec, s[0:1]
	s_waitcnt lgkmcnt(0)
	s_barrier
	s_load_dword s0, s[24:25], 0x0
	s_mov_b32 s1, 0
	v_lshrrev_b32_e32 v8, 6, v0
	s_waitcnt lgkmcnt(0)
	s_add_i32 s0, s0, s2
	s_lshl_b64 s[0:1], s[0:1], 2
	s_add_u32 s0, s26, s0
	s_addc_u32 s1, s27, s1
	s_load_dword s42, s[0:1], 0x0
	s_and_b64 vcc, exec, s[6:7]
	s_cbranch_vccz .LBB15_26
; %bb.9:
	s_waitcnt lgkmcnt(0)
	s_ashr_i32 s43, s42, 31
	s_lshl_b64 s[0:1], s[42:43], 2
	s_add_u32 s0, s8, s0
	s_addc_u32 s1, s9, s1
	s_load_dwordx2 s[2:3], s[0:1], 0x0
	v_subrev_u32_e32 v2, s36, v8
	s_waitcnt lgkmcnt(0)
	s_sub_i32 s43, s3, s36
	v_add_u32_e32 v2, s2, v2
	v_cmp_gt_i32_e32 vcc, s43, v2
	s_and_saveexec_b64 s[0:1], vcc
	s_cbranch_execz .LBB15_25
; %bb.10:
	v_and_b32_e32 v3, 63, v0
	v_subrev_u32_e32 v10, s37, v3
	s_mov_b64 s[2:3], 0
	s_movk_i32 s48, 0x89
	s_branch .LBB15_12
.LBB15_11:                              ;   in Loop: Header=BB15_12 Depth=1
	s_or_b64 exec, exec, s[6:7]
	v_add_u32_e32 v2, 16, v2
	v_cmp_le_i32_e32 vcc, s43, v2
	s_or_b64 s[2:3], vcc, s[2:3]
	s_andn2_b64 exec, exec, s[2:3]
	s_cbranch_execz .LBB15_25
.LBB15_12:                              ; =>This Loop Header: Depth=1
                                        ;     Child Loop BB15_16 Depth 2
                                        ;       Child Loop BB15_19 Depth 3
	v_ashrrev_i32_e32 v3, 31, v2
	v_lshl_add_u64 v[4:5], v[2:3], 2, s[10:11]
	global_load_dword v4, v[4:5], off
	s_waitcnt vmcnt(0)
	v_subrev_u32_e32 v4, s36, v4
	v_ashrrev_i32_e32 v5, 31, v4
	v_lshl_add_u64 v[4:5], v[4:5], 2, s[14:15]
	global_load_dwordx2 v[4:5], v[4:5], off
	s_waitcnt vmcnt(0)
	v_subrev_u32_e32 v11, s37, v5
	v_add_u32_e32 v4, v4, v10
	v_cmp_lt_i32_e32 vcc, v4, v11
	s_and_saveexec_b64 s[6:7], vcc
	s_cbranch_execz .LBB15_11
; %bb.13:                               ;   in Loop: Header=BB15_12 Depth=1
	v_lshl_add_u64 v[12:13], v[2:3], 2, s[12:13]
	global_load_dword v3, v[12:13], off
	s_mov_b64 s[8:9], 0
	s_waitcnt vmcnt(0)
	v_mul_f32_e32 v3, v9, v3
	s_branch .LBB15_16
.LBB15_14:                              ;   in Loop: Header=BB15_16 Depth=2
	s_or_b64 exec, exec, s[26:27]
.LBB15_15:                              ;   in Loop: Header=BB15_16 Depth=2
	s_or_b64 exec, exec, s[24:25]
	v_lshl_add_u32 v12, v12, 2, 0
	s_waitcnt vmcnt(0)
	v_mul_f32_e32 v5, v3, v5
	v_add_u32_e32 v12, 0x10000, v12
	ds_add_f32 v12, v5
	v_add_u32_e32 v4, 64, v4
	v_cmp_ge_i32_e32 vcc, v4, v11
	s_or_b64 s[8:9], vcc, s[8:9]
	s_andn2_b64 exec, exec, s[8:9]
	s_cbranch_execz .LBB15_11
.LBB15_16:                              ;   Parent Loop BB15_12 Depth=1
                                        ; =>  This Loop Header: Depth=2
                                        ;       Child Loop BB15_19 Depth 3
	v_ashrrev_i32_e32 v5, 31, v4
	v_lshlrev_b64 v[12:13], 2, v[4:5]
	v_lshl_add_u64 v[14:15], s[20:21], 0, v[12:13]
	global_load_dword v14, v[14:15], off
	v_lshl_add_u64 v[12:13], s[22:23], 0, v[12:13]
	global_load_dword v5, v[12:13], off
	s_waitcnt vmcnt(1)
	v_subrev_u32_e32 v13, s37, v14
	v_mul_lo_u32 v12, v13, s48
	v_and_b32_e32 v12, 0x3fff, v12
	v_lshl_add_u32 v14, v12, 2, 0
	ds_read_b32 v15, v14
	s_waitcnt lgkmcnt(0)
	v_cmp_ne_u32_e32 vcc, v15, v13
	s_and_saveexec_b64 s[24:25], vcc
	s_cbranch_execz .LBB15_15
; %bb.17:                               ;   in Loop: Header=BB15_16 Depth=2
	s_mov_b64 s[26:27], 0
	s_branch .LBB15_19
.LBB15_18:                              ;   in Loop: Header=BB15_19 Depth=3
	s_or_b64 exec, exec, s[46:47]
	s_and_b64 s[30:31], exec, s[44:45]
	s_or_b64 s[26:27], s[30:31], s[26:27]
	s_andn2_b64 exec, exec, s[26:27]
	s_cbranch_execz .LBB15_14
.LBB15_19:                              ;   Parent Loop BB15_12 Depth=1
                                        ;     Parent Loop BB15_16 Depth=2
                                        ; =>    This Inner Loop Header: Depth=3
	v_cmp_ne_u32_e32 vcc, s33, v15
	s_mov_b64 s[30:31], 0
	s_and_saveexec_b64 s[44:45], vcc
	s_xor_b64 s[44:45], exec, s[44:45]
	s_cbranch_execz .LBB15_21
; %bb.20:                               ;   in Loop: Header=BB15_19 Depth=3
	v_add_u32_e32 v12, 1, v12
	s_mov_b64 s[30:31], exec
	v_and_b32_e32 v12, 0x3fff, v12
                                        ; implicit-def: $vgpr14
	s_andn2_saveexec_b64 s[44:45], s[44:45]
	s_cbranch_execz .LBB15_23
	s_branch .LBB15_22
.LBB15_21:                              ;   in Loop: Header=BB15_19 Depth=3
	s_andn2_saveexec_b64 s[44:45], s[44:45]
	s_cbranch_execz .LBB15_23
.LBB15_22:                              ;   in Loop: Header=BB15_19 Depth=3
	v_mov_b32_e32 v15, s33
	ds_cmpst_rtn_b32 v14, v14, v15, v13
	s_andn2_b64 s[30:31], s[30:31], exec
	s_waitcnt lgkmcnt(0)
	v_cmp_ne_u32_e32 vcc, s33, v14
	s_and_b64 s[46:47], vcc, exec
	s_or_b64 s[30:31], s[30:31], s[46:47]
.LBB15_23:                              ;   in Loop: Header=BB15_19 Depth=3
	s_or_b64 exec, exec, s[44:45]
	s_mov_b64 s[44:45], -1
                                        ; implicit-def: $vgpr14
                                        ; implicit-def: $vgpr15
	s_and_saveexec_b64 s[46:47], s[30:31]
	s_cbranch_execz .LBB15_18
; %bb.24:                               ;   in Loop: Header=BB15_19 Depth=3
	v_lshl_add_u32 v14, v12, 2, 0
	ds_read_b32 v15, v14
	s_waitcnt lgkmcnt(0)
	v_cmp_eq_u32_e32 vcc, v15, v13
	s_orn2_b64 s[44:45], vcc, exec
	s_branch .LBB15_18
.LBB15_25:
	s_or_b64 exec, exec, s[0:1]
.LBB15_26:
	s_andn2_b64 vcc, exec, s[4:5]
	s_cbranch_vccnz .LBB15_41
; %bb.27:
	s_waitcnt lgkmcnt(0)
	s_ashr_i32 s43, s42, 31
	s_lshl_b64 s[0:1], s[42:43], 2
	s_add_u32 s0, s28, s0
	s_addc_u32 s1, s29, s1
	s_load_dwordx2 s[2:3], s[0:1], 0x0
	v_subrev_u32_e32 v2, s39, v0
	s_waitcnt lgkmcnt(0)
	s_sub_i32 s14, s3, s39
	v_add_u32_e32 v2, s2, v2
	v_cmp_gt_i32_e32 vcc, s14, v2
	s_and_saveexec_b64 s[0:1], vcc
	s_cbranch_execz .LBB15_40
; %bb.28:
	s_mov_b64 s[2:3], 0
	s_movk_i32 s15, 0x89
	s_branch .LBB15_31
.LBB15_29:                              ;   in Loop: Header=BB15_31 Depth=1
	s_or_b64 exec, exec, s[6:7]
.LBB15_30:                              ;   in Loop: Header=BB15_31 Depth=1
	s_or_b64 exec, exec, s[4:5]
	v_lshl_add_u32 v4, v4, 2, 0
	s_waitcnt vmcnt(0)
	v_mul_f32_e32 v3, v7, v3
	v_add_u32_e32 v4, 0x10000, v4
	ds_add_f32 v4, v3
	v_add_u32_e32 v2, 0x400, v2
	v_cmp_le_i32_e32 vcc, s14, v2
	s_or_b64 s[2:3], vcc, s[2:3]
	s_andn2_b64 exec, exec, s[2:3]
	s_cbranch_execz .LBB15_40
.LBB15_31:                              ; =>This Loop Header: Depth=1
                                        ;     Child Loop BB15_34 Depth 2
	v_ashrrev_i32_e32 v3, 31, v2
	v_lshlrev_b64 v[4:5], 2, v[2:3]
	v_lshl_add_u64 v[10:11], s[16:17], 0, v[4:5]
	global_load_dword v9, v[10:11], off
	v_lshl_add_u64 v[4:5], s[18:19], 0, v[4:5]
	global_load_dword v3, v[4:5], off
	s_waitcnt vmcnt(1)
	v_subrev_u32_e32 v5, s39, v9
	v_mul_lo_u32 v4, v5, s15
	v_and_b32_e32 v4, 0x3fff, v4
	v_lshl_add_u32 v9, v4, 2, 0
	ds_read_b32 v10, v9
	s_waitcnt lgkmcnt(0)
	v_cmp_ne_u32_e32 vcc, v10, v5
	s_and_saveexec_b64 s[4:5], vcc
	s_cbranch_execz .LBB15_30
; %bb.32:                               ;   in Loop: Header=BB15_31 Depth=1
	s_mov_b64 s[6:7], 0
	s_branch .LBB15_34
.LBB15_33:                              ;   in Loop: Header=BB15_34 Depth=2
	s_or_b64 exec, exec, s[12:13]
	s_and_b64 s[8:9], exec, s[10:11]
	s_or_b64 s[6:7], s[8:9], s[6:7]
	s_andn2_b64 exec, exec, s[6:7]
	s_cbranch_execz .LBB15_29
.LBB15_34:                              ;   Parent Loop BB15_31 Depth=1
                                        ; =>  This Inner Loop Header: Depth=2
	v_cmp_ne_u32_e32 vcc, s33, v10
	s_mov_b64 s[8:9], 0
	s_and_saveexec_b64 s[10:11], vcc
	s_xor_b64 s[10:11], exec, s[10:11]
	s_cbranch_execz .LBB15_36
; %bb.35:                               ;   in Loop: Header=BB15_34 Depth=2
	v_add_u32_e32 v4, 1, v4
	s_mov_b64 s[8:9], exec
	v_and_b32_e32 v4, 0x3fff, v4
                                        ; implicit-def: $vgpr9
	s_andn2_saveexec_b64 s[10:11], s[10:11]
	s_cbranch_execz .LBB15_38
	s_branch .LBB15_37
.LBB15_36:                              ;   in Loop: Header=BB15_34 Depth=2
	s_andn2_saveexec_b64 s[10:11], s[10:11]
	s_cbranch_execz .LBB15_38
.LBB15_37:                              ;   in Loop: Header=BB15_34 Depth=2
	v_mov_b32_e32 v10, s33
	ds_cmpst_rtn_b32 v9, v9, v10, v5
	s_andn2_b64 s[8:9], s[8:9], exec
	s_waitcnt lgkmcnt(0)
	v_cmp_ne_u32_e32 vcc, s33, v9
	s_and_b64 s[12:13], vcc, exec
	s_or_b64 s[8:9], s[8:9], s[12:13]
.LBB15_38:                              ;   in Loop: Header=BB15_34 Depth=2
	s_or_b64 exec, exec, s[10:11]
	s_mov_b64 s[10:11], -1
                                        ; implicit-def: $vgpr9
                                        ; implicit-def: $vgpr10
	s_and_saveexec_b64 s[12:13], s[8:9]
	s_cbranch_execz .LBB15_33
; %bb.39:                               ;   in Loop: Header=BB15_34 Depth=2
	v_lshl_add_u32 v9, v4, 2, 0
	ds_read_b32 v10, v9
	s_waitcnt lgkmcnt(0)
	v_cmp_eq_u32_e32 vcc, v10, v5
	s_orn2_b64 s[10:11], vcc, exec
	s_branch .LBB15_33
.LBB15_40:
	s_or_b64 exec, exec, s[0:1]
.LBB15_41:
	v_mbcnt_lo_u32_b32 v2, -1, 0
	v_mbcnt_hi_u32_b32 v2, -1, v2
	v_sub_u32_e32 v2, 63, v2
	s_add_i32 s39, 0, 0x20000
	s_movk_i32 s0, 0x3ff
	s_movk_i32 s2, 0x7f
	;; [unrolled: 1-line block ×15, first 2 shown]
	s_add_i32 s59, 0, 0x2003c
	v_lshrrev_b64 v[2:3], v2, -1
	v_lshl_add_u32 v4, v8, 2, s39
	v_cmp_eq_u32_e32 vcc, s0, v0
	v_cmp_lt_u32_e64 s[0:1], 63, v0
	v_cmp_lt_u32_e64 s[2:3], s2, v0
	;; [unrolled: 1-line block ×15, first 2 shown]
	s_mov_b64 s[36:37], 0
	v_mov_b32_e32 v5, 0
	s_add_i32 s43, 0, 0x20004
	s_add_i32 s46, 0, 0x20008
	;; [unrolled: 1-line block ×14, first 2 shown]
	v_mov_b32_e32 v7, s59
	s_movk_i32 s60, 0x3bff
	s_waitcnt lgkmcnt(0)
	s_barrier
	s_branch .LBB15_43
.LBB15_42:                              ;   in Loop: Header=BB15_43 Depth=1
	s_or_b64 exec, exec, s[30:31]
	s_waitcnt lgkmcnt(0)
	s_barrier
	ds_read_b32 v8, v7
	v_add_u32_e32 v1, 0x400, v1
	v_cmp_lt_u32_e64 s[30:31], s60, v1
	s_or_b64 s[36:37], s[30:31], s[36:37]
	v_add_u32_e32 v6, 0x1000, v6
	s_waitcnt lgkmcnt(0)
	v_add_u32_e32 v5, v8, v5
	s_andn2_b64 exec, exec, s[36:37]
	s_cbranch_execz .LBB15_77
.LBB15_43:                              ; =>This Inner Loop Header: Depth=1
	ds_read_b32 v9, v6
	v_add_u32_e32 v8, 0x10000, v6
	ds_read_b32 v10, v8
	s_waitcnt lgkmcnt(0)
	s_barrier
	v_cmp_gt_i32_e64 s[30:31], s33, v9
	s_bcnt1_i32_b64 s44, s[30:31]
	s_nop 0
	v_and_b32_e32 v11, s30, v2
	v_and_b32_e32 v8, s31, v3
	v_bcnt_u32_b32 v11, v11, 0
	v_bcnt_u32_b32 v8, v8, v11
	v_mov_b32_e32 v11, s44
	ds_write_b32 v4, v11
	s_waitcnt lgkmcnt(0)
	s_barrier
	s_and_saveexec_b64 s[44:45], s[0:1]
	s_cbranch_execz .LBB15_60
; %bb.44:                               ;   in Loop: Header=BB15_43 Depth=1
	v_mov_b32_e32 v11, s39
	ds_read_b32 v11, v11
	s_waitcnt lgkmcnt(0)
	v_add_u32_e32 v8, v11, v8
	s_or_b64 exec, exec, s[44:45]
	s_and_saveexec_b64 s[44:45], s[2:3]
	s_cbranch_execnz .LBB15_61
.LBB15_45:                              ;   in Loop: Header=BB15_43 Depth=1
	s_or_b64 exec, exec, s[44:45]
	s_and_saveexec_b64 s[44:45], s[4:5]
	s_cbranch_execz .LBB15_62
.LBB15_46:                              ;   in Loop: Header=BB15_43 Depth=1
	v_mov_b32_e32 v11, s46
	ds_read_b32 v11, v11
	s_waitcnt lgkmcnt(0)
	v_add_u32_e32 v8, v11, v8
	s_or_b64 exec, exec, s[44:45]
	s_and_saveexec_b64 s[44:45], s[6:7]
	s_cbranch_execnz .LBB15_63
.LBB15_47:                              ;   in Loop: Header=BB15_43 Depth=1
	s_or_b64 exec, exec, s[44:45]
	s_and_saveexec_b64 s[44:45], s[8:9]
	s_cbranch_execz .LBB15_64
.LBB15_48:                              ;   in Loop: Header=BB15_43 Depth=1
	v_mov_b32_e32 v11, s48
	ds_read_b32 v11, v11
	s_waitcnt lgkmcnt(0)
	v_add_u32_e32 v8, v11, v8
	s_or_b64 exec, exec, s[44:45]
	s_and_saveexec_b64 s[44:45], s[10:11]
	s_cbranch_execnz .LBB15_65
.LBB15_49:                              ;   in Loop: Header=BB15_43 Depth=1
	s_or_b64 exec, exec, s[44:45]
	s_and_saveexec_b64 s[44:45], s[12:13]
	s_cbranch_execz .LBB15_66
.LBB15_50:                              ;   in Loop: Header=BB15_43 Depth=1
	v_mov_b32_e32 v11, s50
	ds_read_b32 v11, v11
	s_waitcnt lgkmcnt(0)
	v_add_u32_e32 v8, v11, v8
	s_or_b64 exec, exec, s[44:45]
	s_and_saveexec_b64 s[44:45], s[14:15]
	s_cbranch_execnz .LBB15_67
.LBB15_51:                              ;   in Loop: Header=BB15_43 Depth=1
	s_or_b64 exec, exec, s[44:45]
	s_and_saveexec_b64 s[44:45], s[16:17]
	s_cbranch_execz .LBB15_68
.LBB15_52:                              ;   in Loop: Header=BB15_43 Depth=1
	v_mov_b32_e32 v11, s52
	ds_read_b32 v11, v11
	s_waitcnt lgkmcnt(0)
	v_add_u32_e32 v8, v11, v8
	s_or_b64 exec, exec, s[44:45]
	s_and_saveexec_b64 s[44:45], s[18:19]
	s_cbranch_execnz .LBB15_69
.LBB15_53:                              ;   in Loop: Header=BB15_43 Depth=1
	s_or_b64 exec, exec, s[44:45]
	s_and_saveexec_b64 s[44:45], s[20:21]
	s_cbranch_execz .LBB15_70
.LBB15_54:                              ;   in Loop: Header=BB15_43 Depth=1
	v_mov_b32_e32 v11, s54
	ds_read_b32 v11, v11
	s_waitcnt lgkmcnt(0)
	v_add_u32_e32 v8, v11, v8
	s_or_b64 exec, exec, s[44:45]
	s_and_saveexec_b64 s[44:45], s[22:23]
	s_cbranch_execnz .LBB15_71
.LBB15_55:                              ;   in Loop: Header=BB15_43 Depth=1
	s_or_b64 exec, exec, s[44:45]
	s_and_saveexec_b64 s[44:45], s[24:25]
	s_cbranch_execz .LBB15_72
.LBB15_56:                              ;   in Loop: Header=BB15_43 Depth=1
	v_mov_b32_e32 v11, s56
	ds_read_b32 v11, v11
	s_waitcnt lgkmcnt(0)
	v_add_u32_e32 v8, v11, v8
	s_or_b64 exec, exec, s[44:45]
	s_and_saveexec_b64 s[44:45], s[26:27]
	s_cbranch_execnz .LBB15_73
.LBB15_57:                              ;   in Loop: Header=BB15_43 Depth=1
	s_or_b64 exec, exec, s[44:45]
	s_and_saveexec_b64 s[44:45], s[28:29]
	s_cbranch_execz .LBB15_74
.LBB15_58:                              ;   in Loop: Header=BB15_43 Depth=1
	v_mov_b32_e32 v11, s58
	ds_read_b32 v11, v11
	s_waitcnt lgkmcnt(0)
	v_add_u32_e32 v8, v11, v8
	s_or_b64 exec, exec, s[44:45]
	s_and_saveexec_b64 s[44:45], s[30:31]
	s_cbranch_execnz .LBB15_75
.LBB15_59:                              ;   in Loop: Header=BB15_43 Depth=1
	s_or_b64 exec, exec, s[44:45]
	s_and_saveexec_b64 s[30:31], vcc
	s_cbranch_execz .LBB15_42
	s_branch .LBB15_76
.LBB15_60:                              ;   in Loop: Header=BB15_43 Depth=1
	s_or_b64 exec, exec, s[44:45]
	s_and_saveexec_b64 s[44:45], s[2:3]
	s_cbranch_execz .LBB15_45
.LBB15_61:                              ;   in Loop: Header=BB15_43 Depth=1
	v_mov_b32_e32 v11, s43
	ds_read_b32 v11, v11
	s_waitcnt lgkmcnt(0)
	v_add_u32_e32 v8, v11, v8
	s_or_b64 exec, exec, s[44:45]
	s_and_saveexec_b64 s[44:45], s[4:5]
	s_cbranch_execnz .LBB15_46
.LBB15_62:                              ;   in Loop: Header=BB15_43 Depth=1
	s_or_b64 exec, exec, s[44:45]
	s_and_saveexec_b64 s[44:45], s[6:7]
	s_cbranch_execz .LBB15_47
.LBB15_63:                              ;   in Loop: Header=BB15_43 Depth=1
	v_mov_b32_e32 v11, s47
	ds_read_b32 v11, v11
	s_waitcnt lgkmcnt(0)
	v_add_u32_e32 v8, v11, v8
	s_or_b64 exec, exec, s[44:45]
	s_and_saveexec_b64 s[44:45], s[8:9]
	s_cbranch_execnz .LBB15_48
.LBB15_64:                              ;   in Loop: Header=BB15_43 Depth=1
	s_or_b64 exec, exec, s[44:45]
	s_and_saveexec_b64 s[44:45], s[10:11]
	s_cbranch_execz .LBB15_49
.LBB15_65:                              ;   in Loop: Header=BB15_43 Depth=1
	v_mov_b32_e32 v11, s49
	ds_read_b32 v11, v11
	s_waitcnt lgkmcnt(0)
	v_add_u32_e32 v8, v11, v8
	s_or_b64 exec, exec, s[44:45]
	s_and_saveexec_b64 s[44:45], s[12:13]
	s_cbranch_execnz .LBB15_50
.LBB15_66:                              ;   in Loop: Header=BB15_43 Depth=1
	s_or_b64 exec, exec, s[44:45]
	s_and_saveexec_b64 s[44:45], s[14:15]
	s_cbranch_execz .LBB15_51
.LBB15_67:                              ;   in Loop: Header=BB15_43 Depth=1
	v_mov_b32_e32 v11, s51
	ds_read_b32 v11, v11
	s_waitcnt lgkmcnt(0)
	v_add_u32_e32 v8, v11, v8
	s_or_b64 exec, exec, s[44:45]
	s_and_saveexec_b64 s[44:45], s[16:17]
	s_cbranch_execnz .LBB15_52
.LBB15_68:                              ;   in Loop: Header=BB15_43 Depth=1
	s_or_b64 exec, exec, s[44:45]
	s_and_saveexec_b64 s[44:45], s[18:19]
	s_cbranch_execz .LBB15_53
.LBB15_69:                              ;   in Loop: Header=BB15_43 Depth=1
	v_mov_b32_e32 v11, s53
	ds_read_b32 v11, v11
	s_waitcnt lgkmcnt(0)
	v_add_u32_e32 v8, v11, v8
	s_or_b64 exec, exec, s[44:45]
	s_and_saveexec_b64 s[44:45], s[20:21]
	s_cbranch_execnz .LBB15_54
.LBB15_70:                              ;   in Loop: Header=BB15_43 Depth=1
	s_or_b64 exec, exec, s[44:45]
	s_and_saveexec_b64 s[44:45], s[22:23]
	s_cbranch_execz .LBB15_55
.LBB15_71:                              ;   in Loop: Header=BB15_43 Depth=1
	v_mov_b32_e32 v11, s55
	ds_read_b32 v11, v11
	s_waitcnt lgkmcnt(0)
	v_add_u32_e32 v8, v11, v8
	s_or_b64 exec, exec, s[44:45]
	s_and_saveexec_b64 s[44:45], s[24:25]
	s_cbranch_execnz .LBB15_56
.LBB15_72:                              ;   in Loop: Header=BB15_43 Depth=1
	s_or_b64 exec, exec, s[44:45]
	s_and_saveexec_b64 s[44:45], s[26:27]
	s_cbranch_execz .LBB15_57
.LBB15_73:                              ;   in Loop: Header=BB15_43 Depth=1
	v_mov_b32_e32 v11, s57
	ds_read_b32 v11, v11
	s_waitcnt lgkmcnt(0)
	v_add_u32_e32 v8, v11, v8
	s_or_b64 exec, exec, s[44:45]
	s_and_saveexec_b64 s[44:45], s[28:29]
	s_cbranch_execnz .LBB15_58
.LBB15_74:                              ;   in Loop: Header=BB15_43 Depth=1
	s_or_b64 exec, exec, s[44:45]
	s_and_saveexec_b64 s[44:45], s[30:31]
	s_cbranch_execz .LBB15_59
.LBB15_75:                              ;   in Loop: Header=BB15_43 Depth=1
	v_add3_u32 v11, v5, -1, v8
	v_lshl_add_u32 v11, v11, 2, 0
	v_add_u32_e32 v12, v5, v8
	v_lshl_add_u32 v12, v12, 2, 0
	ds_write_b32 v11, v9
	ds_write_b32 v12, v10 offset:65532
	s_or_b64 exec, exec, s[44:45]
	s_and_saveexec_b64 s[30:31], vcc
	s_cbranch_execz .LBB15_42
.LBB15_76:                              ;   in Loop: Header=BB15_43 Depth=1
	v_mov_b32_e32 v9, s59
	ds_write_b32 v9, v8
	s_branch .LBB15_42
.LBB15_77:
	s_or_b64 exec, exec, s[36:37]
	s_ashr_i32 s43, s42, 31
	s_lshl_b64 s[0:1], s[42:43], 2
	s_add_u32 s2, s40, s0
	s_addc_u32 s3, s41, s1
	s_load_dwordx2 s[0:1], s[2:3], 0x0
	s_waitcnt lgkmcnt(0)
	s_sub_i32 s14, s1, s0
	v_cmp_gt_i32_e32 vcc, s14, v0
	s_and_saveexec_b64 s[2:3], vcc
	s_cbranch_execz .LBB15_91
; %bb.78:
	s_sub_i32 s8, s0, s38
	v_sub_co_u32_e64 v1, s[0:1], s14, 2
	s_nop 0
	v_readfirstlane_b32 s2, v1
	s_lshr_b32 s2, s2, 1
	s_add_i32 s2, s2, 1
	s_xor_b64 s[0:1], s[0:1], -1
	s_and_b32 s15, s14, -2
	s_and_b32 s3, s2, 7
	s_and_b32 s16, s2, -8
	s_cmp_lg_u32 s3, 0
	v_cmp_lt_u32_e32 vcc, 13, v1
	s_cselect_b64 s[4:5], -1, 0
	s_cmp_lg_u32 s14, s15
	v_cndmask_b32_e64 v1, 0, 1, vcc
	s_cselect_b64 s[10:11], -1, 0
	s_lshl_b32 s17, s3, 3
	v_cndmask_b32_e64 v2, 0, 1, s[0:1]
	v_cmp_ne_u32_e64 s[2:3], 1, v1
	v_cndmask_b32_e64 v1, 0, 1, s[4:5]
	s_mov_b32 s9, 0
	s_mov_b64 s[12:13], 0
	v_cmp_ne_u32_e64 s[0:1], 1, v2
	v_cmp_ne_u32_e64 s[4:5], 1, v1
	s_branch .LBB15_80
.LBB15_79:                              ;   in Loop: Header=BB15_80 Depth=1
	v_add_u32_e32 v0, 0x400, v0
	v_ashrrev_i32_e32 v3, 31, v2
	v_cmp_le_i32_e32 vcc, s14, v0
	v_lshl_add_u64 v[2:3], v[2:3], 2, s[34:35]
	s_or_b64 s[12:13], vcc, s[12:13]
	s_waitcnt lgkmcnt(0)
	global_store_dword v[2:3], v1, off
	s_andn2_b64 exec, exec, s[12:13]
	s_cbranch_execz .LBB15_91
.LBB15_80:                              ; =>This Loop Header: Depth=1
                                        ;     Child Loop BB15_83 Depth 2
                                        ;     Child Loop BB15_86 Depth 2
	;; [unrolled: 1-line block ×3, first 2 shown]
	v_lshl_add_u32 v1, v0, 2, 0
	v_add_u32_e32 v2, 0x10000, v1
	ds_read_b32 v4, v1
	ds_read_b32 v1, v2
	s_and_b64 vcc, exec, s[0:1]
	v_mov_b32_e32 v2, s8
	s_mov_b32 s18, 0
	s_mov_b64 s[6:7], -1
	s_cbranch_vccnz .LBB15_88
; %bb.81:                               ;   in Loop: Header=BB15_80 Depth=1
	s_and_b64 vcc, exec, s[2:3]
	v_mov_b64_e32 v[2:3], s[8:9]
	s_cbranch_vccnz .LBB15_84
; %bb.82:                               ;   in Loop: Header=BB15_80 Depth=1
	s_mov_b32 s19, 0
	v_mov_b32_e32 v2, s8
	v_mov_b32_e32 v3, 0
	s_mov_b32 s20, s16
.LBB15_83:                              ;   Parent Loop BB15_80 Depth=1
                                        ; =>  This Inner Loop Header: Depth=2
	v_mov_b32_e32 v5, s19
	ds_read2_b32 v[6:7], v5 offset1:1
	ds_read2_b32 v[8:9], v5 offset0:2 offset1:3
	ds_read2_b32 v[10:11], v5 offset0:4 offset1:5
	;; [unrolled: 1-line block ×7, first 2 shown]
	s_waitcnt lgkmcnt(7)
	v_cmp_gt_i32_e32 vcc, v4, v7
	s_waitcnt lgkmcnt(5)
	v_cmp_gt_i32_e64 s[6:7], v4, v10
	s_add_i32 s18, s18, 16
	v_cndmask_b32_e64 v5, 0, 1, vcc
	v_cmp_gt_i32_e32 vcc, v4, v6
	v_cndmask_b32_e64 v7, 0, 1, s[6:7]
	v_cmp_gt_i32_e64 s[6:7], v4, v11
	v_cndmask_b32_e64 v6, 0, 1, vcc
	v_cmp_gt_i32_e32 vcc, v4, v9
	v_cndmask_b32_e64 v9, 0, 1, s[6:7]
	s_waitcnt lgkmcnt(3)
	v_cmp_gt_i32_e64 s[6:7], v4, v15
	v_addc_co_u32_e32 v3, vcc, v3, v5, vcc
	s_nop 0
	v_cndmask_b32_e64 v10, 0, 1, s[6:7]
	v_cmp_gt_i32_e64 s[6:7], v4, v14
	v_cmp_gt_i32_e32 vcc, v4, v12
	s_add_i32 s19, s19, 64
	v_cndmask_b32_e64 v11, 0, 1, s[6:7]
	s_waitcnt lgkmcnt(1)
	v_cmp_gt_i32_e64 s[6:7], v4, v18
	s_add_i32 s20, s20, -8
	s_cmp_lg_u32 s20, 0
	v_cndmask_b32_e64 v14, 0, 1, s[6:7]
	v_cmp_gt_i32_e64 s[6:7], v4, v19
	s_nop 1
	v_cndmask_b32_e64 v15, 0, 1, s[6:7]
	v_cmp_gt_i32_e64 s[6:7], v4, v8
	s_nop 1
	v_addc_co_u32_e64 v2, s[6:7], v2, v6, s[6:7]
	v_cmp_gt_i32_e64 s[6:7], v4, v13
	v_addc_co_u32_e32 v2, vcc, v2, v7, vcc
	s_nop 0
	v_addc_co_u32_e64 v3, s[6:7], v3, v9, s[6:7]
	v_cmp_gt_i32_e32 vcc, v4, v17
	v_cmp_gt_i32_e64 s[6:7], v4, v16
	s_nop 0
	v_addc_co_u32_e32 v3, vcc, v3, v10, vcc
	v_addc_co_u32_e64 v2, s[6:7], v2, v11, s[6:7]
	s_waitcnt lgkmcnt(0)
	v_cmp_gt_i32_e32 vcc, v4, v20
	v_cmp_gt_i32_e64 s[6:7], v4, v21
	s_nop 0
	v_addc_co_u32_e32 v2, vcc, v2, v14, vcc
	v_addc_co_u32_e64 v3, s[6:7], v3, v15, s[6:7]
	s_cbranch_scc1 .LBB15_83
.LBB15_84:                              ;   in Loop: Header=BB15_80 Depth=1
	s_and_b64 vcc, exec, s[4:5]
	s_cbranch_vccnz .LBB15_87
; %bb.85:                               ;   in Loop: Header=BB15_80 Depth=1
	s_lshl_b32 s6, s18, 2
	s_add_i32 s6, s6, 0
	s_mov_b32 s7, s17
.LBB15_86:                              ;   Parent Loop BB15_80 Depth=1
                                        ; =>  This Inner Loop Header: Depth=2
	v_mov_b32_e32 v5, s6
	ds_read2_b32 v[6:7], v5 offset1:1
	s_add_i32 s6, s6, 8
	s_add_i32 s7, s7, -8
	s_cmp_lg_u32 s7, 0
	s_waitcnt lgkmcnt(0)
	v_cmp_gt_i32_e32 vcc, v4, v7
	s_nop 1
	v_addc_co_u32_e32 v3, vcc, 0, v3, vcc
	v_cmp_gt_i32_e32 vcc, v4, v6
	s_nop 1
	v_addc_co_u32_e32 v2, vcc, 0, v2, vcc
	s_cbranch_scc1 .LBB15_86
.LBB15_87:                              ;   in Loop: Header=BB15_80 Depth=1
	v_add_u32_e32 v2, v2, v3
	s_mov_b32 s18, s15
	s_mov_b64 s[6:7], s[10:11]
.LBB15_88:                              ;   in Loop: Header=BB15_80 Depth=1
	s_and_b64 vcc, exec, s[6:7]
	s_cbranch_vccz .LBB15_79
; %bb.89:                               ;   in Loop: Header=BB15_80 Depth=1
	s_lshl_b32 s6, s18, 2
	s_add_i32 s6, s6, 0
.LBB15_90:                              ;   Parent Loop BB15_80 Depth=1
                                        ; =>  This Inner Loop Header: Depth=2
	v_mov_b32_e32 v3, s6
	ds_read_b32 v3, v3
	s_add_i32 s18, s18, 1
	s_add_i32 s6, s6, 4
	s_cmp_ge_i32 s18, s14
	s_waitcnt lgkmcnt(0)
	v_cmp_gt_i32_e32 vcc, v4, v3
	s_nop 1
	v_addc_co_u32_e32 v2, vcc, 0, v2, vcc
	s_cbranch_scc0 .LBB15_90
	s_branch .LBB15_79
.LBB15_91:
	s_endpgm
	.section	.rodata,"a",@progbits
	.p2align	6, 0x0
	.amdhsa_kernel _ZN9rocsparseL41csrgemm_numeric_fill_block_per_row_kernelILj1024ELj64ELj16384ELj137ELj64EiifEEvT5_PKS1_S3_NS_24const_host_device_scalarIT6_EEPKT4_S3_PKS5_S9_S3_SB_S6_S9_S3_SB_S9_S3_PS5_21rocsparse_index_base_SD_SD_SD_bbb
		.amdhsa_group_segment_fixed_size 0
		.amdhsa_private_segment_fixed_size 0
		.amdhsa_kernarg_size 156
		.amdhsa_user_sgpr_count 2
		.amdhsa_user_sgpr_dispatch_ptr 0
		.amdhsa_user_sgpr_queue_ptr 0
		.amdhsa_user_sgpr_kernarg_segment_ptr 1
		.amdhsa_user_sgpr_dispatch_id 0
		.amdhsa_user_sgpr_kernarg_preload_length 0
		.amdhsa_user_sgpr_kernarg_preload_offset 0
		.amdhsa_user_sgpr_private_segment_size 0
		.amdhsa_uses_dynamic_stack 0
		.amdhsa_enable_private_segment 0
		.amdhsa_system_sgpr_workgroup_id_x 1
		.amdhsa_system_sgpr_workgroup_id_y 0
		.amdhsa_system_sgpr_workgroup_id_z 0
		.amdhsa_system_sgpr_workgroup_info 0
		.amdhsa_system_vgpr_workitem_id 0
		.amdhsa_next_free_vgpr 22
		.amdhsa_next_free_sgpr 61
		.amdhsa_accum_offset 24
		.amdhsa_reserve_vcc 1
		.amdhsa_float_round_mode_32 0
		.amdhsa_float_round_mode_16_64 0
		.amdhsa_float_denorm_mode_32 3
		.amdhsa_float_denorm_mode_16_64 3
		.amdhsa_dx10_clamp 1
		.amdhsa_ieee_mode 1
		.amdhsa_fp16_overflow 0
		.amdhsa_tg_split 0
		.amdhsa_exception_fp_ieee_invalid_op 0
		.amdhsa_exception_fp_denorm_src 0
		.amdhsa_exception_fp_ieee_div_zero 0
		.amdhsa_exception_fp_ieee_overflow 0
		.amdhsa_exception_fp_ieee_underflow 0
		.amdhsa_exception_fp_ieee_inexact 0
		.amdhsa_exception_int_div_zero 0
	.end_amdhsa_kernel
	.section	.text._ZN9rocsparseL41csrgemm_numeric_fill_block_per_row_kernelILj1024ELj64ELj16384ELj137ELj64EiifEEvT5_PKS1_S3_NS_24const_host_device_scalarIT6_EEPKT4_S3_PKS5_S9_S3_SB_S6_S9_S3_SB_S9_S3_PS5_21rocsparse_index_base_SD_SD_SD_bbb,"axG",@progbits,_ZN9rocsparseL41csrgemm_numeric_fill_block_per_row_kernelILj1024ELj64ELj16384ELj137ELj64EiifEEvT5_PKS1_S3_NS_24const_host_device_scalarIT6_EEPKT4_S3_PKS5_S9_S3_SB_S6_S9_S3_SB_S9_S3_PS5_21rocsparse_index_base_SD_SD_SD_bbb,comdat
.Lfunc_end15:
	.size	_ZN9rocsparseL41csrgemm_numeric_fill_block_per_row_kernelILj1024ELj64ELj16384ELj137ELj64EiifEEvT5_PKS1_S3_NS_24const_host_device_scalarIT6_EEPKT4_S3_PKS5_S9_S3_SB_S6_S9_S3_SB_S9_S3_PS5_21rocsparse_index_base_SD_SD_SD_bbb, .Lfunc_end15-_ZN9rocsparseL41csrgemm_numeric_fill_block_per_row_kernelILj1024ELj64ELj16384ELj137ELj64EiifEEvT5_PKS1_S3_NS_24const_host_device_scalarIT6_EEPKT4_S3_PKS5_S9_S3_SB_S6_S9_S3_SB_S9_S3_PS5_21rocsparse_index_base_SD_SD_SD_bbb
                                        ; -- End function
	.set _ZN9rocsparseL41csrgemm_numeric_fill_block_per_row_kernelILj1024ELj64ELj16384ELj137ELj64EiifEEvT5_PKS1_S3_NS_24const_host_device_scalarIT6_EEPKT4_S3_PKS5_S9_S3_SB_S6_S9_S3_SB_S9_S3_PS5_21rocsparse_index_base_SD_SD_SD_bbb.num_vgpr, 22
	.set _ZN9rocsparseL41csrgemm_numeric_fill_block_per_row_kernelILj1024ELj64ELj16384ELj137ELj64EiifEEvT5_PKS1_S3_NS_24const_host_device_scalarIT6_EEPKT4_S3_PKS5_S9_S3_SB_S6_S9_S3_SB_S9_S3_PS5_21rocsparse_index_base_SD_SD_SD_bbb.num_agpr, 0
	.set _ZN9rocsparseL41csrgemm_numeric_fill_block_per_row_kernelILj1024ELj64ELj16384ELj137ELj64EiifEEvT5_PKS1_S3_NS_24const_host_device_scalarIT6_EEPKT4_S3_PKS5_S9_S3_SB_S6_S9_S3_SB_S9_S3_PS5_21rocsparse_index_base_SD_SD_SD_bbb.numbered_sgpr, 61
	.set _ZN9rocsparseL41csrgemm_numeric_fill_block_per_row_kernelILj1024ELj64ELj16384ELj137ELj64EiifEEvT5_PKS1_S3_NS_24const_host_device_scalarIT6_EEPKT4_S3_PKS5_S9_S3_SB_S6_S9_S3_SB_S9_S3_PS5_21rocsparse_index_base_SD_SD_SD_bbb.num_named_barrier, 0
	.set _ZN9rocsparseL41csrgemm_numeric_fill_block_per_row_kernelILj1024ELj64ELj16384ELj137ELj64EiifEEvT5_PKS1_S3_NS_24const_host_device_scalarIT6_EEPKT4_S3_PKS5_S9_S3_SB_S6_S9_S3_SB_S9_S3_PS5_21rocsparse_index_base_SD_SD_SD_bbb.private_seg_size, 0
	.set _ZN9rocsparseL41csrgemm_numeric_fill_block_per_row_kernelILj1024ELj64ELj16384ELj137ELj64EiifEEvT5_PKS1_S3_NS_24const_host_device_scalarIT6_EEPKT4_S3_PKS5_S9_S3_SB_S6_S9_S3_SB_S9_S3_PS5_21rocsparse_index_base_SD_SD_SD_bbb.uses_vcc, 1
	.set _ZN9rocsparseL41csrgemm_numeric_fill_block_per_row_kernelILj1024ELj64ELj16384ELj137ELj64EiifEEvT5_PKS1_S3_NS_24const_host_device_scalarIT6_EEPKT4_S3_PKS5_S9_S3_SB_S6_S9_S3_SB_S9_S3_PS5_21rocsparse_index_base_SD_SD_SD_bbb.uses_flat_scratch, 0
	.set _ZN9rocsparseL41csrgemm_numeric_fill_block_per_row_kernelILj1024ELj64ELj16384ELj137ELj64EiifEEvT5_PKS1_S3_NS_24const_host_device_scalarIT6_EEPKT4_S3_PKS5_S9_S3_SB_S6_S9_S3_SB_S9_S3_PS5_21rocsparse_index_base_SD_SD_SD_bbb.has_dyn_sized_stack, 0
	.set _ZN9rocsparseL41csrgemm_numeric_fill_block_per_row_kernelILj1024ELj64ELj16384ELj137ELj64EiifEEvT5_PKS1_S3_NS_24const_host_device_scalarIT6_EEPKT4_S3_PKS5_S9_S3_SB_S6_S9_S3_SB_S9_S3_PS5_21rocsparse_index_base_SD_SD_SD_bbb.has_recursion, 0
	.set _ZN9rocsparseL41csrgemm_numeric_fill_block_per_row_kernelILj1024ELj64ELj16384ELj137ELj64EiifEEvT5_PKS1_S3_NS_24const_host_device_scalarIT6_EEPKT4_S3_PKS5_S9_S3_SB_S6_S9_S3_SB_S9_S3_PS5_21rocsparse_index_base_SD_SD_SD_bbb.has_indirect_call, 0
	.section	.AMDGPU.csdata,"",@progbits
; Kernel info:
; codeLenInByte = 3420
; TotalNumSgprs: 67
; NumVgprs: 22
; NumAgprs: 0
; TotalNumVgprs: 22
; ScratchSize: 0
; MemoryBound: 0
; FloatMode: 240
; IeeeMode: 1
; LDSByteSize: 0 bytes/workgroup (compile time only)
; SGPRBlocks: 8
; VGPRBlocks: 2
; NumSGPRsForWavesPerEU: 67
; NumVGPRsForWavesPerEU: 22
; AccumOffset: 24
; Occupancy: 8
; WaveLimiterHint : 1
; COMPUTE_PGM_RSRC2:SCRATCH_EN: 0
; COMPUTE_PGM_RSRC2:USER_SGPR: 2
; COMPUTE_PGM_RSRC2:TRAP_HANDLER: 0
; COMPUTE_PGM_RSRC2:TGID_X_EN: 1
; COMPUTE_PGM_RSRC2:TGID_Y_EN: 0
; COMPUTE_PGM_RSRC2:TGID_Z_EN: 0
; COMPUTE_PGM_RSRC2:TIDIG_COMP_CNT: 0
; COMPUTE_PGM_RSRC3_GFX90A:ACCUM_OFFSET: 5
; COMPUTE_PGM_RSRC3_GFX90A:TG_SPLIT: 0
	.section	.text._ZN9rocsparseL41csrgemm_numeric_fill_block_per_row_kernelILj1024ELj64ELj32768ELj137ELj32EiifEEvT5_PKS1_S3_NS_24const_host_device_scalarIT6_EEPKT4_S3_PKS5_S9_S3_SB_S6_S9_S3_SB_S9_S3_PS5_21rocsparse_index_base_SD_SD_SD_bbb,"axG",@progbits,_ZN9rocsparseL41csrgemm_numeric_fill_block_per_row_kernelILj1024ELj64ELj32768ELj137ELj32EiifEEvT5_PKS1_S3_NS_24const_host_device_scalarIT6_EEPKT4_S3_PKS5_S9_S3_SB_S6_S9_S3_SB_S9_S3_PS5_21rocsparse_index_base_SD_SD_SD_bbb,comdat
	.globl	_ZN9rocsparseL41csrgemm_numeric_fill_block_per_row_kernelILj1024ELj64ELj32768ELj137ELj32EiifEEvT5_PKS1_S3_NS_24const_host_device_scalarIT6_EEPKT4_S3_PKS5_S9_S3_SB_S6_S9_S3_SB_S9_S3_PS5_21rocsparse_index_base_SD_SD_SD_bbb ; -- Begin function _ZN9rocsparseL41csrgemm_numeric_fill_block_per_row_kernelILj1024ELj64ELj32768ELj137ELj32EiifEEvT5_PKS1_S3_NS_24const_host_device_scalarIT6_EEPKT4_S3_PKS5_S9_S3_SB_S6_S9_S3_SB_S9_S3_PS5_21rocsparse_index_base_SD_SD_SD_bbb
	.p2align	8
	.type	_ZN9rocsparseL41csrgemm_numeric_fill_block_per_row_kernelILj1024ELj64ELj32768ELj137ELj32EiifEEvT5_PKS1_S3_NS_24const_host_device_scalarIT6_EEPKT4_S3_PKS5_S9_S3_SB_S6_S9_S3_SB_S9_S3_PS5_21rocsparse_index_base_SD_SD_SD_bbb,@function
_ZN9rocsparseL41csrgemm_numeric_fill_block_per_row_kernelILj1024ELj64ELj32768ELj137ELj32EiifEEvT5_PKS1_S3_NS_24const_host_device_scalarIT6_EEPKT4_S3_PKS5_S9_S3_SB_S6_S9_S3_SB_S9_S3_PS5_21rocsparse_index_base_SD_SD_SD_bbb: ; @_ZN9rocsparseL41csrgemm_numeric_fill_block_per_row_kernelILj1024ELj64ELj32768ELj137ELj32EiifEEvT5_PKS1_S3_NS_24const_host_device_scalarIT6_EEPKT4_S3_PKS5_S9_S3_SB_S6_S9_S3_SB_S9_S3_PS5_21rocsparse_index_base_SD_SD_SD_bbb
; %bb.0:
	s_load_dword s3, s[0:1], 0x98
	s_load_dwordx4 s[64:67], s[0:1], 0x88
	s_load_dwordx2 s[4:5], s[0:1], 0x18
	s_load_dwordx2 s[16:17], s[0:1], 0x50
	s_waitcnt lgkmcnt(0)
	s_bitcmp1_b32 s3, 0
	s_cselect_b64 s[6:7], -1, 0
	s_bitcmp1_b32 s3, 16
	s_cselect_b64 s[18:19], -1, 0
	s_xor_b64 s[8:9], s[6:7], -1
	s_or_b64 s[8:9], s[18:19], s[8:9]
	s_and_b64 vcc, exec, s[8:9]
	s_cbranch_vccnz .LBB16_2
; %bb.1:
	s_load_dword s4, s[4:5], 0x0
	s_waitcnt lgkmcnt(0)
	v_mov_b32_e32 v8, s4
	s_branch .LBB16_3
.LBB16_2:
	v_mov_b32_e32 v1, s4
	v_cndmask_b32_e64 v8, 0, v1, s[6:7]
.LBB16_3:
	s_load_dwordx2 s[4:5], s[0:1], 0x80
                                        ; implicit-def: $vgpr22 : SGPR spill to VGPR lane
	s_load_dwordx2 s[28:29], s[0:1], 0x58
	s_load_dwordx4 s[24:27], s[0:1], 0x8
	s_load_dwordx8 s[8:15], s[0:1], 0x20
	s_bitcmp1_b32 s3, 8
	s_waitcnt lgkmcnt(0)
	v_writelane_b32 v22, s4, 0
	s_nop 1
	v_writelane_b32 v22, s5, 1
	s_load_dwordx2 s[4:5], s[0:1], 0x70
	s_waitcnt lgkmcnt(0)
	v_writelane_b32 v22, s4, 2
	s_nop 1
	v_writelane_b32 v22, s5, 3
	s_cselect_b64 s[4:5], -1, 0
	s_xor_b64 s[20:21], s[4:5], -1
	s_or_b64 s[18:19], s[18:19], s[20:21]
	s_and_b64 vcc, exec, s[18:19]
	s_cbranch_vccnz .LBB16_5
; %bb.4:
	s_load_dword s3, s[16:17], 0x0
	s_waitcnt lgkmcnt(0)
	v_mov_b32_e32 v7, s3
	s_branch .LBB16_6
.LBB16_5:
	v_mov_b32_e32 v1, s16
	v_cndmask_b32_e64 v7, 0, v1, s[4:5]
.LBB16_6:
	s_load_dwordx4 s[20:23], s[0:1], 0x40
	s_load_dword s33, s[0:1], 0x0
	s_load_dwordx4 s[16:19], s[0:1], 0x60
	v_or_b32_e32 v1, 0xfffffc00, v0
	v_lshl_add_u32 v6, v0, 2, 0
	s_mov_b64 s[0:1], 0
	s_waitcnt lgkmcnt(0)
	v_mov_b32_e32 v5, s33
	v_mov_b32_e32 v2, 0
	s_movk_i32 s3, 0x7bff
	v_mov_b32_e32 v3, v6
	v_mov_b32_e32 v4, v1
.LBB16_7:                               ; =>This Inner Loop Header: Depth=1
	v_add_u32_e32 v4, 0x400, v4
	v_cmp_lt_u32_e32 vcc, s3, v4
	ds_write_b32 v3, v5
	v_add_u32_e32 v9, 0x20000, v3
	v_add_u32_e32 v3, 0x1000, v3
	s_or_b64 s[0:1], vcc, s[0:1]
	ds_write_b32 v9, v2
	s_andn2_b64 exec, exec, s[0:1]
	s_cbranch_execnz .LBB16_7
; %bb.8:
	s_or_b64 exec, exec, s[0:1]
	s_waitcnt lgkmcnt(0)
	s_barrier
	s_load_dword s0, s[24:25], 0x0
	s_mov_b32 s1, 0
	s_waitcnt lgkmcnt(0)
	s_add_i32 s0, s0, s2
	s_lshl_b64 s[0:1], s[0:1], 2
	s_add_u32 s0, s26, s0
	s_addc_u32 s1, s27, s1
	s_load_dword s40, s[0:1], 0x0
	s_and_b64 vcc, exec, s[6:7]
	s_cbranch_vccz .LBB16_26
; %bb.9:
	s_waitcnt lgkmcnt(0)
	s_ashr_i32 s41, s40, 31
	s_lshl_b64 s[0:1], s[40:41], 2
	s_add_u32 s0, s8, s0
	s_addc_u32 s1, s9, s1
	s_load_dwordx2 s[2:3], s[0:1], 0x0
	v_lshrrev_b32_e32 v2, 6, v0
	v_subrev_u32_e32 v2, s64, v2
	s_waitcnt lgkmcnt(0)
	s_sub_i32 s38, s3, s64
	v_add_u32_e32 v2, s2, v2
	v_cmp_gt_i32_e32 vcc, s38, v2
	s_and_saveexec_b64 s[0:1], vcc
	s_cbranch_execz .LBB16_25
; %bb.10:
	v_and_b32_e32 v3, 63, v0
	v_subrev_u32_e32 v9, s65, v3
	s_mov_b64 s[2:3], 0
	s_movk_i32 s39, 0x89
	s_branch .LBB16_12
.LBB16_11:                              ;   in Loop: Header=BB16_12 Depth=1
	s_or_b64 exec, exec, s[6:7]
	v_add_u32_e32 v2, 16, v2
	v_cmp_le_i32_e32 vcc, s38, v2
	s_or_b64 s[2:3], vcc, s[2:3]
	s_andn2_b64 exec, exec, s[2:3]
	s_cbranch_execz .LBB16_25
.LBB16_12:                              ; =>This Loop Header: Depth=1
                                        ;     Child Loop BB16_16 Depth 2
                                        ;       Child Loop BB16_19 Depth 3
	v_ashrrev_i32_e32 v3, 31, v2
	v_lshl_add_u64 v[4:5], v[2:3], 2, s[10:11]
	global_load_dword v4, v[4:5], off
	s_waitcnt vmcnt(0)
	v_subrev_u32_e32 v4, s64, v4
	v_ashrrev_i32_e32 v5, 31, v4
	v_lshl_add_u64 v[4:5], v[4:5], 2, s[14:15]
	global_load_dwordx2 v[4:5], v[4:5], off
	s_waitcnt vmcnt(0)
	v_subrev_u32_e32 v10, s65, v5
	v_add_u32_e32 v4, v4, v9
	v_cmp_lt_i32_e32 vcc, v4, v10
	s_and_saveexec_b64 s[6:7], vcc
	s_cbranch_execz .LBB16_11
; %bb.13:                               ;   in Loop: Header=BB16_12 Depth=1
	v_lshl_add_u64 v[12:13], v[2:3], 2, s[12:13]
	global_load_dword v3, v[12:13], off
	s_mov_b64 s[8:9], 0
	s_waitcnt vmcnt(0)
	v_mul_f32_e32 v3, v8, v3
	s_branch .LBB16_16
.LBB16_14:                              ;   in Loop: Header=BB16_16 Depth=2
	s_or_b64 exec, exec, s[26:27]
.LBB16_15:                              ;   in Loop: Header=BB16_16 Depth=2
	s_or_b64 exec, exec, s[24:25]
	v_lshl_add_u32 v11, v11, 2, 0
	s_waitcnt vmcnt(0)
	v_mul_f32_e32 v5, v3, v5
	v_add_u32_e32 v11, 0x20000, v11
	ds_add_f32 v11, v5
	v_add_u32_e32 v4, 64, v4
	v_cmp_ge_i32_e32 vcc, v4, v10
	s_or_b64 s[8:9], vcc, s[8:9]
	s_andn2_b64 exec, exec, s[8:9]
	s_cbranch_execz .LBB16_11
.LBB16_16:                              ;   Parent Loop BB16_12 Depth=1
                                        ; =>  This Loop Header: Depth=2
                                        ;       Child Loop BB16_19 Depth 3
	v_ashrrev_i32_e32 v5, 31, v4
	v_lshlrev_b64 v[12:13], 2, v[4:5]
	v_lshl_add_u64 v[14:15], s[20:21], 0, v[12:13]
	global_load_dword v11, v[14:15], off
	v_lshl_add_u64 v[12:13], s[22:23], 0, v[12:13]
	global_load_dword v5, v[12:13], off
	s_waitcnt vmcnt(1)
	v_subrev_u32_e32 v12, s65, v11
	v_mul_lo_u32 v11, v12, s39
	v_and_b32_e32 v11, 0x7fff, v11
	v_lshl_add_u32 v13, v11, 2, 0
	ds_read_b32 v14, v13
	s_waitcnt lgkmcnt(0)
	v_cmp_ne_u32_e32 vcc, v14, v12
	s_and_saveexec_b64 s[24:25], vcc
	s_cbranch_execz .LBB16_15
; %bb.17:                               ;   in Loop: Header=BB16_16 Depth=2
	s_mov_b64 s[26:27], 0
	s_branch .LBB16_19
.LBB16_18:                              ;   in Loop: Header=BB16_19 Depth=3
	s_or_b64 exec, exec, s[36:37]
	s_and_b64 s[30:31], exec, s[34:35]
	s_or_b64 s[26:27], s[30:31], s[26:27]
	s_andn2_b64 exec, exec, s[26:27]
	s_cbranch_execz .LBB16_14
.LBB16_19:                              ;   Parent Loop BB16_12 Depth=1
                                        ;     Parent Loop BB16_16 Depth=2
                                        ; =>    This Inner Loop Header: Depth=3
	v_cmp_ne_u32_e32 vcc, s33, v14
	s_mov_b64 s[30:31], 0
	s_and_saveexec_b64 s[34:35], vcc
	s_xor_b64 s[34:35], exec, s[34:35]
	s_cbranch_execz .LBB16_21
; %bb.20:                               ;   in Loop: Header=BB16_19 Depth=3
	v_add_u32_e32 v11, 1, v11
	s_mov_b64 s[30:31], exec
	v_and_b32_e32 v11, 0x7fff, v11
                                        ; implicit-def: $vgpr13
	s_andn2_saveexec_b64 s[34:35], s[34:35]
	s_cbranch_execz .LBB16_23
	s_branch .LBB16_22
.LBB16_21:                              ;   in Loop: Header=BB16_19 Depth=3
	s_andn2_saveexec_b64 s[34:35], s[34:35]
	s_cbranch_execz .LBB16_23
.LBB16_22:                              ;   in Loop: Header=BB16_19 Depth=3
	v_mov_b32_e32 v14, s33
	ds_cmpst_rtn_b32 v13, v13, v14, v12
	s_andn2_b64 s[30:31], s[30:31], exec
	s_waitcnt lgkmcnt(0)
	v_cmp_ne_u32_e32 vcc, s33, v13
	s_and_b64 s[36:37], vcc, exec
	s_or_b64 s[30:31], s[30:31], s[36:37]
.LBB16_23:                              ;   in Loop: Header=BB16_19 Depth=3
	s_or_b64 exec, exec, s[34:35]
	s_mov_b64 s[34:35], -1
                                        ; implicit-def: $vgpr13
                                        ; implicit-def: $vgpr14
	s_and_saveexec_b64 s[36:37], s[30:31]
	s_cbranch_execz .LBB16_18
; %bb.24:                               ;   in Loop: Header=BB16_19 Depth=3
	v_lshl_add_u32 v13, v11, 2, 0
	ds_read_b32 v14, v13
	s_waitcnt lgkmcnt(0)
	v_cmp_eq_u32_e32 vcc, v14, v12
	s_orn2_b64 s[34:35], vcc, exec
	s_branch .LBB16_18
.LBB16_25:
	s_or_b64 exec, exec, s[0:1]
.LBB16_26:
	s_andn2_b64 vcc, exec, s[4:5]
	s_cbranch_vccnz .LBB16_41
; %bb.27:
	s_waitcnt lgkmcnt(0)
	s_ashr_i32 s41, s40, 31
	s_lshl_b64 s[0:1], s[40:41], 2
	s_add_u32 s0, s28, s0
	s_addc_u32 s1, s29, s1
	s_load_dwordx2 s[2:3], s[0:1], 0x0
	v_subrev_u32_e32 v2, s67, v0
	s_waitcnt lgkmcnt(0)
	s_sub_i32 s14, s3, s67
	v_add_u32_e32 v2, s2, v2
	v_cmp_gt_i32_e32 vcc, s14, v2
	s_and_saveexec_b64 s[0:1], vcc
	s_cbranch_execz .LBB16_40
; %bb.28:
	s_mov_b64 s[2:3], 0
	s_movk_i32 s15, 0x89
	s_branch .LBB16_31
.LBB16_29:                              ;   in Loop: Header=BB16_31 Depth=1
	s_or_b64 exec, exec, s[6:7]
.LBB16_30:                              ;   in Loop: Header=BB16_31 Depth=1
	s_or_b64 exec, exec, s[4:5]
	v_lshl_add_u32 v4, v4, 2, 0
	s_waitcnt vmcnt(0)
	v_mul_f32_e32 v3, v7, v3
	v_add_u32_e32 v4, 0x20000, v4
	ds_add_f32 v4, v3
	v_add_u32_e32 v2, 0x400, v2
	v_cmp_le_i32_e32 vcc, s14, v2
	s_or_b64 s[2:3], vcc, s[2:3]
	s_andn2_b64 exec, exec, s[2:3]
	s_cbranch_execz .LBB16_40
.LBB16_31:                              ; =>This Loop Header: Depth=1
                                        ;     Child Loop BB16_34 Depth 2
	v_ashrrev_i32_e32 v3, 31, v2
	v_lshlrev_b64 v[4:5], 2, v[2:3]
	v_lshl_add_u64 v[8:9], s[16:17], 0, v[4:5]
	global_load_dword v8, v[8:9], off
	v_lshl_add_u64 v[4:5], s[18:19], 0, v[4:5]
	global_load_dword v3, v[4:5], off
	s_waitcnt vmcnt(1)
	v_subrev_u32_e32 v5, s67, v8
	v_mul_lo_u32 v4, v5, s15
	v_and_b32_e32 v4, 0x7fff, v4
	v_lshl_add_u32 v8, v4, 2, 0
	ds_read_b32 v9, v8
	s_waitcnt lgkmcnt(0)
	v_cmp_ne_u32_e32 vcc, v9, v5
	s_and_saveexec_b64 s[4:5], vcc
	s_cbranch_execz .LBB16_30
; %bb.32:                               ;   in Loop: Header=BB16_31 Depth=1
	s_mov_b64 s[6:7], 0
	s_branch .LBB16_34
.LBB16_33:                              ;   in Loop: Header=BB16_34 Depth=2
	s_or_b64 exec, exec, s[12:13]
	s_and_b64 s[8:9], exec, s[10:11]
	s_or_b64 s[6:7], s[8:9], s[6:7]
	s_andn2_b64 exec, exec, s[6:7]
	s_cbranch_execz .LBB16_29
.LBB16_34:                              ;   Parent Loop BB16_31 Depth=1
                                        ; =>  This Inner Loop Header: Depth=2
	v_cmp_ne_u32_e32 vcc, s33, v9
	s_mov_b64 s[8:9], 0
	s_and_saveexec_b64 s[10:11], vcc
	s_xor_b64 s[10:11], exec, s[10:11]
	s_cbranch_execz .LBB16_36
; %bb.35:                               ;   in Loop: Header=BB16_34 Depth=2
	v_add_u32_e32 v4, 1, v4
	s_mov_b64 s[8:9], exec
	v_and_b32_e32 v4, 0x7fff, v4
                                        ; implicit-def: $vgpr8
	s_andn2_saveexec_b64 s[10:11], s[10:11]
	s_cbranch_execz .LBB16_38
	s_branch .LBB16_37
.LBB16_36:                              ;   in Loop: Header=BB16_34 Depth=2
	s_andn2_saveexec_b64 s[10:11], s[10:11]
	s_cbranch_execz .LBB16_38
.LBB16_37:                              ;   in Loop: Header=BB16_34 Depth=2
	v_mov_b32_e32 v9, s33
	ds_cmpst_rtn_b32 v8, v8, v9, v5
	s_andn2_b64 s[8:9], s[8:9], exec
	s_waitcnt lgkmcnt(0)
	v_cmp_ne_u32_e32 vcc, s33, v8
	s_and_b64 s[12:13], vcc, exec
	s_or_b64 s[8:9], s[8:9], s[12:13]
.LBB16_38:                              ;   in Loop: Header=BB16_34 Depth=2
	s_or_b64 exec, exec, s[10:11]
	s_mov_b64 s[10:11], -1
                                        ; implicit-def: $vgpr8
                                        ; implicit-def: $vgpr9
	s_and_saveexec_b64 s[12:13], s[8:9]
	s_cbranch_execz .LBB16_33
; %bb.39:                               ;   in Loop: Header=BB16_34 Depth=2
	v_lshl_add_u32 v8, v4, 2, 0
	ds_read_b32 v9, v8
	s_waitcnt lgkmcnt(0)
	v_cmp_eq_u32_e32 vcc, v9, v5
	s_orn2_b64 s[10:11], vcc, exec
	s_branch .LBB16_33
.LBB16_40:
	s_or_b64 exec, exec, s[0:1]
.LBB16_41:
	s_waitcnt lgkmcnt(0)
	v_writelane_b32 v22, s40, 4
	s_add_i32 s0, 0, 0x40000
	v_lshrrev_b32_e32 v4, 3, v0
	v_writelane_b32 v22, s41, 5
	v_writelane_b32 v22, s0, 6
	s_add_i32 s60, 0, 0x40004
	v_mbcnt_lo_u32_b32 v2, -1, 0
	v_and_b32_e32 v4, 0x7c, v4
	v_writelane_b32 v22, s60, 7
	s_add_i32 s60, 0, 0x40008
	v_mbcnt_hi_u32_b32 v2, -1, v2
	v_add_u32_e32 v4, s0, v4
	s_movk_i32 s0, 0x3ff
	v_writelane_b32 v22, s60, 8
	s_add_i32 s60, 0, 0x4000c
	v_sub_u32_e32 v2, 63, v2
	v_cmp_eq_u32_e32 vcc, s0, v0
	s_movk_i32 s0, 0x5f
	s_movk_i32 s2, 0x7f
	;; [unrolled: 1-line block ×29, first 2 shown]
	v_writelane_b32 v22, s60, 9
	s_add_i32 s60, 0, 0x40014
	v_lshrrev_b64 v[2:3], v2, -1
	v_cmp_lt_u32_e64 s[0:1], s0, v0
	v_cmp_lt_u32_e64 s[2:3], s2, v0
	;; [unrolled: 1-line block ×29, first 2 shown]
	v_mov_b32_e32 v5, 0
	s_add_i32 s79, 0, 0x40010
	v_writelane_b32 v22, s60, 10
	s_add_i32 s82, 0, 0x40018
	s_add_i32 s83, 0, 0x4001c
	;; [unrolled: 1-line block ×26, first 2 shown]
	v_cmp_lt_u32_e64 s[60:61], 31, v0
	v_cmp_lt_u32_e64 s[62:63], 63, v0
	s_mov_b64 s[74:75], 0
	s_barrier
	s_branch .LBB16_43
.LBB16_42:                              ;   in Loop: Header=BB16_43 Depth=1
	s_or_b64 exec, exec, s[64:65]
	v_mov_b32_e32 v7, s78
	s_waitcnt lgkmcnt(0)
	s_barrier
	ds_read_b32 v7, v7
	v_add_u32_e32 v1, 0x400, v1
	s_movk_i32 s64, 0x7bff
	v_cmp_lt_u32_e64 s[64:65], s64, v1
	s_or_b64 s[74:75], s[64:65], s[74:75]
	s_waitcnt lgkmcnt(0)
	v_add_u32_e32 v5, v7, v5
	v_add_u32_e32 v6, 0x1000, v6
	s_andn2_b64 exec, exec, s[74:75]
	s_cbranch_execz .LBB16_109
.LBB16_43:                              ; =>This Inner Loop Header: Depth=1
	ds_read_b32 v8, v6
	v_add_u32_e32 v7, 0x20000, v6
	ds_read_b32 v9, v7
	s_waitcnt lgkmcnt(0)
	s_barrier
	v_cmp_gt_i32_e64 s[64:65], s33, v8
	s_bcnt1_i32_b64 s76, s[64:65]
	s_nop 0
	v_and_b32_e32 v10, s64, v2
	v_and_b32_e32 v7, s65, v3
	v_bcnt_u32_b32 v10, v10, 0
	v_bcnt_u32_b32 v7, v7, v10
	v_mov_b32_e32 v10, s76
	ds_write_b32 v4, v10
	s_waitcnt lgkmcnt(0)
	s_barrier
	s_and_saveexec_b64 s[76:77], s[60:61]
	s_cbranch_execz .LBB16_76
; %bb.44:                               ;   in Loop: Header=BB16_43 Depth=1
	v_readlane_b32 s80, v22, 6
	s_nop 1
	v_mov_b32_e32 v10, s80
	ds_read_b32 v10, v10
	s_waitcnt lgkmcnt(0)
	v_add_u32_e32 v7, v10, v7
	s_or_b64 exec, exec, s[76:77]
	s_and_saveexec_b64 s[76:77], s[62:63]
	s_cbranch_execnz .LBB16_77
.LBB16_45:                              ;   in Loop: Header=BB16_43 Depth=1
	s_or_b64 exec, exec, s[76:77]
	s_and_saveexec_b64 s[76:77], s[0:1]
	s_cbranch_execz .LBB16_78
.LBB16_46:                              ;   in Loop: Header=BB16_43 Depth=1
	v_readlane_b32 s80, v22, 8
	s_nop 1
	v_mov_b32_e32 v10, s80
	ds_read_b32 v10, v10
	s_waitcnt lgkmcnt(0)
	v_add_u32_e32 v7, v10, v7
	s_or_b64 exec, exec, s[76:77]
	s_and_saveexec_b64 s[76:77], s[2:3]
	s_cbranch_execnz .LBB16_79
.LBB16_47:                              ;   in Loop: Header=BB16_43 Depth=1
	s_or_b64 exec, exec, s[76:77]
	s_and_saveexec_b64 s[76:77], s[4:5]
	s_cbranch_execz .LBB16_80
.LBB16_48:                              ;   in Loop: Header=BB16_43 Depth=1
	v_mov_b32_e32 v10, s79
	ds_read_b32 v10, v10
	s_waitcnt lgkmcnt(0)
	v_add_u32_e32 v7, v10, v7
	s_or_b64 exec, exec, s[76:77]
	s_and_saveexec_b64 s[76:77], s[6:7]
	s_cbranch_execnz .LBB16_81
.LBB16_49:                              ;   in Loop: Header=BB16_43 Depth=1
	s_or_b64 exec, exec, s[76:77]
	s_and_saveexec_b64 s[76:77], s[8:9]
	s_cbranch_execz .LBB16_82
.LBB16_50:                              ;   in Loop: Header=BB16_43 Depth=1
	v_mov_b32_e32 v10, s82
	ds_read_b32 v10, v10
	s_waitcnt lgkmcnt(0)
	v_add_u32_e32 v7, v10, v7
	s_or_b64 exec, exec, s[76:77]
	s_and_saveexec_b64 s[76:77], s[10:11]
	s_cbranch_execnz .LBB16_83
.LBB16_51:                              ;   in Loop: Header=BB16_43 Depth=1
	s_or_b64 exec, exec, s[76:77]
	s_and_saveexec_b64 s[76:77], s[12:13]
	s_cbranch_execz .LBB16_84
.LBB16_52:                              ;   in Loop: Header=BB16_43 Depth=1
	v_mov_b32_e32 v10, s84
	ds_read_b32 v10, v10
	s_waitcnt lgkmcnt(0)
	v_add_u32_e32 v7, v10, v7
	s_or_b64 exec, exec, s[76:77]
	s_and_saveexec_b64 s[76:77], s[14:15]
	s_cbranch_execnz .LBB16_85
.LBB16_53:                              ;   in Loop: Header=BB16_43 Depth=1
	s_or_b64 exec, exec, s[76:77]
	s_and_saveexec_b64 s[76:77], s[16:17]
	s_cbranch_execz .LBB16_86
.LBB16_54:                              ;   in Loop: Header=BB16_43 Depth=1
	v_mov_b32_e32 v10, s86
	ds_read_b32 v10, v10
	s_waitcnt lgkmcnt(0)
	v_add_u32_e32 v7, v10, v7
	s_or_b64 exec, exec, s[76:77]
	s_and_saveexec_b64 s[76:77], s[18:19]
	s_cbranch_execnz .LBB16_87
.LBB16_55:                              ;   in Loop: Header=BB16_43 Depth=1
	s_or_b64 exec, exec, s[76:77]
	s_and_saveexec_b64 s[76:77], s[20:21]
	s_cbranch_execz .LBB16_88
.LBB16_56:                              ;   in Loop: Header=BB16_43 Depth=1
	v_mov_b32_e32 v10, s88
	ds_read_b32 v10, v10
	s_waitcnt lgkmcnt(0)
	v_add_u32_e32 v7, v10, v7
	s_or_b64 exec, exec, s[76:77]
	s_and_saveexec_b64 s[76:77], s[22:23]
	s_cbranch_execnz .LBB16_89
.LBB16_57:                              ;   in Loop: Header=BB16_43 Depth=1
	s_or_b64 exec, exec, s[76:77]
	s_and_saveexec_b64 s[76:77], s[24:25]
	s_cbranch_execz .LBB16_90
.LBB16_58:                              ;   in Loop: Header=BB16_43 Depth=1
	v_mov_b32_e32 v10, s90
	ds_read_b32 v10, v10
	s_waitcnt lgkmcnt(0)
	v_add_u32_e32 v7, v10, v7
	s_or_b64 exec, exec, s[76:77]
	s_and_saveexec_b64 s[76:77], s[26:27]
	s_cbranch_execnz .LBB16_91
.LBB16_59:                              ;   in Loop: Header=BB16_43 Depth=1
	s_or_b64 exec, exec, s[76:77]
	s_and_saveexec_b64 s[76:77], s[28:29]
	s_cbranch_execz .LBB16_92
.LBB16_60:                              ;   in Loop: Header=BB16_43 Depth=1
	v_mov_b32_e32 v10, s92
	ds_read_b32 v10, v10
	s_waitcnt lgkmcnt(0)
	v_add_u32_e32 v7, v10, v7
	s_or_b64 exec, exec, s[76:77]
	s_and_saveexec_b64 s[76:77], s[30:31]
	s_cbranch_execnz .LBB16_93
.LBB16_61:                              ;   in Loop: Header=BB16_43 Depth=1
	s_or_b64 exec, exec, s[76:77]
	s_and_saveexec_b64 s[76:77], s[34:35]
	s_cbranch_execz .LBB16_94
.LBB16_62:                              ;   in Loop: Header=BB16_43 Depth=1
	v_mov_b32_e32 v10, s94
	ds_read_b32 v10, v10
	s_waitcnt lgkmcnt(0)
	v_add_u32_e32 v7, v10, v7
	s_or_b64 exec, exec, s[76:77]
	s_and_saveexec_b64 s[76:77], s[36:37]
	s_cbranch_execnz .LBB16_95
.LBB16_63:                              ;   in Loop: Header=BB16_43 Depth=1
	s_or_b64 exec, exec, s[76:77]
	s_and_saveexec_b64 s[76:77], s[38:39]
	s_cbranch_execz .LBB16_96
.LBB16_64:                              ;   in Loop: Header=BB16_43 Depth=1
	v_mov_b32_e32 v10, s96
	ds_read_b32 v10, v10
	s_waitcnt lgkmcnt(0)
	v_add_u32_e32 v7, v10, v7
	s_or_b64 exec, exec, s[76:77]
	s_and_saveexec_b64 s[76:77], s[40:41]
	s_cbranch_execnz .LBB16_97
.LBB16_65:                              ;   in Loop: Header=BB16_43 Depth=1
	s_or_b64 exec, exec, s[76:77]
	s_and_saveexec_b64 s[76:77], s[42:43]
	s_cbranch_execz .LBB16_98
.LBB16_66:                              ;   in Loop: Header=BB16_43 Depth=1
	v_mov_b32_e32 v10, s98
	ds_read_b32 v10, v10
	s_waitcnt lgkmcnt(0)
	v_add_u32_e32 v7, v10, v7
	s_or_b64 exec, exec, s[76:77]
	s_and_saveexec_b64 s[76:77], s[44:45]
	s_cbranch_execnz .LBB16_99
.LBB16_67:                              ;   in Loop: Header=BB16_43 Depth=1
	s_or_b64 exec, exec, s[76:77]
	s_and_saveexec_b64 s[76:77], s[46:47]
	s_cbranch_execz .LBB16_100
.LBB16_68:                              ;   in Loop: Header=BB16_43 Depth=1
	v_mov_b32_e32 v10, s70
	ds_read_b32 v10, v10
	s_waitcnt lgkmcnt(0)
	v_add_u32_e32 v7, v10, v7
	s_or_b64 exec, exec, s[76:77]
	s_and_saveexec_b64 s[76:77], s[48:49]
	s_cbranch_execnz .LBB16_101
.LBB16_69:                              ;   in Loop: Header=BB16_43 Depth=1
	s_or_b64 exec, exec, s[76:77]
	s_and_saveexec_b64 s[76:77], s[50:51]
	s_cbranch_execz .LBB16_102
.LBB16_70:                              ;   in Loop: Header=BB16_43 Depth=1
	v_mov_b32_e32 v10, s72
	ds_read_b32 v10, v10
	s_waitcnt lgkmcnt(0)
	v_add_u32_e32 v7, v10, v7
	s_or_b64 exec, exec, s[76:77]
	s_and_saveexec_b64 s[76:77], s[52:53]
	s_cbranch_execnz .LBB16_103
.LBB16_71:                              ;   in Loop: Header=BB16_43 Depth=1
	s_or_b64 exec, exec, s[76:77]
	s_and_saveexec_b64 s[76:77], s[54:55]
	s_cbranch_execz .LBB16_104
.LBB16_72:                              ;   in Loop: Header=BB16_43 Depth=1
	v_mov_b32_e32 v10, s69
	ds_read_b32 v10, v10
	s_waitcnt lgkmcnt(0)
	v_add_u32_e32 v7, v10, v7
	s_or_b64 exec, exec, s[76:77]
	s_and_saveexec_b64 s[76:77], s[56:57]
	s_cbranch_execnz .LBB16_105
.LBB16_73:                              ;   in Loop: Header=BB16_43 Depth=1
	s_or_b64 exec, exec, s[76:77]
	s_and_saveexec_b64 s[76:77], s[58:59]
	s_cbranch_execz .LBB16_106
.LBB16_74:                              ;   in Loop: Header=BB16_43 Depth=1
	v_mov_b32_e32 v10, s73
	ds_read_b32 v10, v10
	s_waitcnt lgkmcnt(0)
	v_add_u32_e32 v7, v10, v7
	s_or_b64 exec, exec, s[76:77]
	s_and_saveexec_b64 s[76:77], s[64:65]
	s_cbranch_execnz .LBB16_107
.LBB16_75:                              ;   in Loop: Header=BB16_43 Depth=1
	s_or_b64 exec, exec, s[76:77]
	s_and_saveexec_b64 s[64:65], vcc
	s_cbranch_execz .LBB16_42
	s_branch .LBB16_108
.LBB16_76:                              ;   in Loop: Header=BB16_43 Depth=1
	s_or_b64 exec, exec, s[76:77]
	s_and_saveexec_b64 s[76:77], s[62:63]
	s_cbranch_execz .LBB16_45
.LBB16_77:                              ;   in Loop: Header=BB16_43 Depth=1
	v_readlane_b32 s80, v22, 7
	s_nop 1
	v_mov_b32_e32 v10, s80
	ds_read_b32 v10, v10
	s_waitcnt lgkmcnt(0)
	v_add_u32_e32 v7, v10, v7
	s_or_b64 exec, exec, s[76:77]
	s_and_saveexec_b64 s[76:77], s[0:1]
	s_cbranch_execnz .LBB16_46
.LBB16_78:                              ;   in Loop: Header=BB16_43 Depth=1
	s_or_b64 exec, exec, s[76:77]
	s_and_saveexec_b64 s[76:77], s[2:3]
	s_cbranch_execz .LBB16_47
.LBB16_79:                              ;   in Loop: Header=BB16_43 Depth=1
	v_readlane_b32 s80, v22, 9
	s_nop 1
	v_mov_b32_e32 v10, s80
	ds_read_b32 v10, v10
	s_waitcnt lgkmcnt(0)
	v_add_u32_e32 v7, v10, v7
	s_or_b64 exec, exec, s[76:77]
	s_and_saveexec_b64 s[76:77], s[4:5]
	s_cbranch_execnz .LBB16_48
.LBB16_80:                              ;   in Loop: Header=BB16_43 Depth=1
	s_or_b64 exec, exec, s[76:77]
	s_and_saveexec_b64 s[76:77], s[6:7]
	s_cbranch_execz .LBB16_49
.LBB16_81:                              ;   in Loop: Header=BB16_43 Depth=1
	v_readlane_b32 s80, v22, 10
	s_nop 1
	v_mov_b32_e32 v10, s80
	ds_read_b32 v10, v10
	s_waitcnt lgkmcnt(0)
	v_add_u32_e32 v7, v10, v7
	s_or_b64 exec, exec, s[76:77]
	s_and_saveexec_b64 s[76:77], s[8:9]
	s_cbranch_execnz .LBB16_50
.LBB16_82:                              ;   in Loop: Header=BB16_43 Depth=1
	s_or_b64 exec, exec, s[76:77]
	s_and_saveexec_b64 s[76:77], s[10:11]
	s_cbranch_execz .LBB16_51
.LBB16_83:                              ;   in Loop: Header=BB16_43 Depth=1
	v_mov_b32_e32 v10, s83
	ds_read_b32 v10, v10
	s_waitcnt lgkmcnt(0)
	v_add_u32_e32 v7, v10, v7
	s_or_b64 exec, exec, s[76:77]
	s_and_saveexec_b64 s[76:77], s[12:13]
	s_cbranch_execnz .LBB16_52
.LBB16_84:                              ;   in Loop: Header=BB16_43 Depth=1
	s_or_b64 exec, exec, s[76:77]
	s_and_saveexec_b64 s[76:77], s[14:15]
	s_cbranch_execz .LBB16_53
.LBB16_85:                              ;   in Loop: Header=BB16_43 Depth=1
	v_mov_b32_e32 v10, s85
	ds_read_b32 v10, v10
	s_waitcnt lgkmcnt(0)
	v_add_u32_e32 v7, v10, v7
	s_or_b64 exec, exec, s[76:77]
	s_and_saveexec_b64 s[76:77], s[16:17]
	s_cbranch_execnz .LBB16_54
.LBB16_86:                              ;   in Loop: Header=BB16_43 Depth=1
	s_or_b64 exec, exec, s[76:77]
	s_and_saveexec_b64 s[76:77], s[18:19]
	s_cbranch_execz .LBB16_55
.LBB16_87:                              ;   in Loop: Header=BB16_43 Depth=1
	v_mov_b32_e32 v10, s87
	ds_read_b32 v10, v10
	s_waitcnt lgkmcnt(0)
	v_add_u32_e32 v7, v10, v7
	s_or_b64 exec, exec, s[76:77]
	s_and_saveexec_b64 s[76:77], s[20:21]
	s_cbranch_execnz .LBB16_56
.LBB16_88:                              ;   in Loop: Header=BB16_43 Depth=1
	s_or_b64 exec, exec, s[76:77]
	s_and_saveexec_b64 s[76:77], s[22:23]
	s_cbranch_execz .LBB16_57
.LBB16_89:                              ;   in Loop: Header=BB16_43 Depth=1
	v_mov_b32_e32 v10, s89
	ds_read_b32 v10, v10
	s_waitcnt lgkmcnt(0)
	v_add_u32_e32 v7, v10, v7
	s_or_b64 exec, exec, s[76:77]
	s_and_saveexec_b64 s[76:77], s[24:25]
	s_cbranch_execnz .LBB16_58
.LBB16_90:                              ;   in Loop: Header=BB16_43 Depth=1
	s_or_b64 exec, exec, s[76:77]
	s_and_saveexec_b64 s[76:77], s[26:27]
	s_cbranch_execz .LBB16_59
.LBB16_91:                              ;   in Loop: Header=BB16_43 Depth=1
	v_mov_b32_e32 v10, s91
	ds_read_b32 v10, v10
	s_waitcnt lgkmcnt(0)
	v_add_u32_e32 v7, v10, v7
	s_or_b64 exec, exec, s[76:77]
	s_and_saveexec_b64 s[76:77], s[28:29]
	s_cbranch_execnz .LBB16_60
.LBB16_92:                              ;   in Loop: Header=BB16_43 Depth=1
	s_or_b64 exec, exec, s[76:77]
	s_and_saveexec_b64 s[76:77], s[30:31]
	s_cbranch_execz .LBB16_61
.LBB16_93:                              ;   in Loop: Header=BB16_43 Depth=1
	v_mov_b32_e32 v10, s93
	ds_read_b32 v10, v10
	s_waitcnt lgkmcnt(0)
	v_add_u32_e32 v7, v10, v7
	s_or_b64 exec, exec, s[76:77]
	s_and_saveexec_b64 s[76:77], s[34:35]
	s_cbranch_execnz .LBB16_62
.LBB16_94:                              ;   in Loop: Header=BB16_43 Depth=1
	s_or_b64 exec, exec, s[76:77]
	s_and_saveexec_b64 s[76:77], s[36:37]
	s_cbranch_execz .LBB16_63
.LBB16_95:                              ;   in Loop: Header=BB16_43 Depth=1
	v_mov_b32_e32 v10, s95
	ds_read_b32 v10, v10
	s_waitcnt lgkmcnt(0)
	v_add_u32_e32 v7, v10, v7
	s_or_b64 exec, exec, s[76:77]
	s_and_saveexec_b64 s[76:77], s[38:39]
	s_cbranch_execnz .LBB16_64
.LBB16_96:                              ;   in Loop: Header=BB16_43 Depth=1
	s_or_b64 exec, exec, s[76:77]
	s_and_saveexec_b64 s[76:77], s[40:41]
	s_cbranch_execz .LBB16_65
.LBB16_97:                              ;   in Loop: Header=BB16_43 Depth=1
	v_mov_b32_e32 v10, s97
	ds_read_b32 v10, v10
	s_waitcnt lgkmcnt(0)
	v_add_u32_e32 v7, v10, v7
	s_or_b64 exec, exec, s[76:77]
	s_and_saveexec_b64 s[76:77], s[42:43]
	s_cbranch_execnz .LBB16_66
.LBB16_98:                              ;   in Loop: Header=BB16_43 Depth=1
	s_or_b64 exec, exec, s[76:77]
	s_and_saveexec_b64 s[76:77], s[44:45]
	s_cbranch_execz .LBB16_67
.LBB16_99:                              ;   in Loop: Header=BB16_43 Depth=1
	v_mov_b32_e32 v10, s99
	ds_read_b32 v10, v10
	s_waitcnt lgkmcnt(0)
	v_add_u32_e32 v7, v10, v7
	s_or_b64 exec, exec, s[76:77]
	s_and_saveexec_b64 s[76:77], s[46:47]
	s_cbranch_execnz .LBB16_68
.LBB16_100:                             ;   in Loop: Header=BB16_43 Depth=1
	s_or_b64 exec, exec, s[76:77]
	s_and_saveexec_b64 s[76:77], s[48:49]
	s_cbranch_execz .LBB16_69
.LBB16_101:                             ;   in Loop: Header=BB16_43 Depth=1
	v_mov_b32_e32 v10, s71
	ds_read_b32 v10, v10
	s_waitcnt lgkmcnt(0)
	v_add_u32_e32 v7, v10, v7
	s_or_b64 exec, exec, s[76:77]
	s_and_saveexec_b64 s[76:77], s[50:51]
	s_cbranch_execnz .LBB16_70
.LBB16_102:                             ;   in Loop: Header=BB16_43 Depth=1
	s_or_b64 exec, exec, s[76:77]
	s_and_saveexec_b64 s[76:77], s[52:53]
	s_cbranch_execz .LBB16_71
.LBB16_103:                             ;   in Loop: Header=BB16_43 Depth=1
	v_mov_b32_e32 v10, s68
	ds_read_b32 v10, v10
	s_waitcnt lgkmcnt(0)
	v_add_u32_e32 v7, v10, v7
	s_or_b64 exec, exec, s[76:77]
	s_and_saveexec_b64 s[76:77], s[54:55]
	s_cbranch_execnz .LBB16_72
.LBB16_104:                             ;   in Loop: Header=BB16_43 Depth=1
	s_or_b64 exec, exec, s[76:77]
	s_and_saveexec_b64 s[76:77], s[56:57]
	s_cbranch_execz .LBB16_73
.LBB16_105:                             ;   in Loop: Header=BB16_43 Depth=1
	v_mov_b32_e32 v10, s67
	ds_read_b32 v10, v10
	s_waitcnt lgkmcnt(0)
	v_add_u32_e32 v7, v10, v7
	s_or_b64 exec, exec, s[76:77]
	s_and_saveexec_b64 s[76:77], s[58:59]
	s_cbranch_execnz .LBB16_74
.LBB16_106:                             ;   in Loop: Header=BB16_43 Depth=1
	s_or_b64 exec, exec, s[76:77]
	s_and_saveexec_b64 s[76:77], s[64:65]
	s_cbranch_execz .LBB16_75
.LBB16_107:                             ;   in Loop: Header=BB16_43 Depth=1
	v_add3_u32 v10, v5, -1, v7
	v_lshl_add_u32 v10, v10, 2, 0
	v_add_u32_e32 v11, 0x20000, v10
	ds_write_b32 v10, v8
	ds_write_b32 v11, v9
	s_or_b64 exec, exec, s[76:77]
	s_and_saveexec_b64 s[64:65], vcc
	s_cbranch_execz .LBB16_42
.LBB16_108:                             ;   in Loop: Header=BB16_43 Depth=1
	v_mov_b32_e32 v8, s78
	ds_write_b32 v8, v7
	s_branch .LBB16_42
.LBB16_109:
	s_or_b64 exec, exec, s[74:75]
	v_readlane_b32 s0, v22, 4
	v_readlane_b32 s1, v22, 5
	s_ashr_i32 s1, s0, 31
	s_lshl_b64 s[0:1], s[0:1], 2
	v_readlane_b32 s2, v22, 2
	v_readlane_b32 s3, v22, 3
	s_add_u32 s2, s2, s0
	s_addc_u32 s3, s3, s1
	s_load_dwordx2 s[0:1], s[2:3], 0x0
	s_waitcnt lgkmcnt(0)
	s_sub_i32 s14, s1, s0
	v_cmp_gt_i32_e32 vcc, s14, v0
	s_and_saveexec_b64 s[2:3], vcc
	s_cbranch_execz .LBB16_123
; %bb.110:
	s_sub_i32 s8, s0, s66
	v_sub_co_u32_e64 v1, s[0:1], s14, 2
	s_nop 0
	v_readfirstlane_b32 s2, v1
	s_lshr_b32 s2, s2, 1
	s_add_i32 s2, s2, 1
	s_xor_b64 s[0:1], s[0:1], -1
	s_and_b32 s15, s14, -2
	s_and_b32 s3, s2, 7
	s_and_b32 s16, s2, -8
	s_cmp_lg_u32 s3, 0
	v_cmp_lt_u32_e32 vcc, 13, v1
	s_cselect_b64 s[4:5], -1, 0
	s_cmp_lg_u32 s14, s15
	v_cndmask_b32_e64 v1, 0, 1, vcc
	s_cselect_b64 s[10:11], -1, 0
	s_lshl_b32 s17, s3, 3
	v_cndmask_b32_e64 v2, 0, 1, s[0:1]
	v_cmp_ne_u32_e64 s[2:3], 1, v1
	v_cndmask_b32_e64 v1, 0, 1, s[4:5]
	s_mov_b32 s9, 0
	s_mov_b64 s[12:13], 0
	v_cmp_ne_u32_e64 s[0:1], 1, v2
	v_cmp_ne_u32_e64 s[4:5], 1, v1
	s_branch .LBB16_112
.LBB16_111:                             ;   in Loop: Header=BB16_112 Depth=1
	v_readlane_b32 s6, v22, 0
	v_add_u32_e32 v0, 0x400, v0
	v_ashrrev_i32_e32 v3, 31, v2
	v_readlane_b32 s7, v22, 1
	v_cmp_le_i32_e32 vcc, s14, v0
	s_or_b64 s[12:13], vcc, s[12:13]
	v_lshl_add_u64 v[2:3], v[2:3], 2, s[6:7]
	s_waitcnt lgkmcnt(0)
	global_store_dword v[2:3], v1, off
	s_andn2_b64 exec, exec, s[12:13]
	s_cbranch_execz .LBB16_123
.LBB16_112:                             ; =>This Loop Header: Depth=1
                                        ;     Child Loop BB16_115 Depth 2
                                        ;     Child Loop BB16_118 Depth 2
	;; [unrolled: 1-line block ×3, first 2 shown]
	v_lshl_add_u32 v1, v0, 2, 0
	v_add_u32_e32 v2, 0x20000, v1
	ds_read_b32 v4, v1
	ds_read_b32 v1, v2
	s_and_b64 vcc, exec, s[0:1]
	v_mov_b32_e32 v2, s8
	s_mov_b32 s18, 0
	s_mov_b64 s[6:7], -1
	s_cbranch_vccnz .LBB16_120
; %bb.113:                              ;   in Loop: Header=BB16_112 Depth=1
	s_and_b64 vcc, exec, s[2:3]
	v_mov_b64_e32 v[2:3], s[8:9]
	s_cbranch_vccnz .LBB16_116
; %bb.114:                              ;   in Loop: Header=BB16_112 Depth=1
	s_mov_b32 s19, 0
	v_mov_b32_e32 v2, s8
	v_mov_b32_e32 v3, 0
	s_mov_b32 s20, s16
.LBB16_115:                             ;   Parent Loop BB16_112 Depth=1
                                        ; =>  This Inner Loop Header: Depth=2
	v_mov_b32_e32 v5, s19
	ds_read2_b32 v[6:7], v5 offset1:1
	ds_read2_b32 v[8:9], v5 offset0:2 offset1:3
	ds_read2_b32 v[10:11], v5 offset0:4 offset1:5
	;; [unrolled: 1-line block ×7, first 2 shown]
	s_waitcnt lgkmcnt(7)
	v_cmp_gt_i32_e32 vcc, v4, v7
	s_waitcnt lgkmcnt(5)
	v_cmp_gt_i32_e64 s[6:7], v4, v10
	s_add_i32 s18, s18, 16
	v_cndmask_b32_e64 v5, 0, 1, vcc
	v_cmp_gt_i32_e32 vcc, v4, v6
	v_cndmask_b32_e64 v7, 0, 1, s[6:7]
	v_cmp_gt_i32_e64 s[6:7], v4, v11
	v_cndmask_b32_e64 v6, 0, 1, vcc
	v_cmp_gt_i32_e32 vcc, v4, v9
	v_cndmask_b32_e64 v9, 0, 1, s[6:7]
	s_waitcnt lgkmcnt(3)
	v_cmp_gt_i32_e64 s[6:7], v4, v15
	v_addc_co_u32_e32 v3, vcc, v3, v5, vcc
	s_nop 0
	v_cndmask_b32_e64 v10, 0, 1, s[6:7]
	v_cmp_gt_i32_e64 s[6:7], v4, v14
	v_cmp_gt_i32_e32 vcc, v4, v12
	s_add_i32 s19, s19, 64
	v_cndmask_b32_e64 v11, 0, 1, s[6:7]
	s_waitcnt lgkmcnt(1)
	v_cmp_gt_i32_e64 s[6:7], v4, v18
	s_add_i32 s20, s20, -8
	s_cmp_lg_u32 s20, 0
	v_cndmask_b32_e64 v14, 0, 1, s[6:7]
	v_cmp_gt_i32_e64 s[6:7], v4, v19
	s_nop 1
	v_cndmask_b32_e64 v15, 0, 1, s[6:7]
	v_cmp_gt_i32_e64 s[6:7], v4, v8
	s_nop 1
	v_addc_co_u32_e64 v2, s[6:7], v2, v6, s[6:7]
	v_cmp_gt_i32_e64 s[6:7], v4, v13
	v_addc_co_u32_e32 v2, vcc, v2, v7, vcc
	s_nop 0
	v_addc_co_u32_e64 v3, s[6:7], v3, v9, s[6:7]
	v_cmp_gt_i32_e32 vcc, v4, v17
	v_cmp_gt_i32_e64 s[6:7], v4, v16
	s_nop 0
	v_addc_co_u32_e32 v3, vcc, v3, v10, vcc
	v_addc_co_u32_e64 v2, s[6:7], v2, v11, s[6:7]
	s_waitcnt lgkmcnt(0)
	v_cmp_gt_i32_e32 vcc, v4, v20
	v_cmp_gt_i32_e64 s[6:7], v4, v21
	s_nop 0
	v_addc_co_u32_e32 v2, vcc, v2, v14, vcc
	v_addc_co_u32_e64 v3, s[6:7], v3, v15, s[6:7]
	s_cbranch_scc1 .LBB16_115
.LBB16_116:                             ;   in Loop: Header=BB16_112 Depth=1
	s_and_b64 vcc, exec, s[4:5]
	s_cbranch_vccnz .LBB16_119
; %bb.117:                              ;   in Loop: Header=BB16_112 Depth=1
	s_lshl_b32 s6, s18, 2
	s_add_i32 s6, s6, 0
	s_mov_b32 s7, s17
.LBB16_118:                             ;   Parent Loop BB16_112 Depth=1
                                        ; =>  This Inner Loop Header: Depth=2
	v_mov_b32_e32 v5, s6
	ds_read2_b32 v[6:7], v5 offset1:1
	s_add_i32 s6, s6, 8
	s_add_i32 s7, s7, -8
	s_cmp_lg_u32 s7, 0
	s_waitcnt lgkmcnt(0)
	v_cmp_gt_i32_e32 vcc, v4, v7
	s_nop 1
	v_addc_co_u32_e32 v3, vcc, 0, v3, vcc
	v_cmp_gt_i32_e32 vcc, v4, v6
	s_nop 1
	v_addc_co_u32_e32 v2, vcc, 0, v2, vcc
	s_cbranch_scc1 .LBB16_118
.LBB16_119:                             ;   in Loop: Header=BB16_112 Depth=1
	v_add_u32_e32 v2, v2, v3
	s_mov_b32 s18, s15
	s_mov_b64 s[6:7], s[10:11]
.LBB16_120:                             ;   in Loop: Header=BB16_112 Depth=1
	s_and_b64 vcc, exec, s[6:7]
	s_cbranch_vccz .LBB16_111
; %bb.121:                              ;   in Loop: Header=BB16_112 Depth=1
	s_lshl_b32 s6, s18, 2
	s_add_i32 s6, s6, 0
.LBB16_122:                             ;   Parent Loop BB16_112 Depth=1
                                        ; =>  This Inner Loop Header: Depth=2
	v_mov_b32_e32 v3, s6
	ds_read_b32 v3, v3
	s_add_i32 s18, s18, 1
	s_add_i32 s6, s6, 4
	s_cmp_ge_i32 s18, s14
	s_waitcnt lgkmcnt(0)
	v_cmp_gt_i32_e32 vcc, v4, v3
	s_nop 1
	v_addc_co_u32_e32 v2, vcc, 0, v2, vcc
	s_cbranch_scc0 .LBB16_122
	s_branch .LBB16_111
.LBB16_123:
	s_endpgm
	.section	.rodata,"a",@progbits
	.p2align	6, 0x0
	.amdhsa_kernel _ZN9rocsparseL41csrgemm_numeric_fill_block_per_row_kernelILj1024ELj64ELj32768ELj137ELj32EiifEEvT5_PKS1_S3_NS_24const_host_device_scalarIT6_EEPKT4_S3_PKS5_S9_S3_SB_S6_S9_S3_SB_S9_S3_PS5_21rocsparse_index_base_SD_SD_SD_bbb
		.amdhsa_group_segment_fixed_size 0
		.amdhsa_private_segment_fixed_size 0
		.amdhsa_kernarg_size 156
		.amdhsa_user_sgpr_count 2
		.amdhsa_user_sgpr_dispatch_ptr 0
		.amdhsa_user_sgpr_queue_ptr 0
		.amdhsa_user_sgpr_kernarg_segment_ptr 1
		.amdhsa_user_sgpr_dispatch_id 0
		.amdhsa_user_sgpr_kernarg_preload_length 0
		.amdhsa_user_sgpr_kernarg_preload_offset 0
		.amdhsa_user_sgpr_private_segment_size 0
		.amdhsa_uses_dynamic_stack 0
		.amdhsa_enable_private_segment 0
		.amdhsa_system_sgpr_workgroup_id_x 1
		.amdhsa_system_sgpr_workgroup_id_y 0
		.amdhsa_system_sgpr_workgroup_id_z 0
		.amdhsa_system_sgpr_workgroup_info 0
		.amdhsa_system_vgpr_workitem_id 0
		.amdhsa_next_free_vgpr 23
		.amdhsa_next_free_sgpr 100
		.amdhsa_accum_offset 24
		.amdhsa_reserve_vcc 1
		.amdhsa_float_round_mode_32 0
		.amdhsa_float_round_mode_16_64 0
		.amdhsa_float_denorm_mode_32 3
		.amdhsa_float_denorm_mode_16_64 3
		.amdhsa_dx10_clamp 1
		.amdhsa_ieee_mode 1
		.amdhsa_fp16_overflow 0
		.amdhsa_tg_split 0
		.amdhsa_exception_fp_ieee_invalid_op 0
		.amdhsa_exception_fp_denorm_src 0
		.amdhsa_exception_fp_ieee_div_zero 0
		.amdhsa_exception_fp_ieee_overflow 0
		.amdhsa_exception_fp_ieee_underflow 0
		.amdhsa_exception_fp_ieee_inexact 0
		.amdhsa_exception_int_div_zero 0
	.end_amdhsa_kernel
	.section	.text._ZN9rocsparseL41csrgemm_numeric_fill_block_per_row_kernelILj1024ELj64ELj32768ELj137ELj32EiifEEvT5_PKS1_S3_NS_24const_host_device_scalarIT6_EEPKT4_S3_PKS5_S9_S3_SB_S6_S9_S3_SB_S9_S3_PS5_21rocsparse_index_base_SD_SD_SD_bbb,"axG",@progbits,_ZN9rocsparseL41csrgemm_numeric_fill_block_per_row_kernelILj1024ELj64ELj32768ELj137ELj32EiifEEvT5_PKS1_S3_NS_24const_host_device_scalarIT6_EEPKT4_S3_PKS5_S9_S3_SB_S6_S9_S3_SB_S9_S3_PS5_21rocsparse_index_base_SD_SD_SD_bbb,comdat
.Lfunc_end16:
	.size	_ZN9rocsparseL41csrgemm_numeric_fill_block_per_row_kernelILj1024ELj64ELj32768ELj137ELj32EiifEEvT5_PKS1_S3_NS_24const_host_device_scalarIT6_EEPKT4_S3_PKS5_S9_S3_SB_S6_S9_S3_SB_S9_S3_PS5_21rocsparse_index_base_SD_SD_SD_bbb, .Lfunc_end16-_ZN9rocsparseL41csrgemm_numeric_fill_block_per_row_kernelILj1024ELj64ELj32768ELj137ELj32EiifEEvT5_PKS1_S3_NS_24const_host_device_scalarIT6_EEPKT4_S3_PKS5_S9_S3_SB_S6_S9_S3_SB_S9_S3_PS5_21rocsparse_index_base_SD_SD_SD_bbb
                                        ; -- End function
	.set _ZN9rocsparseL41csrgemm_numeric_fill_block_per_row_kernelILj1024ELj64ELj32768ELj137ELj32EiifEEvT5_PKS1_S3_NS_24const_host_device_scalarIT6_EEPKT4_S3_PKS5_S9_S3_SB_S6_S9_S3_SB_S9_S3_PS5_21rocsparse_index_base_SD_SD_SD_bbb.num_vgpr, 23
	.set _ZN9rocsparseL41csrgemm_numeric_fill_block_per_row_kernelILj1024ELj64ELj32768ELj137ELj32EiifEEvT5_PKS1_S3_NS_24const_host_device_scalarIT6_EEPKT4_S3_PKS5_S9_S3_SB_S6_S9_S3_SB_S9_S3_PS5_21rocsparse_index_base_SD_SD_SD_bbb.num_agpr, 0
	.set _ZN9rocsparseL41csrgemm_numeric_fill_block_per_row_kernelILj1024ELj64ELj32768ELj137ELj32EiifEEvT5_PKS1_S3_NS_24const_host_device_scalarIT6_EEPKT4_S3_PKS5_S9_S3_SB_S6_S9_S3_SB_S9_S3_PS5_21rocsparse_index_base_SD_SD_SD_bbb.numbered_sgpr, 100
	.set _ZN9rocsparseL41csrgemm_numeric_fill_block_per_row_kernelILj1024ELj64ELj32768ELj137ELj32EiifEEvT5_PKS1_S3_NS_24const_host_device_scalarIT6_EEPKT4_S3_PKS5_S9_S3_SB_S6_S9_S3_SB_S9_S3_PS5_21rocsparse_index_base_SD_SD_SD_bbb.num_named_barrier, 0
	.set _ZN9rocsparseL41csrgemm_numeric_fill_block_per_row_kernelILj1024ELj64ELj32768ELj137ELj32EiifEEvT5_PKS1_S3_NS_24const_host_device_scalarIT6_EEPKT4_S3_PKS5_S9_S3_SB_S6_S9_S3_SB_S9_S3_PS5_21rocsparse_index_base_SD_SD_SD_bbb.private_seg_size, 0
	.set _ZN9rocsparseL41csrgemm_numeric_fill_block_per_row_kernelILj1024ELj64ELj32768ELj137ELj32EiifEEvT5_PKS1_S3_NS_24const_host_device_scalarIT6_EEPKT4_S3_PKS5_S9_S3_SB_S6_S9_S3_SB_S9_S3_PS5_21rocsparse_index_base_SD_SD_SD_bbb.uses_vcc, 1
	.set _ZN9rocsparseL41csrgemm_numeric_fill_block_per_row_kernelILj1024ELj64ELj32768ELj137ELj32EiifEEvT5_PKS1_S3_NS_24const_host_device_scalarIT6_EEPKT4_S3_PKS5_S9_S3_SB_S6_S9_S3_SB_S9_S3_PS5_21rocsparse_index_base_SD_SD_SD_bbb.uses_flat_scratch, 0
	.set _ZN9rocsparseL41csrgemm_numeric_fill_block_per_row_kernelILj1024ELj64ELj32768ELj137ELj32EiifEEvT5_PKS1_S3_NS_24const_host_device_scalarIT6_EEPKT4_S3_PKS5_S9_S3_SB_S6_S9_S3_SB_S9_S3_PS5_21rocsparse_index_base_SD_SD_SD_bbb.has_dyn_sized_stack, 0
	.set _ZN9rocsparseL41csrgemm_numeric_fill_block_per_row_kernelILj1024ELj64ELj32768ELj137ELj32EiifEEvT5_PKS1_S3_NS_24const_host_device_scalarIT6_EEPKT4_S3_PKS5_S9_S3_SB_S6_S9_S3_SB_S9_S3_PS5_21rocsparse_index_base_SD_SD_SD_bbb.has_recursion, 0
	.set _ZN9rocsparseL41csrgemm_numeric_fill_block_per_row_kernelILj1024ELj64ELj32768ELj137ELj32EiifEEvT5_PKS1_S3_NS_24const_host_device_scalarIT6_EEPKT4_S3_PKS5_S9_S3_SB_S6_S9_S3_SB_S9_S3_PS5_21rocsparse_index_base_SD_SD_SD_bbb.has_indirect_call, 0
	.section	.AMDGPU.csdata,"",@progbits
; Kernel info:
; codeLenInByte = 4656
; TotalNumSgprs: 106
; NumVgprs: 23
; NumAgprs: 0
; TotalNumVgprs: 23
; ScratchSize: 0
; MemoryBound: 0
; FloatMode: 240
; IeeeMode: 1
; LDSByteSize: 0 bytes/workgroup (compile time only)
; SGPRBlocks: 13
; VGPRBlocks: 2
; NumSGPRsForWavesPerEU: 106
; NumVGPRsForWavesPerEU: 23
; AccumOffset: 24
; Occupancy: 7
; WaveLimiterHint : 1
; COMPUTE_PGM_RSRC2:SCRATCH_EN: 0
; COMPUTE_PGM_RSRC2:USER_SGPR: 2
; COMPUTE_PGM_RSRC2:TRAP_HANDLER: 0
; COMPUTE_PGM_RSRC2:TGID_X_EN: 1
; COMPUTE_PGM_RSRC2:TGID_Y_EN: 0
; COMPUTE_PGM_RSRC2:TGID_Z_EN: 0
; COMPUTE_PGM_RSRC2:TIDIG_COMP_CNT: 0
; COMPUTE_PGM_RSRC3_GFX90A:ACCUM_OFFSET: 5
; COMPUTE_PGM_RSRC3_GFX90A:TG_SPLIT: 0
	.section	.text._ZN9rocsparseL41csrgemm_numeric_fill_block_per_row_kernelILj1024ELj64ELj32768ELj137ELj64EiifEEvT5_PKS1_S3_NS_24const_host_device_scalarIT6_EEPKT4_S3_PKS5_S9_S3_SB_S6_S9_S3_SB_S9_S3_PS5_21rocsparse_index_base_SD_SD_SD_bbb,"axG",@progbits,_ZN9rocsparseL41csrgemm_numeric_fill_block_per_row_kernelILj1024ELj64ELj32768ELj137ELj64EiifEEvT5_PKS1_S3_NS_24const_host_device_scalarIT6_EEPKT4_S3_PKS5_S9_S3_SB_S6_S9_S3_SB_S9_S3_PS5_21rocsparse_index_base_SD_SD_SD_bbb,comdat
	.globl	_ZN9rocsparseL41csrgemm_numeric_fill_block_per_row_kernelILj1024ELj64ELj32768ELj137ELj64EiifEEvT5_PKS1_S3_NS_24const_host_device_scalarIT6_EEPKT4_S3_PKS5_S9_S3_SB_S6_S9_S3_SB_S9_S3_PS5_21rocsparse_index_base_SD_SD_SD_bbb ; -- Begin function _ZN9rocsparseL41csrgemm_numeric_fill_block_per_row_kernelILj1024ELj64ELj32768ELj137ELj64EiifEEvT5_PKS1_S3_NS_24const_host_device_scalarIT6_EEPKT4_S3_PKS5_S9_S3_SB_S6_S9_S3_SB_S9_S3_PS5_21rocsparse_index_base_SD_SD_SD_bbb
	.p2align	8
	.type	_ZN9rocsparseL41csrgemm_numeric_fill_block_per_row_kernelILj1024ELj64ELj32768ELj137ELj64EiifEEvT5_PKS1_S3_NS_24const_host_device_scalarIT6_EEPKT4_S3_PKS5_S9_S3_SB_S6_S9_S3_SB_S9_S3_PS5_21rocsparse_index_base_SD_SD_SD_bbb,@function
_ZN9rocsparseL41csrgemm_numeric_fill_block_per_row_kernelILj1024ELj64ELj32768ELj137ELj64EiifEEvT5_PKS1_S3_NS_24const_host_device_scalarIT6_EEPKT4_S3_PKS5_S9_S3_SB_S6_S9_S3_SB_S9_S3_PS5_21rocsparse_index_base_SD_SD_SD_bbb: ; @_ZN9rocsparseL41csrgemm_numeric_fill_block_per_row_kernelILj1024ELj64ELj32768ELj137ELj64EiifEEvT5_PKS1_S3_NS_24const_host_device_scalarIT6_EEPKT4_S3_PKS5_S9_S3_SB_S6_S9_S3_SB_S9_S3_PS5_21rocsparse_index_base_SD_SD_SD_bbb
; %bb.0:
	s_load_dword s3, s[0:1], 0x98
	s_load_dwordx4 s[36:39], s[0:1], 0x88
	s_load_dwordx2 s[4:5], s[0:1], 0x18
	s_load_dwordx2 s[16:17], s[0:1], 0x50
	s_waitcnt lgkmcnt(0)
	s_bitcmp1_b32 s3, 0
	s_cselect_b64 s[6:7], -1, 0
	s_bitcmp1_b32 s3, 16
	s_cselect_b64 s[18:19], -1, 0
	s_xor_b64 s[8:9], s[6:7], -1
	s_or_b64 s[8:9], s[18:19], s[8:9]
	s_and_b64 vcc, exec, s[8:9]
	s_cbranch_vccnz .LBB17_2
; %bb.1:
	s_load_dword s4, s[4:5], 0x0
	s_waitcnt lgkmcnt(0)
	v_mov_b32_e32 v9, s4
	s_branch .LBB17_3
.LBB17_2:
	v_mov_b32_e32 v1, s4
	v_cndmask_b32_e64 v9, 0, v1, s[6:7]
.LBB17_3:
	s_load_dwordx2 s[34:35], s[0:1], 0x80
	s_load_dwordx2 s[40:41], s[0:1], 0x70
	;; [unrolled: 1-line block ×3, first 2 shown]
	s_load_dwordx4 s[24:27], s[0:1], 0x8
	s_load_dwordx8 s[8:15], s[0:1], 0x20
	s_bitcmp1_b32 s3, 8
	s_cselect_b64 s[4:5], -1, 0
	s_xor_b64 s[20:21], s[4:5], -1
	s_or_b64 s[18:19], s[18:19], s[20:21]
	s_and_b64 vcc, exec, s[18:19]
	s_cbranch_vccnz .LBB17_5
; %bb.4:
	s_load_dword s3, s[16:17], 0x0
	s_waitcnt lgkmcnt(0)
	v_mov_b32_e32 v7, s3
	s_branch .LBB17_6
.LBB17_5:
	v_mov_b32_e32 v1, s16
	v_cndmask_b32_e64 v7, 0, v1, s[4:5]
.LBB17_6:
	s_load_dwordx4 s[20:23], s[0:1], 0x40
	s_load_dword s33, s[0:1], 0x0
	s_load_dwordx4 s[16:19], s[0:1], 0x60
	v_or_b32_e32 v1, 0xfffffc00, v0
	v_lshl_add_u32 v6, v0, 2, 0
	s_mov_b64 s[0:1], 0
	s_waitcnt lgkmcnt(0)
	v_mov_b32_e32 v5, s33
	v_mov_b32_e32 v2, 0
	s_movk_i32 s3, 0x7bff
	v_mov_b32_e32 v3, v6
	v_mov_b32_e32 v4, v1
.LBB17_7:                               ; =>This Inner Loop Header: Depth=1
	v_add_u32_e32 v4, 0x400, v4
	v_cmp_lt_u32_e32 vcc, s3, v4
	ds_write_b32 v3, v5
	v_add_u32_e32 v8, 0x20000, v3
	v_add_u32_e32 v3, 0x1000, v3
	s_or_b64 s[0:1], vcc, s[0:1]
	ds_write_b32 v8, v2
	s_andn2_b64 exec, exec, s[0:1]
	s_cbranch_execnz .LBB17_7
; %bb.8:
	s_or_b64 exec, exec, s[0:1]
	s_waitcnt lgkmcnt(0)
	s_barrier
	s_load_dword s0, s[24:25], 0x0
	s_mov_b32 s1, 0
	v_lshrrev_b32_e32 v8, 6, v0
	s_waitcnt lgkmcnt(0)
	s_add_i32 s0, s0, s2
	s_lshl_b64 s[0:1], s[0:1], 2
	s_add_u32 s0, s26, s0
	s_addc_u32 s1, s27, s1
	s_load_dword s42, s[0:1], 0x0
	s_and_b64 vcc, exec, s[6:7]
	s_cbranch_vccz .LBB17_26
; %bb.9:
	s_waitcnt lgkmcnt(0)
	s_ashr_i32 s43, s42, 31
	s_lshl_b64 s[0:1], s[42:43], 2
	s_add_u32 s0, s8, s0
	s_addc_u32 s1, s9, s1
	s_load_dwordx2 s[2:3], s[0:1], 0x0
	v_subrev_u32_e32 v2, s36, v8
	s_waitcnt lgkmcnt(0)
	s_sub_i32 s43, s3, s36
	v_add_u32_e32 v2, s2, v2
	v_cmp_gt_i32_e32 vcc, s43, v2
	s_and_saveexec_b64 s[0:1], vcc
	s_cbranch_execz .LBB17_25
; %bb.10:
	v_and_b32_e32 v3, 63, v0
	v_subrev_u32_e32 v10, s37, v3
	s_mov_b64 s[2:3], 0
	s_movk_i32 s48, 0x89
	s_branch .LBB17_12
.LBB17_11:                              ;   in Loop: Header=BB17_12 Depth=1
	s_or_b64 exec, exec, s[6:7]
	v_add_u32_e32 v2, 16, v2
	v_cmp_le_i32_e32 vcc, s43, v2
	s_or_b64 s[2:3], vcc, s[2:3]
	s_andn2_b64 exec, exec, s[2:3]
	s_cbranch_execz .LBB17_25
.LBB17_12:                              ; =>This Loop Header: Depth=1
                                        ;     Child Loop BB17_16 Depth 2
                                        ;       Child Loop BB17_19 Depth 3
	v_ashrrev_i32_e32 v3, 31, v2
	v_lshl_add_u64 v[4:5], v[2:3], 2, s[10:11]
	global_load_dword v4, v[4:5], off
	s_waitcnt vmcnt(0)
	v_subrev_u32_e32 v4, s36, v4
	v_ashrrev_i32_e32 v5, 31, v4
	v_lshl_add_u64 v[4:5], v[4:5], 2, s[14:15]
	global_load_dwordx2 v[4:5], v[4:5], off
	s_waitcnt vmcnt(0)
	v_subrev_u32_e32 v11, s37, v5
	v_add_u32_e32 v4, v4, v10
	v_cmp_lt_i32_e32 vcc, v4, v11
	s_and_saveexec_b64 s[6:7], vcc
	s_cbranch_execz .LBB17_11
; %bb.13:                               ;   in Loop: Header=BB17_12 Depth=1
	v_lshl_add_u64 v[12:13], v[2:3], 2, s[12:13]
	global_load_dword v3, v[12:13], off
	s_mov_b64 s[8:9], 0
	s_waitcnt vmcnt(0)
	v_mul_f32_e32 v3, v9, v3
	s_branch .LBB17_16
.LBB17_14:                              ;   in Loop: Header=BB17_16 Depth=2
	s_or_b64 exec, exec, s[26:27]
.LBB17_15:                              ;   in Loop: Header=BB17_16 Depth=2
	s_or_b64 exec, exec, s[24:25]
	v_lshl_add_u32 v12, v12, 2, 0
	s_waitcnt vmcnt(0)
	v_mul_f32_e32 v5, v3, v5
	v_add_u32_e32 v12, 0x20000, v12
	ds_add_f32 v12, v5
	v_add_u32_e32 v4, 64, v4
	v_cmp_ge_i32_e32 vcc, v4, v11
	s_or_b64 s[8:9], vcc, s[8:9]
	s_andn2_b64 exec, exec, s[8:9]
	s_cbranch_execz .LBB17_11
.LBB17_16:                              ;   Parent Loop BB17_12 Depth=1
                                        ; =>  This Loop Header: Depth=2
                                        ;       Child Loop BB17_19 Depth 3
	v_ashrrev_i32_e32 v5, 31, v4
	v_lshlrev_b64 v[12:13], 2, v[4:5]
	v_lshl_add_u64 v[14:15], s[20:21], 0, v[12:13]
	global_load_dword v14, v[14:15], off
	v_lshl_add_u64 v[12:13], s[22:23], 0, v[12:13]
	global_load_dword v5, v[12:13], off
	s_waitcnt vmcnt(1)
	v_subrev_u32_e32 v13, s37, v14
	v_mul_lo_u32 v12, v13, s48
	v_and_b32_e32 v12, 0x7fff, v12
	v_lshl_add_u32 v14, v12, 2, 0
	ds_read_b32 v15, v14
	s_waitcnt lgkmcnt(0)
	v_cmp_ne_u32_e32 vcc, v15, v13
	s_and_saveexec_b64 s[24:25], vcc
	s_cbranch_execz .LBB17_15
; %bb.17:                               ;   in Loop: Header=BB17_16 Depth=2
	s_mov_b64 s[26:27], 0
	s_branch .LBB17_19
.LBB17_18:                              ;   in Loop: Header=BB17_19 Depth=3
	s_or_b64 exec, exec, s[46:47]
	s_and_b64 s[30:31], exec, s[44:45]
	s_or_b64 s[26:27], s[30:31], s[26:27]
	s_andn2_b64 exec, exec, s[26:27]
	s_cbranch_execz .LBB17_14
.LBB17_19:                              ;   Parent Loop BB17_12 Depth=1
                                        ;     Parent Loop BB17_16 Depth=2
                                        ; =>    This Inner Loop Header: Depth=3
	v_cmp_ne_u32_e32 vcc, s33, v15
	s_mov_b64 s[30:31], 0
	s_and_saveexec_b64 s[44:45], vcc
	s_xor_b64 s[44:45], exec, s[44:45]
	s_cbranch_execz .LBB17_21
; %bb.20:                               ;   in Loop: Header=BB17_19 Depth=3
	v_add_u32_e32 v12, 1, v12
	s_mov_b64 s[30:31], exec
	v_and_b32_e32 v12, 0x7fff, v12
                                        ; implicit-def: $vgpr14
	s_andn2_saveexec_b64 s[44:45], s[44:45]
	s_cbranch_execz .LBB17_23
	s_branch .LBB17_22
.LBB17_21:                              ;   in Loop: Header=BB17_19 Depth=3
	s_andn2_saveexec_b64 s[44:45], s[44:45]
	s_cbranch_execz .LBB17_23
.LBB17_22:                              ;   in Loop: Header=BB17_19 Depth=3
	v_mov_b32_e32 v15, s33
	ds_cmpst_rtn_b32 v14, v14, v15, v13
	s_andn2_b64 s[30:31], s[30:31], exec
	s_waitcnt lgkmcnt(0)
	v_cmp_ne_u32_e32 vcc, s33, v14
	s_and_b64 s[46:47], vcc, exec
	s_or_b64 s[30:31], s[30:31], s[46:47]
.LBB17_23:                              ;   in Loop: Header=BB17_19 Depth=3
	s_or_b64 exec, exec, s[44:45]
	s_mov_b64 s[44:45], -1
                                        ; implicit-def: $vgpr14
                                        ; implicit-def: $vgpr15
	s_and_saveexec_b64 s[46:47], s[30:31]
	s_cbranch_execz .LBB17_18
; %bb.24:                               ;   in Loop: Header=BB17_19 Depth=3
	v_lshl_add_u32 v14, v12, 2, 0
	ds_read_b32 v15, v14
	s_waitcnt lgkmcnt(0)
	v_cmp_eq_u32_e32 vcc, v15, v13
	s_orn2_b64 s[44:45], vcc, exec
	s_branch .LBB17_18
.LBB17_25:
	s_or_b64 exec, exec, s[0:1]
.LBB17_26:
	s_andn2_b64 vcc, exec, s[4:5]
	s_cbranch_vccnz .LBB17_41
; %bb.27:
	s_waitcnt lgkmcnt(0)
	s_ashr_i32 s43, s42, 31
	s_lshl_b64 s[0:1], s[42:43], 2
	s_add_u32 s0, s28, s0
	s_addc_u32 s1, s29, s1
	s_load_dwordx2 s[2:3], s[0:1], 0x0
	v_subrev_u32_e32 v2, s39, v0
	s_waitcnt lgkmcnt(0)
	s_sub_i32 s14, s3, s39
	v_add_u32_e32 v2, s2, v2
	v_cmp_gt_i32_e32 vcc, s14, v2
	s_and_saveexec_b64 s[0:1], vcc
	s_cbranch_execz .LBB17_40
; %bb.28:
	s_mov_b64 s[2:3], 0
	s_movk_i32 s15, 0x89
	s_branch .LBB17_31
.LBB17_29:                              ;   in Loop: Header=BB17_31 Depth=1
	s_or_b64 exec, exec, s[6:7]
.LBB17_30:                              ;   in Loop: Header=BB17_31 Depth=1
	s_or_b64 exec, exec, s[4:5]
	v_lshl_add_u32 v4, v4, 2, 0
	s_waitcnt vmcnt(0)
	v_mul_f32_e32 v3, v7, v3
	v_add_u32_e32 v4, 0x20000, v4
	ds_add_f32 v4, v3
	v_add_u32_e32 v2, 0x400, v2
	v_cmp_le_i32_e32 vcc, s14, v2
	s_or_b64 s[2:3], vcc, s[2:3]
	s_andn2_b64 exec, exec, s[2:3]
	s_cbranch_execz .LBB17_40
.LBB17_31:                              ; =>This Loop Header: Depth=1
                                        ;     Child Loop BB17_34 Depth 2
	v_ashrrev_i32_e32 v3, 31, v2
	v_lshlrev_b64 v[4:5], 2, v[2:3]
	v_lshl_add_u64 v[10:11], s[16:17], 0, v[4:5]
	global_load_dword v9, v[10:11], off
	v_lshl_add_u64 v[4:5], s[18:19], 0, v[4:5]
	global_load_dword v3, v[4:5], off
	s_waitcnt vmcnt(1)
	v_subrev_u32_e32 v5, s39, v9
	v_mul_lo_u32 v4, v5, s15
	v_and_b32_e32 v4, 0x7fff, v4
	v_lshl_add_u32 v9, v4, 2, 0
	ds_read_b32 v10, v9
	s_waitcnt lgkmcnt(0)
	v_cmp_ne_u32_e32 vcc, v10, v5
	s_and_saveexec_b64 s[4:5], vcc
	s_cbranch_execz .LBB17_30
; %bb.32:                               ;   in Loop: Header=BB17_31 Depth=1
	s_mov_b64 s[6:7], 0
	s_branch .LBB17_34
.LBB17_33:                              ;   in Loop: Header=BB17_34 Depth=2
	s_or_b64 exec, exec, s[12:13]
	s_and_b64 s[8:9], exec, s[10:11]
	s_or_b64 s[6:7], s[8:9], s[6:7]
	s_andn2_b64 exec, exec, s[6:7]
	s_cbranch_execz .LBB17_29
.LBB17_34:                              ;   Parent Loop BB17_31 Depth=1
                                        ; =>  This Inner Loop Header: Depth=2
	v_cmp_ne_u32_e32 vcc, s33, v10
	s_mov_b64 s[8:9], 0
	s_and_saveexec_b64 s[10:11], vcc
	s_xor_b64 s[10:11], exec, s[10:11]
	s_cbranch_execz .LBB17_36
; %bb.35:                               ;   in Loop: Header=BB17_34 Depth=2
	v_add_u32_e32 v4, 1, v4
	s_mov_b64 s[8:9], exec
	v_and_b32_e32 v4, 0x7fff, v4
                                        ; implicit-def: $vgpr9
	s_andn2_saveexec_b64 s[10:11], s[10:11]
	s_cbranch_execz .LBB17_38
	s_branch .LBB17_37
.LBB17_36:                              ;   in Loop: Header=BB17_34 Depth=2
	s_andn2_saveexec_b64 s[10:11], s[10:11]
	s_cbranch_execz .LBB17_38
.LBB17_37:                              ;   in Loop: Header=BB17_34 Depth=2
	v_mov_b32_e32 v10, s33
	ds_cmpst_rtn_b32 v9, v9, v10, v5
	s_andn2_b64 s[8:9], s[8:9], exec
	s_waitcnt lgkmcnt(0)
	v_cmp_ne_u32_e32 vcc, s33, v9
	s_and_b64 s[12:13], vcc, exec
	s_or_b64 s[8:9], s[8:9], s[12:13]
.LBB17_38:                              ;   in Loop: Header=BB17_34 Depth=2
	s_or_b64 exec, exec, s[10:11]
	s_mov_b64 s[10:11], -1
                                        ; implicit-def: $vgpr9
                                        ; implicit-def: $vgpr10
	s_and_saveexec_b64 s[12:13], s[8:9]
	s_cbranch_execz .LBB17_33
; %bb.39:                               ;   in Loop: Header=BB17_34 Depth=2
	v_lshl_add_u32 v9, v4, 2, 0
	ds_read_b32 v10, v9
	s_waitcnt lgkmcnt(0)
	v_cmp_eq_u32_e32 vcc, v10, v5
	s_orn2_b64 s[10:11], vcc, exec
	s_branch .LBB17_33
.LBB17_40:
	s_or_b64 exec, exec, s[0:1]
.LBB17_41:
	v_mbcnt_lo_u32_b32 v2, -1, 0
	v_mbcnt_hi_u32_b32 v2, -1, v2
	v_sub_u32_e32 v2, 63, v2
	s_add_i32 s39, 0, 0x40000
	s_movk_i32 s0, 0x3ff
	s_movk_i32 s2, 0x7f
	;; [unrolled: 1-line block ×15, first 2 shown]
	s_add_i32 s59, 0, 0x4003c
	v_lshrrev_b64 v[2:3], v2, -1
	v_lshl_add_u32 v4, v8, 2, s39
	v_cmp_eq_u32_e32 vcc, s0, v0
	v_cmp_lt_u32_e64 s[0:1], 63, v0
	v_cmp_lt_u32_e64 s[2:3], s2, v0
	;; [unrolled: 1-line block ×15, first 2 shown]
	s_mov_b64 s[36:37], 0
	v_mov_b32_e32 v5, 0
	s_add_i32 s43, 0, 0x40004
	s_add_i32 s46, 0, 0x40008
	;; [unrolled: 1-line block ×14, first 2 shown]
	v_mov_b32_e32 v7, s59
	s_movk_i32 s60, 0x7bff
	s_waitcnt lgkmcnt(0)
	s_barrier
	s_branch .LBB17_43
.LBB17_42:                              ;   in Loop: Header=BB17_43 Depth=1
	s_or_b64 exec, exec, s[30:31]
	s_waitcnt lgkmcnt(0)
	s_barrier
	ds_read_b32 v8, v7
	v_add_u32_e32 v1, 0x400, v1
	v_cmp_lt_u32_e64 s[30:31], s60, v1
	s_or_b64 s[36:37], s[30:31], s[36:37]
	v_add_u32_e32 v6, 0x1000, v6
	s_waitcnt lgkmcnt(0)
	v_add_u32_e32 v5, v8, v5
	s_andn2_b64 exec, exec, s[36:37]
	s_cbranch_execz .LBB17_77
.LBB17_43:                              ; =>This Inner Loop Header: Depth=1
	ds_read_b32 v9, v6
	v_add_u32_e32 v8, 0x20000, v6
	ds_read_b32 v10, v8
	s_waitcnt lgkmcnt(0)
	s_barrier
	v_cmp_gt_i32_e64 s[30:31], s33, v9
	s_bcnt1_i32_b64 s44, s[30:31]
	s_nop 0
	v_and_b32_e32 v11, s30, v2
	v_and_b32_e32 v8, s31, v3
	v_bcnt_u32_b32 v11, v11, 0
	v_bcnt_u32_b32 v8, v8, v11
	v_mov_b32_e32 v11, s44
	ds_write_b32 v4, v11
	s_waitcnt lgkmcnt(0)
	s_barrier
	s_and_saveexec_b64 s[44:45], s[0:1]
	s_cbranch_execz .LBB17_60
; %bb.44:                               ;   in Loop: Header=BB17_43 Depth=1
	v_mov_b32_e32 v11, s39
	ds_read_b32 v11, v11
	s_waitcnt lgkmcnt(0)
	v_add_u32_e32 v8, v11, v8
	s_or_b64 exec, exec, s[44:45]
	s_and_saveexec_b64 s[44:45], s[2:3]
	s_cbranch_execnz .LBB17_61
.LBB17_45:                              ;   in Loop: Header=BB17_43 Depth=1
	s_or_b64 exec, exec, s[44:45]
	s_and_saveexec_b64 s[44:45], s[4:5]
	s_cbranch_execz .LBB17_62
.LBB17_46:                              ;   in Loop: Header=BB17_43 Depth=1
	v_mov_b32_e32 v11, s46
	ds_read_b32 v11, v11
	s_waitcnt lgkmcnt(0)
	v_add_u32_e32 v8, v11, v8
	s_or_b64 exec, exec, s[44:45]
	s_and_saveexec_b64 s[44:45], s[6:7]
	s_cbranch_execnz .LBB17_63
.LBB17_47:                              ;   in Loop: Header=BB17_43 Depth=1
	s_or_b64 exec, exec, s[44:45]
	s_and_saveexec_b64 s[44:45], s[8:9]
	s_cbranch_execz .LBB17_64
.LBB17_48:                              ;   in Loop: Header=BB17_43 Depth=1
	v_mov_b32_e32 v11, s48
	ds_read_b32 v11, v11
	s_waitcnt lgkmcnt(0)
	v_add_u32_e32 v8, v11, v8
	s_or_b64 exec, exec, s[44:45]
	s_and_saveexec_b64 s[44:45], s[10:11]
	s_cbranch_execnz .LBB17_65
.LBB17_49:                              ;   in Loop: Header=BB17_43 Depth=1
	s_or_b64 exec, exec, s[44:45]
	s_and_saveexec_b64 s[44:45], s[12:13]
	s_cbranch_execz .LBB17_66
.LBB17_50:                              ;   in Loop: Header=BB17_43 Depth=1
	v_mov_b32_e32 v11, s50
	ds_read_b32 v11, v11
	s_waitcnt lgkmcnt(0)
	v_add_u32_e32 v8, v11, v8
	s_or_b64 exec, exec, s[44:45]
	s_and_saveexec_b64 s[44:45], s[14:15]
	s_cbranch_execnz .LBB17_67
.LBB17_51:                              ;   in Loop: Header=BB17_43 Depth=1
	s_or_b64 exec, exec, s[44:45]
	s_and_saveexec_b64 s[44:45], s[16:17]
	s_cbranch_execz .LBB17_68
.LBB17_52:                              ;   in Loop: Header=BB17_43 Depth=1
	v_mov_b32_e32 v11, s52
	ds_read_b32 v11, v11
	s_waitcnt lgkmcnt(0)
	v_add_u32_e32 v8, v11, v8
	s_or_b64 exec, exec, s[44:45]
	s_and_saveexec_b64 s[44:45], s[18:19]
	s_cbranch_execnz .LBB17_69
.LBB17_53:                              ;   in Loop: Header=BB17_43 Depth=1
	s_or_b64 exec, exec, s[44:45]
	s_and_saveexec_b64 s[44:45], s[20:21]
	s_cbranch_execz .LBB17_70
.LBB17_54:                              ;   in Loop: Header=BB17_43 Depth=1
	v_mov_b32_e32 v11, s54
	ds_read_b32 v11, v11
	s_waitcnt lgkmcnt(0)
	v_add_u32_e32 v8, v11, v8
	s_or_b64 exec, exec, s[44:45]
	s_and_saveexec_b64 s[44:45], s[22:23]
	s_cbranch_execnz .LBB17_71
.LBB17_55:                              ;   in Loop: Header=BB17_43 Depth=1
	s_or_b64 exec, exec, s[44:45]
	s_and_saveexec_b64 s[44:45], s[24:25]
	s_cbranch_execz .LBB17_72
.LBB17_56:                              ;   in Loop: Header=BB17_43 Depth=1
	v_mov_b32_e32 v11, s56
	ds_read_b32 v11, v11
	s_waitcnt lgkmcnt(0)
	v_add_u32_e32 v8, v11, v8
	s_or_b64 exec, exec, s[44:45]
	s_and_saveexec_b64 s[44:45], s[26:27]
	s_cbranch_execnz .LBB17_73
.LBB17_57:                              ;   in Loop: Header=BB17_43 Depth=1
	s_or_b64 exec, exec, s[44:45]
	s_and_saveexec_b64 s[44:45], s[28:29]
	s_cbranch_execz .LBB17_74
.LBB17_58:                              ;   in Loop: Header=BB17_43 Depth=1
	v_mov_b32_e32 v11, s58
	ds_read_b32 v11, v11
	s_waitcnt lgkmcnt(0)
	v_add_u32_e32 v8, v11, v8
	s_or_b64 exec, exec, s[44:45]
	s_and_saveexec_b64 s[44:45], s[30:31]
	s_cbranch_execnz .LBB17_75
.LBB17_59:                              ;   in Loop: Header=BB17_43 Depth=1
	s_or_b64 exec, exec, s[44:45]
	s_and_saveexec_b64 s[30:31], vcc
	s_cbranch_execz .LBB17_42
	s_branch .LBB17_76
.LBB17_60:                              ;   in Loop: Header=BB17_43 Depth=1
	s_or_b64 exec, exec, s[44:45]
	s_and_saveexec_b64 s[44:45], s[2:3]
	s_cbranch_execz .LBB17_45
.LBB17_61:                              ;   in Loop: Header=BB17_43 Depth=1
	v_mov_b32_e32 v11, s43
	ds_read_b32 v11, v11
	s_waitcnt lgkmcnt(0)
	v_add_u32_e32 v8, v11, v8
	s_or_b64 exec, exec, s[44:45]
	s_and_saveexec_b64 s[44:45], s[4:5]
	s_cbranch_execnz .LBB17_46
.LBB17_62:                              ;   in Loop: Header=BB17_43 Depth=1
	s_or_b64 exec, exec, s[44:45]
	s_and_saveexec_b64 s[44:45], s[6:7]
	s_cbranch_execz .LBB17_47
.LBB17_63:                              ;   in Loop: Header=BB17_43 Depth=1
	v_mov_b32_e32 v11, s47
	ds_read_b32 v11, v11
	s_waitcnt lgkmcnt(0)
	v_add_u32_e32 v8, v11, v8
	s_or_b64 exec, exec, s[44:45]
	s_and_saveexec_b64 s[44:45], s[8:9]
	s_cbranch_execnz .LBB17_48
.LBB17_64:                              ;   in Loop: Header=BB17_43 Depth=1
	s_or_b64 exec, exec, s[44:45]
	s_and_saveexec_b64 s[44:45], s[10:11]
	s_cbranch_execz .LBB17_49
.LBB17_65:                              ;   in Loop: Header=BB17_43 Depth=1
	v_mov_b32_e32 v11, s49
	ds_read_b32 v11, v11
	s_waitcnt lgkmcnt(0)
	v_add_u32_e32 v8, v11, v8
	s_or_b64 exec, exec, s[44:45]
	s_and_saveexec_b64 s[44:45], s[12:13]
	s_cbranch_execnz .LBB17_50
.LBB17_66:                              ;   in Loop: Header=BB17_43 Depth=1
	s_or_b64 exec, exec, s[44:45]
	s_and_saveexec_b64 s[44:45], s[14:15]
	s_cbranch_execz .LBB17_51
.LBB17_67:                              ;   in Loop: Header=BB17_43 Depth=1
	v_mov_b32_e32 v11, s51
	ds_read_b32 v11, v11
	s_waitcnt lgkmcnt(0)
	v_add_u32_e32 v8, v11, v8
	s_or_b64 exec, exec, s[44:45]
	s_and_saveexec_b64 s[44:45], s[16:17]
	s_cbranch_execnz .LBB17_52
.LBB17_68:                              ;   in Loop: Header=BB17_43 Depth=1
	s_or_b64 exec, exec, s[44:45]
	s_and_saveexec_b64 s[44:45], s[18:19]
	s_cbranch_execz .LBB17_53
.LBB17_69:                              ;   in Loop: Header=BB17_43 Depth=1
	v_mov_b32_e32 v11, s53
	ds_read_b32 v11, v11
	s_waitcnt lgkmcnt(0)
	v_add_u32_e32 v8, v11, v8
	s_or_b64 exec, exec, s[44:45]
	s_and_saveexec_b64 s[44:45], s[20:21]
	s_cbranch_execnz .LBB17_54
.LBB17_70:                              ;   in Loop: Header=BB17_43 Depth=1
	s_or_b64 exec, exec, s[44:45]
	s_and_saveexec_b64 s[44:45], s[22:23]
	s_cbranch_execz .LBB17_55
.LBB17_71:                              ;   in Loop: Header=BB17_43 Depth=1
	v_mov_b32_e32 v11, s55
	ds_read_b32 v11, v11
	s_waitcnt lgkmcnt(0)
	v_add_u32_e32 v8, v11, v8
	s_or_b64 exec, exec, s[44:45]
	s_and_saveexec_b64 s[44:45], s[24:25]
	s_cbranch_execnz .LBB17_56
.LBB17_72:                              ;   in Loop: Header=BB17_43 Depth=1
	s_or_b64 exec, exec, s[44:45]
	s_and_saveexec_b64 s[44:45], s[26:27]
	s_cbranch_execz .LBB17_57
.LBB17_73:                              ;   in Loop: Header=BB17_43 Depth=1
	v_mov_b32_e32 v11, s57
	ds_read_b32 v11, v11
	s_waitcnt lgkmcnt(0)
	v_add_u32_e32 v8, v11, v8
	s_or_b64 exec, exec, s[44:45]
	s_and_saveexec_b64 s[44:45], s[28:29]
	s_cbranch_execnz .LBB17_58
.LBB17_74:                              ;   in Loop: Header=BB17_43 Depth=1
	s_or_b64 exec, exec, s[44:45]
	s_and_saveexec_b64 s[44:45], s[30:31]
	s_cbranch_execz .LBB17_59
.LBB17_75:                              ;   in Loop: Header=BB17_43 Depth=1
	v_add3_u32 v11, v5, -1, v8
	v_lshl_add_u32 v11, v11, 2, 0
	v_add_u32_e32 v12, 0x20000, v11
	ds_write_b32 v11, v9
	ds_write_b32 v12, v10
	s_or_b64 exec, exec, s[44:45]
	s_and_saveexec_b64 s[30:31], vcc
	s_cbranch_execz .LBB17_42
.LBB17_76:                              ;   in Loop: Header=BB17_43 Depth=1
	v_mov_b32_e32 v9, s59
	ds_write_b32 v9, v8
	s_branch .LBB17_42
.LBB17_77:
	s_or_b64 exec, exec, s[36:37]
	s_ashr_i32 s43, s42, 31
	s_lshl_b64 s[0:1], s[42:43], 2
	s_add_u32 s2, s40, s0
	s_addc_u32 s3, s41, s1
	s_load_dwordx2 s[0:1], s[2:3], 0x0
	s_waitcnt lgkmcnt(0)
	s_sub_i32 s14, s1, s0
	v_cmp_gt_i32_e32 vcc, s14, v0
	s_and_saveexec_b64 s[2:3], vcc
	s_cbranch_execz .LBB17_91
; %bb.78:
	s_sub_i32 s8, s0, s38
	v_sub_co_u32_e64 v1, s[0:1], s14, 2
	s_nop 0
	v_readfirstlane_b32 s2, v1
	s_lshr_b32 s2, s2, 1
	s_add_i32 s2, s2, 1
	s_xor_b64 s[0:1], s[0:1], -1
	s_and_b32 s15, s14, -2
	s_and_b32 s3, s2, 7
	s_and_b32 s16, s2, -8
	s_cmp_lg_u32 s3, 0
	v_cmp_lt_u32_e32 vcc, 13, v1
	s_cselect_b64 s[4:5], -1, 0
	s_cmp_lg_u32 s14, s15
	v_cndmask_b32_e64 v1, 0, 1, vcc
	s_cselect_b64 s[10:11], -1, 0
	s_lshl_b32 s17, s3, 3
	v_cndmask_b32_e64 v2, 0, 1, s[0:1]
	v_cmp_ne_u32_e64 s[2:3], 1, v1
	v_cndmask_b32_e64 v1, 0, 1, s[4:5]
	s_mov_b32 s9, 0
	s_mov_b64 s[12:13], 0
	v_cmp_ne_u32_e64 s[0:1], 1, v2
	v_cmp_ne_u32_e64 s[4:5], 1, v1
	s_branch .LBB17_80
.LBB17_79:                              ;   in Loop: Header=BB17_80 Depth=1
	v_add_u32_e32 v0, 0x400, v0
	v_ashrrev_i32_e32 v3, 31, v2
	v_cmp_le_i32_e32 vcc, s14, v0
	v_lshl_add_u64 v[2:3], v[2:3], 2, s[34:35]
	s_or_b64 s[12:13], vcc, s[12:13]
	s_waitcnt lgkmcnt(0)
	global_store_dword v[2:3], v1, off
	s_andn2_b64 exec, exec, s[12:13]
	s_cbranch_execz .LBB17_91
.LBB17_80:                              ; =>This Loop Header: Depth=1
                                        ;     Child Loop BB17_83 Depth 2
                                        ;     Child Loop BB17_86 Depth 2
	;; [unrolled: 1-line block ×3, first 2 shown]
	v_lshl_add_u32 v1, v0, 2, 0
	v_add_u32_e32 v2, 0x20000, v1
	ds_read_b32 v4, v1
	ds_read_b32 v1, v2
	s_and_b64 vcc, exec, s[0:1]
	v_mov_b32_e32 v2, s8
	s_mov_b32 s18, 0
	s_mov_b64 s[6:7], -1
	s_cbranch_vccnz .LBB17_88
; %bb.81:                               ;   in Loop: Header=BB17_80 Depth=1
	s_and_b64 vcc, exec, s[2:3]
	v_mov_b64_e32 v[2:3], s[8:9]
	s_cbranch_vccnz .LBB17_84
; %bb.82:                               ;   in Loop: Header=BB17_80 Depth=1
	s_mov_b32 s19, 0
	v_mov_b32_e32 v2, s8
	v_mov_b32_e32 v3, 0
	s_mov_b32 s20, s16
.LBB17_83:                              ;   Parent Loop BB17_80 Depth=1
                                        ; =>  This Inner Loop Header: Depth=2
	v_mov_b32_e32 v5, s19
	ds_read2_b32 v[6:7], v5 offset1:1
	ds_read2_b32 v[8:9], v5 offset0:2 offset1:3
	ds_read2_b32 v[10:11], v5 offset0:4 offset1:5
	;; [unrolled: 1-line block ×7, first 2 shown]
	s_waitcnt lgkmcnt(7)
	v_cmp_gt_i32_e32 vcc, v4, v7
	s_waitcnt lgkmcnt(5)
	v_cmp_gt_i32_e64 s[6:7], v4, v10
	s_add_i32 s18, s18, 16
	v_cndmask_b32_e64 v5, 0, 1, vcc
	v_cmp_gt_i32_e32 vcc, v4, v6
	v_cndmask_b32_e64 v7, 0, 1, s[6:7]
	v_cmp_gt_i32_e64 s[6:7], v4, v11
	v_cndmask_b32_e64 v6, 0, 1, vcc
	v_cmp_gt_i32_e32 vcc, v4, v9
	v_cndmask_b32_e64 v9, 0, 1, s[6:7]
	s_waitcnt lgkmcnt(3)
	v_cmp_gt_i32_e64 s[6:7], v4, v15
	v_addc_co_u32_e32 v3, vcc, v3, v5, vcc
	s_nop 0
	v_cndmask_b32_e64 v10, 0, 1, s[6:7]
	v_cmp_gt_i32_e64 s[6:7], v4, v14
	v_cmp_gt_i32_e32 vcc, v4, v12
	s_add_i32 s19, s19, 64
	v_cndmask_b32_e64 v11, 0, 1, s[6:7]
	s_waitcnt lgkmcnt(1)
	v_cmp_gt_i32_e64 s[6:7], v4, v18
	s_add_i32 s20, s20, -8
	s_cmp_lg_u32 s20, 0
	v_cndmask_b32_e64 v14, 0, 1, s[6:7]
	v_cmp_gt_i32_e64 s[6:7], v4, v19
	s_nop 1
	v_cndmask_b32_e64 v15, 0, 1, s[6:7]
	v_cmp_gt_i32_e64 s[6:7], v4, v8
	s_nop 1
	v_addc_co_u32_e64 v2, s[6:7], v2, v6, s[6:7]
	v_cmp_gt_i32_e64 s[6:7], v4, v13
	v_addc_co_u32_e32 v2, vcc, v2, v7, vcc
	s_nop 0
	v_addc_co_u32_e64 v3, s[6:7], v3, v9, s[6:7]
	v_cmp_gt_i32_e32 vcc, v4, v17
	v_cmp_gt_i32_e64 s[6:7], v4, v16
	s_nop 0
	v_addc_co_u32_e32 v3, vcc, v3, v10, vcc
	v_addc_co_u32_e64 v2, s[6:7], v2, v11, s[6:7]
	s_waitcnt lgkmcnt(0)
	v_cmp_gt_i32_e32 vcc, v4, v20
	v_cmp_gt_i32_e64 s[6:7], v4, v21
	s_nop 0
	v_addc_co_u32_e32 v2, vcc, v2, v14, vcc
	v_addc_co_u32_e64 v3, s[6:7], v3, v15, s[6:7]
	s_cbranch_scc1 .LBB17_83
.LBB17_84:                              ;   in Loop: Header=BB17_80 Depth=1
	s_and_b64 vcc, exec, s[4:5]
	s_cbranch_vccnz .LBB17_87
; %bb.85:                               ;   in Loop: Header=BB17_80 Depth=1
	s_lshl_b32 s6, s18, 2
	s_add_i32 s6, s6, 0
	s_mov_b32 s7, s17
.LBB17_86:                              ;   Parent Loop BB17_80 Depth=1
                                        ; =>  This Inner Loop Header: Depth=2
	v_mov_b32_e32 v5, s6
	ds_read2_b32 v[6:7], v5 offset1:1
	s_add_i32 s6, s6, 8
	s_add_i32 s7, s7, -8
	s_cmp_lg_u32 s7, 0
	s_waitcnt lgkmcnt(0)
	v_cmp_gt_i32_e32 vcc, v4, v7
	s_nop 1
	v_addc_co_u32_e32 v3, vcc, 0, v3, vcc
	v_cmp_gt_i32_e32 vcc, v4, v6
	s_nop 1
	v_addc_co_u32_e32 v2, vcc, 0, v2, vcc
	s_cbranch_scc1 .LBB17_86
.LBB17_87:                              ;   in Loop: Header=BB17_80 Depth=1
	v_add_u32_e32 v2, v2, v3
	s_mov_b32 s18, s15
	s_mov_b64 s[6:7], s[10:11]
.LBB17_88:                              ;   in Loop: Header=BB17_80 Depth=1
	s_and_b64 vcc, exec, s[6:7]
	s_cbranch_vccz .LBB17_79
; %bb.89:                               ;   in Loop: Header=BB17_80 Depth=1
	s_lshl_b32 s6, s18, 2
	s_add_i32 s6, s6, 0
.LBB17_90:                              ;   Parent Loop BB17_80 Depth=1
                                        ; =>  This Inner Loop Header: Depth=2
	v_mov_b32_e32 v3, s6
	ds_read_b32 v3, v3
	s_add_i32 s18, s18, 1
	s_add_i32 s6, s6, 4
	s_cmp_ge_i32 s18, s14
	s_waitcnt lgkmcnt(0)
	v_cmp_gt_i32_e32 vcc, v4, v3
	s_nop 1
	v_addc_co_u32_e32 v2, vcc, 0, v2, vcc
	s_cbranch_scc0 .LBB17_90
	s_branch .LBB17_79
.LBB17_91:
	s_endpgm
	.section	.rodata,"a",@progbits
	.p2align	6, 0x0
	.amdhsa_kernel _ZN9rocsparseL41csrgemm_numeric_fill_block_per_row_kernelILj1024ELj64ELj32768ELj137ELj64EiifEEvT5_PKS1_S3_NS_24const_host_device_scalarIT6_EEPKT4_S3_PKS5_S9_S3_SB_S6_S9_S3_SB_S9_S3_PS5_21rocsparse_index_base_SD_SD_SD_bbb
		.amdhsa_group_segment_fixed_size 0
		.amdhsa_private_segment_fixed_size 0
		.amdhsa_kernarg_size 156
		.amdhsa_user_sgpr_count 2
		.amdhsa_user_sgpr_dispatch_ptr 0
		.amdhsa_user_sgpr_queue_ptr 0
		.amdhsa_user_sgpr_kernarg_segment_ptr 1
		.amdhsa_user_sgpr_dispatch_id 0
		.amdhsa_user_sgpr_kernarg_preload_length 0
		.amdhsa_user_sgpr_kernarg_preload_offset 0
		.amdhsa_user_sgpr_private_segment_size 0
		.amdhsa_uses_dynamic_stack 0
		.amdhsa_enable_private_segment 0
		.amdhsa_system_sgpr_workgroup_id_x 1
		.amdhsa_system_sgpr_workgroup_id_y 0
		.amdhsa_system_sgpr_workgroup_id_z 0
		.amdhsa_system_sgpr_workgroup_info 0
		.amdhsa_system_vgpr_workitem_id 0
		.amdhsa_next_free_vgpr 22
		.amdhsa_next_free_sgpr 61
		.amdhsa_accum_offset 24
		.amdhsa_reserve_vcc 1
		.amdhsa_float_round_mode_32 0
		.amdhsa_float_round_mode_16_64 0
		.amdhsa_float_denorm_mode_32 3
		.amdhsa_float_denorm_mode_16_64 3
		.amdhsa_dx10_clamp 1
		.amdhsa_ieee_mode 1
		.amdhsa_fp16_overflow 0
		.amdhsa_tg_split 0
		.amdhsa_exception_fp_ieee_invalid_op 0
		.amdhsa_exception_fp_denorm_src 0
		.amdhsa_exception_fp_ieee_div_zero 0
		.amdhsa_exception_fp_ieee_overflow 0
		.amdhsa_exception_fp_ieee_underflow 0
		.amdhsa_exception_fp_ieee_inexact 0
		.amdhsa_exception_int_div_zero 0
	.end_amdhsa_kernel
	.section	.text._ZN9rocsparseL41csrgemm_numeric_fill_block_per_row_kernelILj1024ELj64ELj32768ELj137ELj64EiifEEvT5_PKS1_S3_NS_24const_host_device_scalarIT6_EEPKT4_S3_PKS5_S9_S3_SB_S6_S9_S3_SB_S9_S3_PS5_21rocsparse_index_base_SD_SD_SD_bbb,"axG",@progbits,_ZN9rocsparseL41csrgemm_numeric_fill_block_per_row_kernelILj1024ELj64ELj32768ELj137ELj64EiifEEvT5_PKS1_S3_NS_24const_host_device_scalarIT6_EEPKT4_S3_PKS5_S9_S3_SB_S6_S9_S3_SB_S9_S3_PS5_21rocsparse_index_base_SD_SD_SD_bbb,comdat
.Lfunc_end17:
	.size	_ZN9rocsparseL41csrgemm_numeric_fill_block_per_row_kernelILj1024ELj64ELj32768ELj137ELj64EiifEEvT5_PKS1_S3_NS_24const_host_device_scalarIT6_EEPKT4_S3_PKS5_S9_S3_SB_S6_S9_S3_SB_S9_S3_PS5_21rocsparse_index_base_SD_SD_SD_bbb, .Lfunc_end17-_ZN9rocsparseL41csrgemm_numeric_fill_block_per_row_kernelILj1024ELj64ELj32768ELj137ELj64EiifEEvT5_PKS1_S3_NS_24const_host_device_scalarIT6_EEPKT4_S3_PKS5_S9_S3_SB_S6_S9_S3_SB_S9_S3_PS5_21rocsparse_index_base_SD_SD_SD_bbb
                                        ; -- End function
	.set _ZN9rocsparseL41csrgemm_numeric_fill_block_per_row_kernelILj1024ELj64ELj32768ELj137ELj64EiifEEvT5_PKS1_S3_NS_24const_host_device_scalarIT6_EEPKT4_S3_PKS5_S9_S3_SB_S6_S9_S3_SB_S9_S3_PS5_21rocsparse_index_base_SD_SD_SD_bbb.num_vgpr, 22
	.set _ZN9rocsparseL41csrgemm_numeric_fill_block_per_row_kernelILj1024ELj64ELj32768ELj137ELj64EiifEEvT5_PKS1_S3_NS_24const_host_device_scalarIT6_EEPKT4_S3_PKS5_S9_S3_SB_S6_S9_S3_SB_S9_S3_PS5_21rocsparse_index_base_SD_SD_SD_bbb.num_agpr, 0
	.set _ZN9rocsparseL41csrgemm_numeric_fill_block_per_row_kernelILj1024ELj64ELj32768ELj137ELj64EiifEEvT5_PKS1_S3_NS_24const_host_device_scalarIT6_EEPKT4_S3_PKS5_S9_S3_SB_S6_S9_S3_SB_S9_S3_PS5_21rocsparse_index_base_SD_SD_SD_bbb.numbered_sgpr, 61
	.set _ZN9rocsparseL41csrgemm_numeric_fill_block_per_row_kernelILj1024ELj64ELj32768ELj137ELj64EiifEEvT5_PKS1_S3_NS_24const_host_device_scalarIT6_EEPKT4_S3_PKS5_S9_S3_SB_S6_S9_S3_SB_S9_S3_PS5_21rocsparse_index_base_SD_SD_SD_bbb.num_named_barrier, 0
	.set _ZN9rocsparseL41csrgemm_numeric_fill_block_per_row_kernelILj1024ELj64ELj32768ELj137ELj64EiifEEvT5_PKS1_S3_NS_24const_host_device_scalarIT6_EEPKT4_S3_PKS5_S9_S3_SB_S6_S9_S3_SB_S9_S3_PS5_21rocsparse_index_base_SD_SD_SD_bbb.private_seg_size, 0
	.set _ZN9rocsparseL41csrgemm_numeric_fill_block_per_row_kernelILj1024ELj64ELj32768ELj137ELj64EiifEEvT5_PKS1_S3_NS_24const_host_device_scalarIT6_EEPKT4_S3_PKS5_S9_S3_SB_S6_S9_S3_SB_S9_S3_PS5_21rocsparse_index_base_SD_SD_SD_bbb.uses_vcc, 1
	.set _ZN9rocsparseL41csrgemm_numeric_fill_block_per_row_kernelILj1024ELj64ELj32768ELj137ELj64EiifEEvT5_PKS1_S3_NS_24const_host_device_scalarIT6_EEPKT4_S3_PKS5_S9_S3_SB_S6_S9_S3_SB_S9_S3_PS5_21rocsparse_index_base_SD_SD_SD_bbb.uses_flat_scratch, 0
	.set _ZN9rocsparseL41csrgemm_numeric_fill_block_per_row_kernelILj1024ELj64ELj32768ELj137ELj64EiifEEvT5_PKS1_S3_NS_24const_host_device_scalarIT6_EEPKT4_S3_PKS5_S9_S3_SB_S6_S9_S3_SB_S9_S3_PS5_21rocsparse_index_base_SD_SD_SD_bbb.has_dyn_sized_stack, 0
	.set _ZN9rocsparseL41csrgemm_numeric_fill_block_per_row_kernelILj1024ELj64ELj32768ELj137ELj64EiifEEvT5_PKS1_S3_NS_24const_host_device_scalarIT6_EEPKT4_S3_PKS5_S9_S3_SB_S6_S9_S3_SB_S9_S3_PS5_21rocsparse_index_base_SD_SD_SD_bbb.has_recursion, 0
	.set _ZN9rocsparseL41csrgemm_numeric_fill_block_per_row_kernelILj1024ELj64ELj32768ELj137ELj64EiifEEvT5_PKS1_S3_NS_24const_host_device_scalarIT6_EEPKT4_S3_PKS5_S9_S3_SB_S6_S9_S3_SB_S9_S3_PS5_21rocsparse_index_base_SD_SD_SD_bbb.has_indirect_call, 0
	.section	.AMDGPU.csdata,"",@progbits
; Kernel info:
; codeLenInByte = 3416
; TotalNumSgprs: 67
; NumVgprs: 22
; NumAgprs: 0
; TotalNumVgprs: 22
; ScratchSize: 0
; MemoryBound: 0
; FloatMode: 240
; IeeeMode: 1
; LDSByteSize: 0 bytes/workgroup (compile time only)
; SGPRBlocks: 8
; VGPRBlocks: 2
; NumSGPRsForWavesPerEU: 67
; NumVGPRsForWavesPerEU: 22
; AccumOffset: 24
; Occupancy: 8
; WaveLimiterHint : 1
; COMPUTE_PGM_RSRC2:SCRATCH_EN: 0
; COMPUTE_PGM_RSRC2:USER_SGPR: 2
; COMPUTE_PGM_RSRC2:TRAP_HANDLER: 0
; COMPUTE_PGM_RSRC2:TGID_X_EN: 1
; COMPUTE_PGM_RSRC2:TGID_Y_EN: 0
; COMPUTE_PGM_RSRC2:TGID_Z_EN: 0
; COMPUTE_PGM_RSRC2:TIDIG_COMP_CNT: 0
; COMPUTE_PGM_RSRC3_GFX90A:ACCUM_OFFSET: 5
; COMPUTE_PGM_RSRC3_GFX90A:TG_SPLIT: 0
	.section	.text._ZN9rocsparseL51csrgemm_numeric_fill_block_per_row_multipass_kernelILj512ELj16ELj2048ELj32EiifEEvT4_PKS1_S3_NS_24const_host_device_scalarIT5_EEPKT3_S3_PKS5_S9_S3_SB_S6_S9_S3_SB_S9_S3_PS5_PS7_21rocsparse_index_base_SE_SE_SE_bbb,"axG",@progbits,_ZN9rocsparseL51csrgemm_numeric_fill_block_per_row_multipass_kernelILj512ELj16ELj2048ELj32EiifEEvT4_PKS1_S3_NS_24const_host_device_scalarIT5_EEPKT3_S3_PKS5_S9_S3_SB_S6_S9_S3_SB_S9_S3_PS5_PS7_21rocsparse_index_base_SE_SE_SE_bbb,comdat
	.globl	_ZN9rocsparseL51csrgemm_numeric_fill_block_per_row_multipass_kernelILj512ELj16ELj2048ELj32EiifEEvT4_PKS1_S3_NS_24const_host_device_scalarIT5_EEPKT3_S3_PKS5_S9_S3_SB_S6_S9_S3_SB_S9_S3_PS5_PS7_21rocsparse_index_base_SE_SE_SE_bbb ; -- Begin function _ZN9rocsparseL51csrgemm_numeric_fill_block_per_row_multipass_kernelILj512ELj16ELj2048ELj32EiifEEvT4_PKS1_S3_NS_24const_host_device_scalarIT5_EEPKT3_S3_PKS5_S9_S3_SB_S6_S9_S3_SB_S9_S3_PS5_PS7_21rocsparse_index_base_SE_SE_SE_bbb
	.p2align	8
	.type	_ZN9rocsparseL51csrgemm_numeric_fill_block_per_row_multipass_kernelILj512ELj16ELj2048ELj32EiifEEvT4_PKS1_S3_NS_24const_host_device_scalarIT5_EEPKT3_S3_PKS5_S9_S3_SB_S6_S9_S3_SB_S9_S3_PS5_PS7_21rocsparse_index_base_SE_SE_SE_bbb,@function
_ZN9rocsparseL51csrgemm_numeric_fill_block_per_row_multipass_kernelILj512ELj16ELj2048ELj32EiifEEvT4_PKS1_S3_NS_24const_host_device_scalarIT5_EEPKT3_S3_PKS5_S9_S3_SB_S6_S9_S3_SB_S9_S3_PS5_PS7_21rocsparse_index_base_SE_SE_SE_bbb: ; @_ZN9rocsparseL51csrgemm_numeric_fill_block_per_row_multipass_kernelILj512ELj16ELj2048ELj32EiifEEvT4_PKS1_S3_NS_24const_host_device_scalarIT5_EEPKT3_S3_PKS5_S9_S3_SB_S6_S9_S3_SB_S9_S3_PS5_PS7_21rocsparse_index_base_SE_SE_SE_bbb
; %bb.0:
	s_load_dword s3, s[0:1], 0xa0
	s_load_dwordx4 s[4:7], s[0:1], 0x8
	s_load_dwordx2 s[12:13], s[0:1], 0x18
	s_load_dwordx4 s[60:63], s[0:1], 0x90
	s_load_dwordx2 s[14:15], s[0:1], 0x50
	s_waitcnt lgkmcnt(0)
	s_bitcmp1_b32 s3, 0
	s_cselect_b64 s[8:9], -1, 0
	s_bitcmp1_b32 s3, 16
	s_cselect_b64 s[10:11], -1, 0
	s_xor_b64 s[16:17], s[8:9], -1
	s_or_b64 s[16:17], s[10:11], s[16:17]
	s_and_b64 vcc, exec, s[16:17]
	s_cbranch_vccnz .LBB18_2
; %bb.1:
	s_load_dword s12, s[12:13], 0x0
	s_waitcnt lgkmcnt(0)
	v_mov_b32_e32 v8, s12
	s_branch .LBB18_3
.LBB18_2:
	v_mov_b32_e32 v1, s12
	v_cndmask_b32_e64 v8, 0, v1, s[8:9]
.LBB18_3:
	s_load_dwordx2 s[12:13], s[0:1], 0x20
	s_bitcmp1_b32 s3, 8
	s_cselect_b64 s[42:43], -1, 0
	s_xor_b64 s[16:17], s[42:43], -1
	s_or_b64 s[16:17], s[10:11], s[16:17]
	s_mov_b32 s11, 0
	s_and_b64 vcc, exec, s[16:17]
	s_cbranch_vccnz .LBB18_5
; %bb.4:
	s_load_dword s3, s[14:15], 0x0
	s_waitcnt lgkmcnt(0)
	v_mov_b32_e32 v9, s3
	s_branch .LBB18_6
.LBB18_5:
	v_mov_b32_e32 v1, s14
	v_cndmask_b32_e64 v9, 0, v1, s[42:43]
.LBB18_6:
	s_load_dword s3, s[4:5], 0x0
	v_cndmask_b32_e64 v1, 0, 1, s[8:9]
	s_waitcnt lgkmcnt(0)
	s_add_i32 s10, s3, s2
	s_lshl_b64 s[2:3], s[10:11], 2
	s_add_u32 s2, s6, s2
	s_addc_u32 s3, s7, s3
	s_load_dword s4, s[2:3], 0x0
	v_cmp_ne_u32_e64 s[2:3], 1, v1
	s_andn2_b64 vcc, exec, s[8:9]
	s_cbranch_vccz .LBB18_9
; %bb.7:
	s_and_b64 vcc, exec, s[2:3]
	s_mov_b32 s33, 0
	s_cbranch_vccz .LBB18_10
.LBB18_8:
	s_load_dword s86, s[0:1], 0x0
	s_waitcnt lgkmcnt(0)
	s_cmp_lt_i32 s86, 1
	s_cbranch_scc0 .LBB18_11
	s_branch .LBB18_64
.LBB18_9:
	s_waitcnt lgkmcnt(0)
	s_ashr_i32 s5, s4, 31
	s_lshl_b64 s[6:7], s[4:5], 2
	s_add_u32 s6, s12, s6
	s_addc_u32 s7, s13, s7
	s_load_dword s5, s[6:7], 0x0
	s_waitcnt lgkmcnt(0)
	s_sub_i32 s11, s5, s60
	s_and_b64 vcc, exec, s[2:3]
	s_mov_b32 s33, 0
	s_cbranch_vccnz .LBB18_8
.LBB18_10:
	s_waitcnt lgkmcnt(0)
	s_ashr_i32 s5, s4, 31
	s_lshl_b64 s[2:3], s[4:5], 2
	s_add_u32 s2, s12, s2
	s_addc_u32 s3, s13, s3
	s_load_dword s2, s[2:3], 0x4
	s_waitcnt lgkmcnt(0)
	s_sub_i32 s33, s2, s60
	s_load_dword s86, s[0:1], 0x0
	s_waitcnt lgkmcnt(0)
	s_cmp_lt_i32 s86, 1
	s_cbranch_scc1 .LBB18_64
.LBB18_11:
	s_load_dwordx8 s[44:51], s[0:1], 0x58
	s_load_dwordx4 s[64:67], s[0:1], 0x80
	s_load_dwordx2 s[68:69], s[0:1], 0x48
	s_ashr_i32 s5, s4, 31
	s_lshl_b64 s[6:7], s[4:5], 2
	s_waitcnt lgkmcnt(0)
	s_add_u32 s2, s50, s6
	s_addc_u32 s3, s51, s7
	s_load_dword s4, s[2:3], 0x0
	s_load_dwordx8 s[52:59], s[0:1], 0x28
	s_movk_i32 s1, 0x1ff
	v_lshrrev_b32_e32 v1, 4, v0
	v_add_u32_e32 v11, s11, v1
	s_waitcnt lgkmcnt(0)
	s_sub_i32 s0, s4, s62
	s_add_u32 s44, s44, s6
	s_addc_u32 s45, s45, s7
	v_cmp_eq_u32_e64 s[6:7], s1, v0
	s_movk_i32 s1, 0x60
	v_cmp_gt_u32_e64 s[12:13], s1, v0
	s_movk_i32 s1, 0x80
	v_cmp_gt_u32_e64 s[14:15], s1, v0
	;; [unrolled: 2-line block ×8, first 2 shown]
	s_movk_i32 s1, 0x160
	v_mbcnt_lo_u32_b32 v1, -1, 0
	v_cmp_gt_u32_e64 s[28:29], s1, v0
	s_movk_i32 s1, 0x180
	v_mbcnt_hi_u32_b32 v1, -1, v1
	v_cmp_gt_u32_e64 s[30:31], s1, v0
	s_movk_i32 s1, 0x1a0
	v_sub_u32_e32 v1, 63, v1
	v_cmp_gt_u32_e64 s[34:35], s1, v0
	s_movk_i32 s1, 0x1c0
	v_and_b32_e32 v10, 15, v0
	v_cmp_gt_i32_e32 vcc, s33, v11
	v_lshrrev_b64 v[2:3], v1, -1
	v_lshrrev_b32_e32 v1, 3, v0
	v_cmp_gt_u32_e64 s[36:37], s1, v0
	s_movk_i32 s1, 0x1e0
	v_cmp_eq_u32_e64 s[2:3], 0, v0
	v_cmp_eq_u32_e64 s[4:5], 15, v10
	v_subrev_u32_e32 v12, s63, v0
	v_and_b32_e32 v13, 60, v1
	s_and_b64 s[50:51], s[8:9], vcc
	v_cmp_gt_u32_e64 s[8:9], 32, v0
	v_cmp_gt_u32_e64 s[10:11], 64, v0
	;; [unrolled: 1-line block ×3, first 2 shown]
	v_or_b32_e32 v14, 0xfffffe00, v0
	v_lshlrev_b32_e32 v15, 2, v0
	v_mov_b32_e32 v16, 0
	v_mov_b32_e32 v19, 0x800
	;; [unrolled: 1-line block ×3, first 2 shown]
	s_movk_i32 s62, 0x5ff
	v_mov_b32_e32 v25, s86
	v_mov_b32_e32 v18, 1
	;; [unrolled: 1-line block ×3, first 2 shown]
	s_branch .LBB18_13
.LBB18_12:                              ;   in Loop: Header=BB18_13 Depth=1
	s_or_b64 exec, exec, s[0:1]
	ds_read_b32 v20, v16 offset:10240
	s_waitcnt lgkmcnt(0)
	s_barrier
	v_cmp_le_i32_e32 vcc, s86, v20
	v_add_u32_e32 v19, 0x800, v20
	s_cbranch_vccnz .LBB18_64
.LBB18_13:                              ; =>This Loop Header: Depth=1
                                        ;     Child Loop BB18_14 Depth 2
                                        ;     Child Loop BB18_20 Depth 2
                                        ;       Child Loop BB18_26 Depth 3
                                        ;     Child Loop BB18_43 Depth 2
                                        ;     Child Loop BB18_55 Depth 2
	;; [unrolled: 1-line block ×3, first 2 shown]
	s_mov_b64 s[0:1], 0
	v_mov_b32_e32 v0, v15
	v_mov_b32_e32 v1, v14
.LBB18_14:                              ;   Parent Loop BB18_13 Depth=1
                                        ; =>  This Inner Loop Header: Depth=2
	ds_write_b8 v1, v16 offset:8704
	ds_write_b32 v0, v16
	v_add_u32_e32 v1, 0x200, v1
	v_cmp_lt_u32_e32 vcc, s62, v1
	s_or_b64 s[0:1], vcc, s[0:1]
	v_add_u32_e32 v0, 0x800, v0
	s_andn2_b64 exec, exec, s[0:1]
	s_cbranch_execnz .LBB18_14
; %bb.15:                               ;   in Loop: Header=BB18_13 Depth=1
	s_or_b64 exec, exec, s[0:1]
	s_and_saveexec_b64 s[0:1], s[2:3]
; %bb.16:                               ;   in Loop: Header=BB18_13 Depth=1
	ds_write_b32 v16, v25 offset:10240
; %bb.17:                               ;   in Loop: Header=BB18_13 Depth=1
	s_or_b64 exec, exec, s[0:1]
	v_mov_b32_e32 v21, s86
	s_waitcnt lgkmcnt(0)
	s_barrier
	s_and_saveexec_b64 s[70:71], s[50:51]
	s_cbranch_execz .LBB18_39
; %bb.18:                               ;   in Loop: Header=BB18_13 Depth=1
	s_mov_b64 s[72:73], 0
	v_cmp_ne_u32_e64 s[40:41], 0, v20
	v_mov_b32_e32 v21, s86
	v_mov_b32_e32 v0, v11
	s_branch .LBB18_20
.LBB18_19:                              ;   in Loop: Header=BB18_20 Depth=2
	s_or_b64 exec, exec, s[0:1]
	v_add_u32_e32 v0, 32, v0
	v_cmp_le_i32_e32 vcc, s33, v0
	s_or_b64 s[72:73], vcc, s[72:73]
	s_andn2_b64 exec, exec, s[72:73]
	s_cbranch_execz .LBB18_38
.LBB18_20:                              ;   Parent Loop BB18_13 Depth=1
                                        ; =>  This Loop Header: Depth=2
                                        ;       Child Loop BB18_26 Depth 3
	v_ashrrev_i32_e32 v1, 31, v0
	v_lshlrev_b64 v[4:5], 2, v[0:1]
	v_lshl_add_u64 v[6:7], s[52:53], 0, v[4:5]
	global_load_dword v6, v[6:7], off
	v_lshl_add_u64 v[4:5], s[54:55], 0, v[4:5]
	global_load_dword v23, v[4:5], off
	s_and_b64 vcc, exec, s[40:41]
	v_lshl_add_u64 v[4:5], v[0:1], 2, s[66:67]
	s_waitcnt vmcnt(1)
	v_subrev_u32_e32 v6, s60, v6
	v_ashrrev_i32_e32 v7, 31, v6
	s_cbranch_vccz .LBB18_37
; %bb.21:                               ;   in Loop: Header=BB18_20 Depth=2
	global_load_dword v1, v[4:5], off
	s_cbranch_execnz .LBB18_23
.LBB18_22:                              ;   in Loop: Header=BB18_20 Depth=2
	v_lshl_add_u64 v[26:27], v[6:7], 2, s[56:57]
	global_load_dword v1, v[26:27], off
	s_waitcnt vmcnt(0)
	v_subrev_u32_e32 v1, s61, v1
.LBB18_23:                              ;   in Loop: Header=BB18_20 Depth=2
	v_lshl_add_u64 v[6:7], v[6:7], 2, s[56:57]
	global_load_dword v6, v[6:7], off offset:4
	s_waitcnt vmcnt(1)
	v_add_u32_e32 v1, v1, v10
	s_waitcnt vmcnt(0)
	v_subrev_u32_e32 v22, s61, v6
	v_cmp_lt_i32_e32 vcc, v1, v22
	s_and_saveexec_b64 s[74:75], vcc
	s_cbranch_execz .LBB18_35
; %bb.24:                               ;   in Loop: Header=BB18_20 Depth=2
	v_mul_f32_e32 v23, v8, v23
	s_mov_b64 s[78:79], 0
	v_mov_b32_e32 v7, v1
                                        ; implicit-def: $sgpr76_sgpr77
                                        ; implicit-def: $sgpr80_sgpr81
	s_branch .LBB18_26
.LBB18_25:                              ;   in Loop: Header=BB18_26 Depth=3
	s_or_b64 exec, exec, s[84:85]
	s_and_b64 s[0:1], exec, s[82:83]
	s_or_b64 s[78:79], s[0:1], s[78:79]
	s_andn2_b64 s[0:1], s[76:77], exec
	s_and_b64 s[76:77], s[80:81], exec
	s_or_b64 s[76:77], s[0:1], s[76:77]
	s_andn2_b64 exec, exec, s[78:79]
	s_cbranch_execz .LBB18_32
.LBB18_26:                              ;   Parent Loop BB18_13 Depth=1
                                        ;     Parent Loop BB18_20 Depth=2
                                        ; =>    This Inner Loop Header: Depth=3
	v_mov_b32_e32 v6, v7
	v_ashrrev_i32_e32 v7, 31, v6
	v_lshl_add_u64 v[26:27], v[6:7], 2, s[58:59]
	global_load_dword v24, v[26:27], off
	s_waitcnt vmcnt(0)
	v_subrev_u32_e32 v24, s61, v24
	v_cmp_lt_i32_e32 vcc, v24, v20
	v_cmp_ge_i32_e64 s[0:1], v24, v19
	s_or_b64 s[82:83], vcc, s[0:1]
	s_mov_b64 s[0:1], 0
	s_and_saveexec_b64 s[84:85], s[82:83]
	s_xor_b64 s[82:83], exec, s[84:85]
; %bb.27:                               ;   in Loop: Header=BB18_26 Depth=3
	v_cmp_lt_i32_e32 vcc, v24, v19
	s_and_b64 s[0:1], vcc, exec
; %bb.28:                               ;   in Loop: Header=BB18_26 Depth=3
	s_andn2_saveexec_b64 s[82:83], s[82:83]
	s_cbranch_execz .LBB18_30
; %bb.29:                               ;   in Loop: Header=BB18_26 Depth=3
	v_lshl_add_u64 v[26:27], v[6:7], 2, s[68:69]
	global_load_dword v7, v[26:27], off
	v_sub_u32_e32 v26, v24, v20
	ds_write_b8 v26, v18 offset:8192
	v_lshlrev_b32_e32 v26, 2, v26
	s_or_b64 s[0:1], s[0:1], exec
	s_waitcnt vmcnt(0)
	v_mul_f32_e32 v7, v23, v7
	ds_add_f32 v26, v7
.LBB18_30:                              ;   in Loop: Header=BB18_26 Depth=3
	s_or_b64 exec, exec, s[82:83]
	s_mov_b64 s[82:83], -1
	s_or_b64 s[80:81], s[80:81], exec
                                        ; implicit-def: $vgpr7
	s_and_saveexec_b64 s[84:85], s[0:1]
	s_cbranch_execz .LBB18_25
; %bb.31:                               ;   in Loop: Header=BB18_26 Depth=3
	v_add_u32_e32 v7, 16, v6
	v_cmp_ge_i32_e32 vcc, v7, v22
	s_andn2_b64 s[80:81], s[80:81], exec
	s_orn2_b64 s[82:83], vcc, exec
	s_branch .LBB18_25
.LBB18_32:                              ;   in Loop: Header=BB18_20 Depth=2
	s_or_b64 exec, exec, s[78:79]
	s_and_saveexec_b64 s[0:1], s[76:77]
	s_xor_b64 s[0:1], exec, s[0:1]
; %bb.33:                               ;   in Loop: Header=BB18_20 Depth=2
	v_min_i32_e32 v21, v24, v21
	v_mov_b32_e32 v1, v6
; %bb.34:                               ;   in Loop: Header=BB18_20 Depth=2
	s_or_b64 exec, exec, s[0:1]
.LBB18_35:                              ;   in Loop: Header=BB18_20 Depth=2
	s_or_b64 exec, exec, s[74:75]
	v_mov_b32_dpp v6, v1 row_shr:1 row_mask:0xf bank_mask:0xf
	v_min_i32_e32 v1, v6, v1
	s_nop 1
	v_mov_b32_dpp v6, v1 row_shr:2 row_mask:0xf bank_mask:0xf
	v_min_i32_e32 v1, v6, v1
	s_nop 1
	;; [unrolled: 3-line block ×3, first 2 shown]
	v_mov_b32_dpp v6, v1 row_shr:8 row_mask:0xf bank_mask:0xc
	s_and_saveexec_b64 s[0:1], s[4:5]
	s_cbranch_execz .LBB18_19
; %bb.36:                               ;   in Loop: Header=BB18_20 Depth=2
	v_min_i32_e32 v1, v6, v1
	global_store_dword v[4:5], v1, off
	s_branch .LBB18_19
.LBB18_37:                              ;   in Loop: Header=BB18_20 Depth=2
                                        ; implicit-def: $vgpr1
	s_branch .LBB18_22
.LBB18_38:                              ;   in Loop: Header=BB18_13 Depth=1
	s_or_b64 exec, exec, s[72:73]
.LBB18_39:                              ;   in Loop: Header=BB18_13 Depth=1
	s_or_b64 exec, exec, s[70:71]
	s_andn2_b64 vcc, exec, s[42:43]
	s_cbranch_vccnz .LBB18_53
; %bb.40:                               ;   in Loop: Header=BB18_13 Depth=1
	s_load_dwordx2 s[0:1], s[44:45], 0x0
	s_waitcnt lgkmcnt(0)
	s_sub_i32 s80, s1, s63
	v_add_u32_e32 v0, s0, v12
	v_cmp_gt_i32_e32 vcc, s80, v0
	s_and_saveexec_b64 s[40:41], vcc
	s_cbranch_execz .LBB18_52
; %bb.41:                               ;   in Loop: Header=BB18_13 Depth=1
	s_mov_b64 s[70:71], 0
                                        ; implicit-def: $sgpr72_sgpr73
                                        ; implicit-def: $sgpr74_sgpr75
	s_branch .LBB18_43
.LBB18_42:                              ;   in Loop: Header=BB18_43 Depth=2
	s_or_b64 exec, exec, s[78:79]
	s_and_b64 s[0:1], exec, s[76:77]
	s_or_b64 s[70:71], s[0:1], s[70:71]
	s_andn2_b64 s[0:1], s[72:73], exec
	s_and_b64 s[72:73], s[74:75], exec
	s_or_b64 s[72:73], s[0:1], s[72:73]
	s_andn2_b64 exec, exec, s[70:71]
	s_cbranch_execz .LBB18_49
.LBB18_43:                              ;   Parent Loop BB18_13 Depth=1
                                        ; =>  This Inner Loop Header: Depth=2
	v_ashrrev_i32_e32 v1, 31, v0
	v_lshl_add_u64 v[4:5], v[0:1], 2, s[46:47]
	global_load_dword v4, v[4:5], off
	s_waitcnt vmcnt(0)
	v_subrev_u32_e32 v4, s63, v4
	v_cmp_lt_i32_e32 vcc, v4, v20
	v_cmp_ge_i32_e64 s[0:1], v4, v19
	s_or_b64 s[76:77], vcc, s[0:1]
	s_mov_b64 s[0:1], 0
	s_and_saveexec_b64 s[78:79], s[76:77]
	s_xor_b64 s[76:77], exec, s[78:79]
; %bb.44:                               ;   in Loop: Header=BB18_43 Depth=2
	v_cmp_lt_i32_e32 vcc, v4, v19
	s_and_b64 s[0:1], vcc, exec
; %bb.45:                               ;   in Loop: Header=BB18_43 Depth=2
	s_andn2_saveexec_b64 s[76:77], s[76:77]
	s_cbranch_execz .LBB18_47
; %bb.46:                               ;   in Loop: Header=BB18_43 Depth=2
	v_lshl_add_u64 v[6:7], v[0:1], 2, s[48:49]
	global_load_dword v1, v[6:7], off
	v_sub_u32_e32 v5, v4, v20
	ds_write_b8 v5, v18 offset:8192
	v_lshlrev_b32_e32 v5, 2, v5
	s_or_b64 s[0:1], s[0:1], exec
	s_waitcnt vmcnt(0)
	v_mul_f32_e32 v1, v9, v1
	ds_add_f32 v5, v1
.LBB18_47:                              ;   in Loop: Header=BB18_43 Depth=2
	s_or_b64 exec, exec, s[76:77]
	s_mov_b64 s[76:77], -1
	s_or_b64 s[74:75], s[74:75], exec
	s_and_saveexec_b64 s[78:79], s[0:1]
	s_cbranch_execz .LBB18_42
; %bb.48:                               ;   in Loop: Header=BB18_43 Depth=2
	v_add_u32_e32 v0, 0x200, v0
	v_cmp_le_i32_e32 vcc, s80, v0
	s_andn2_b64 s[74:75], s[74:75], exec
	s_orn2_b64 s[76:77], vcc, exec
	s_branch .LBB18_42
.LBB18_49:                              ;   in Loop: Header=BB18_13 Depth=1
	s_or_b64 exec, exec, s[70:71]
	s_and_saveexec_b64 s[0:1], s[72:73]
	s_xor_b64 s[0:1], exec, s[0:1]
; %bb.50:                               ;   in Loop: Header=BB18_13 Depth=1
	v_min_i32_e32 v21, v4, v21
; %bb.51:                               ;   in Loop: Header=BB18_13 Depth=1
	s_or_b64 exec, exec, s[0:1]
.LBB18_52:                              ;   in Loop: Header=BB18_13 Depth=1
	s_or_b64 exec, exec, s[40:41]
.LBB18_53:                              ;   in Loop: Header=BB18_13 Depth=1
	v_mov_b32_dpp v0, v21 row_shr:1 row_mask:0xf bank_mask:0xf
	v_min_i32_e32 v0, v0, v21
	s_nop 1
	v_mov_b32_dpp v1, v0 row_shr:2 row_mask:0xf bank_mask:0xf
	v_min_i32_e32 v0, v1, v0
	s_nop 1
	;; [unrolled: 3-line block ×3, first 2 shown]
	v_mov_b32_dpp v1, v0 row_shr:8 row_mask:0xf bank_mask:0xc
	s_and_saveexec_b64 s[0:1], s[4:5]
	s_cbranch_execz .LBB18_58
; %bb.54:                               ;   in Loop: Header=BB18_13 Depth=1
	s_mov_b64 s[40:41], exec
	v_min_i32_e32 v0, v1, v0
	s_brev_b32 s70, -2
.LBB18_55:                              ;   Parent Loop BB18_13 Depth=1
                                        ; =>  This Inner Loop Header: Depth=2
	s_ff1_i32_b64 s71, s[40:41]
	v_readlane_b32 s74, v0, s71
	s_lshl_b64 s[72:73], 1, s71
	s_min_i32 s70, s70, s74
	s_andn2_b64 s[40:41], s[40:41], s[72:73]
	s_cmp_lg_u64 s[40:41], 0
	s_cbranch_scc1 .LBB18_55
; %bb.56:                               ;   in Loop: Header=BB18_13 Depth=1
	v_mbcnt_lo_u32_b32 v0, exec_lo, 0
	v_mbcnt_hi_u32_b32 v0, exec_hi, v0
	v_cmp_eq_u32_e32 vcc, 0, v0
	s_and_saveexec_b64 s[40:41], vcc
	s_xor_b64 s[40:41], exec, s[40:41]
; %bb.57:                               ;   in Loop: Header=BB18_13 Depth=1
	v_mov_b32_e32 v0, s70
	ds_min_i32 v16, v0 offset:10240
.LBB18_58:                              ;   in Loop: Header=BB18_13 Depth=1
	s_or_b64 exec, exec, s[0:1]
	s_mov_b64 s[0:1], 0
	v_mov_b32_e32 v0, v15
	v_mov_b32_e32 v1, v14
	s_waitcnt lgkmcnt(0)
	s_barrier
	s_branch .LBB18_60
.LBB18_59:                              ;   in Loop: Header=BB18_60 Depth=2
	s_or_b64 exec, exec, s[40:41]
	s_waitcnt lgkmcnt(0)
	s_barrier
	ds_read_b32 v4, v16 offset:60
	v_add_u32_e32 v1, 0x200, v1
	v_cmp_lt_u32_e32 vcc, s62, v1
	s_or_b64 s[0:1], vcc, s[0:1]
	v_add_u32_e32 v0, 0x800, v0
	s_waitcnt lgkmcnt(0)
	v_add_u32_e32 v17, v4, v17
	s_andn2_b64 exec, exec, s[0:1]
	s_cbranch_execz .LBB18_12
.LBB18_60:                              ;   Parent Loop BB18_13 Depth=1
                                        ; =>  This Inner Loop Header: Depth=2
	ds_read_u8 v6, v1 offset:8704
	ds_read_b32 v4, v0
	s_waitcnt lgkmcnt(0)
	s_barrier
	v_cmp_ne_u16_e32 vcc, 0, v6
	s_bcnt1_i32_b64 s40, vcc
	v_mov_b32_e32 v19, s40
	ds_write_b32 v13, v19
	s_waitcnt lgkmcnt(0)
	s_barrier
	ds_read_b128 v[20:23], v16
	v_and_b32_e32 v7, vcc_lo, v2
	v_and_b32_e32 v5, vcc_hi, v3
	v_bcnt_u32_b32 v7, v7, 0
	ds_read_b128 v[26:29], v16 offset:16
	ds_read_b128 v[30:33], v16 offset:32
	ds_read_b96 v[34:36], v16 offset:48
	v_bcnt_u32_b32 v5, v5, v7
	s_waitcnt lgkmcnt(3)
	v_cndmask_b32_e64 v7, v20, 0, s[8:9]
	v_add_u32_e32 v5, v7, v5
	v_cndmask_b32_e64 v7, v21, 0, s[10:11]
	v_cndmask_b32_e64 v19, v22, 0, s[12:13]
	v_add3_u32 v5, v5, v7, v19
	v_cndmask_b32_e64 v7, v23, 0, s[14:15]
	s_waitcnt lgkmcnt(2)
	v_cndmask_b32_e64 v19, v26, 0, s[16:17]
	v_add3_u32 v5, v5, v7, v19
	v_cndmask_b32_e64 v7, v27, 0, s[18:19]
	v_cndmask_b32_e64 v19, v28, 0, s[20:21]
	v_add3_u32 v5, v5, v7, v19
	v_cndmask_b32_e64 v7, v29, 0, s[22:23]
	s_waitcnt lgkmcnt(1)
	v_cndmask_b32_e64 v19, v30, 0, s[24:25]
	v_add3_u32 v5, v5, v7, v19
	;; [unrolled: 7-line block ×3, first 2 shown]
	v_cndmask_b32_e64 v7, v35, 0, s[36:37]
	v_cndmask_b32_e64 v19, v36, 0, s[38:39]
	v_and_b32_e32 v6, 1, v6
	v_add3_u32 v5, v5, v7, v19
	v_cmp_eq_u32_e32 vcc, 1, v6
	s_and_saveexec_b64 s[40:41], vcc
	s_cbranch_execz .LBB18_62
; %bb.61:                               ;   in Loop: Header=BB18_60 Depth=2
	v_add_u32_e32 v6, v5, v17
	v_ashrrev_i32_e32 v7, 31, v6
	v_lshl_add_u64 v[6:7], v[6:7], 2, s[64:65]
	global_store_dword v[6:7], v4, off offset:-4
.LBB18_62:                              ;   in Loop: Header=BB18_60 Depth=2
	s_or_b64 exec, exec, s[40:41]
	s_and_saveexec_b64 s[40:41], s[6:7]
	s_cbranch_execz .LBB18_59
; %bb.63:                               ;   in Loop: Header=BB18_60 Depth=2
	ds_write_b32 v16, v5 offset:60
	s_branch .LBB18_59
.LBB18_64:
	s_endpgm
	.section	.rodata,"a",@progbits
	.p2align	6, 0x0
	.amdhsa_kernel _ZN9rocsparseL51csrgemm_numeric_fill_block_per_row_multipass_kernelILj512ELj16ELj2048ELj32EiifEEvT4_PKS1_S3_NS_24const_host_device_scalarIT5_EEPKT3_S3_PKS5_S9_S3_SB_S6_S9_S3_SB_S9_S3_PS5_PS7_21rocsparse_index_base_SE_SE_SE_bbb
		.amdhsa_group_segment_fixed_size 10244
		.amdhsa_private_segment_fixed_size 0
		.amdhsa_kernarg_size 164
		.amdhsa_user_sgpr_count 2
		.amdhsa_user_sgpr_dispatch_ptr 0
		.amdhsa_user_sgpr_queue_ptr 0
		.amdhsa_user_sgpr_kernarg_segment_ptr 1
		.amdhsa_user_sgpr_dispatch_id 0
		.amdhsa_user_sgpr_kernarg_preload_length 0
		.amdhsa_user_sgpr_kernarg_preload_offset 0
		.amdhsa_user_sgpr_private_segment_size 0
		.amdhsa_uses_dynamic_stack 0
		.amdhsa_enable_private_segment 0
		.amdhsa_system_sgpr_workgroup_id_x 1
		.amdhsa_system_sgpr_workgroup_id_y 0
		.amdhsa_system_sgpr_workgroup_id_z 0
		.amdhsa_system_sgpr_workgroup_info 0
		.amdhsa_system_vgpr_workitem_id 0
		.amdhsa_next_free_vgpr 37
		.amdhsa_next_free_sgpr 87
		.amdhsa_accum_offset 40
		.amdhsa_reserve_vcc 1
		.amdhsa_float_round_mode_32 0
		.amdhsa_float_round_mode_16_64 0
		.amdhsa_float_denorm_mode_32 3
		.amdhsa_float_denorm_mode_16_64 3
		.amdhsa_dx10_clamp 1
		.amdhsa_ieee_mode 1
		.amdhsa_fp16_overflow 0
		.amdhsa_tg_split 0
		.amdhsa_exception_fp_ieee_invalid_op 0
		.amdhsa_exception_fp_denorm_src 0
		.amdhsa_exception_fp_ieee_div_zero 0
		.amdhsa_exception_fp_ieee_overflow 0
		.amdhsa_exception_fp_ieee_underflow 0
		.amdhsa_exception_fp_ieee_inexact 0
		.amdhsa_exception_int_div_zero 0
	.end_amdhsa_kernel
	.section	.text._ZN9rocsparseL51csrgemm_numeric_fill_block_per_row_multipass_kernelILj512ELj16ELj2048ELj32EiifEEvT4_PKS1_S3_NS_24const_host_device_scalarIT5_EEPKT3_S3_PKS5_S9_S3_SB_S6_S9_S3_SB_S9_S3_PS5_PS7_21rocsparse_index_base_SE_SE_SE_bbb,"axG",@progbits,_ZN9rocsparseL51csrgemm_numeric_fill_block_per_row_multipass_kernelILj512ELj16ELj2048ELj32EiifEEvT4_PKS1_S3_NS_24const_host_device_scalarIT5_EEPKT3_S3_PKS5_S9_S3_SB_S6_S9_S3_SB_S9_S3_PS5_PS7_21rocsparse_index_base_SE_SE_SE_bbb,comdat
.Lfunc_end18:
	.size	_ZN9rocsparseL51csrgemm_numeric_fill_block_per_row_multipass_kernelILj512ELj16ELj2048ELj32EiifEEvT4_PKS1_S3_NS_24const_host_device_scalarIT5_EEPKT3_S3_PKS5_S9_S3_SB_S6_S9_S3_SB_S9_S3_PS5_PS7_21rocsparse_index_base_SE_SE_SE_bbb, .Lfunc_end18-_ZN9rocsparseL51csrgemm_numeric_fill_block_per_row_multipass_kernelILj512ELj16ELj2048ELj32EiifEEvT4_PKS1_S3_NS_24const_host_device_scalarIT5_EEPKT3_S3_PKS5_S9_S3_SB_S6_S9_S3_SB_S9_S3_PS5_PS7_21rocsparse_index_base_SE_SE_SE_bbb
                                        ; -- End function
	.set _ZN9rocsparseL51csrgemm_numeric_fill_block_per_row_multipass_kernelILj512ELj16ELj2048ELj32EiifEEvT4_PKS1_S3_NS_24const_host_device_scalarIT5_EEPKT3_S3_PKS5_S9_S3_SB_S6_S9_S3_SB_S9_S3_PS5_PS7_21rocsparse_index_base_SE_SE_SE_bbb.num_vgpr, 37
	.set _ZN9rocsparseL51csrgemm_numeric_fill_block_per_row_multipass_kernelILj512ELj16ELj2048ELj32EiifEEvT4_PKS1_S3_NS_24const_host_device_scalarIT5_EEPKT3_S3_PKS5_S9_S3_SB_S6_S9_S3_SB_S9_S3_PS5_PS7_21rocsparse_index_base_SE_SE_SE_bbb.num_agpr, 0
	.set _ZN9rocsparseL51csrgemm_numeric_fill_block_per_row_multipass_kernelILj512ELj16ELj2048ELj32EiifEEvT4_PKS1_S3_NS_24const_host_device_scalarIT5_EEPKT3_S3_PKS5_S9_S3_SB_S6_S9_S3_SB_S9_S3_PS5_PS7_21rocsparse_index_base_SE_SE_SE_bbb.numbered_sgpr, 87
	.set _ZN9rocsparseL51csrgemm_numeric_fill_block_per_row_multipass_kernelILj512ELj16ELj2048ELj32EiifEEvT4_PKS1_S3_NS_24const_host_device_scalarIT5_EEPKT3_S3_PKS5_S9_S3_SB_S6_S9_S3_SB_S9_S3_PS5_PS7_21rocsparse_index_base_SE_SE_SE_bbb.num_named_barrier, 0
	.set _ZN9rocsparseL51csrgemm_numeric_fill_block_per_row_multipass_kernelILj512ELj16ELj2048ELj32EiifEEvT4_PKS1_S3_NS_24const_host_device_scalarIT5_EEPKT3_S3_PKS5_S9_S3_SB_S6_S9_S3_SB_S9_S3_PS5_PS7_21rocsparse_index_base_SE_SE_SE_bbb.private_seg_size, 0
	.set _ZN9rocsparseL51csrgemm_numeric_fill_block_per_row_multipass_kernelILj512ELj16ELj2048ELj32EiifEEvT4_PKS1_S3_NS_24const_host_device_scalarIT5_EEPKT3_S3_PKS5_S9_S3_SB_S6_S9_S3_SB_S9_S3_PS5_PS7_21rocsparse_index_base_SE_SE_SE_bbb.uses_vcc, 1
	.set _ZN9rocsparseL51csrgemm_numeric_fill_block_per_row_multipass_kernelILj512ELj16ELj2048ELj32EiifEEvT4_PKS1_S3_NS_24const_host_device_scalarIT5_EEPKT3_S3_PKS5_S9_S3_SB_S6_S9_S3_SB_S9_S3_PS5_PS7_21rocsparse_index_base_SE_SE_SE_bbb.uses_flat_scratch, 0
	.set _ZN9rocsparseL51csrgemm_numeric_fill_block_per_row_multipass_kernelILj512ELj16ELj2048ELj32EiifEEvT4_PKS1_S3_NS_24const_host_device_scalarIT5_EEPKT3_S3_PKS5_S9_S3_SB_S6_S9_S3_SB_S9_S3_PS5_PS7_21rocsparse_index_base_SE_SE_SE_bbb.has_dyn_sized_stack, 0
	.set _ZN9rocsparseL51csrgemm_numeric_fill_block_per_row_multipass_kernelILj512ELj16ELj2048ELj32EiifEEvT4_PKS1_S3_NS_24const_host_device_scalarIT5_EEPKT3_S3_PKS5_S9_S3_SB_S6_S9_S3_SB_S9_S3_PS5_PS7_21rocsparse_index_base_SE_SE_SE_bbb.has_recursion, 0
	.set _ZN9rocsparseL51csrgemm_numeric_fill_block_per_row_multipass_kernelILj512ELj16ELj2048ELj32EiifEEvT4_PKS1_S3_NS_24const_host_device_scalarIT5_EEPKT3_S3_PKS5_S9_S3_SB_S6_S9_S3_SB_S9_S3_PS5_PS7_21rocsparse_index_base_SE_SE_SE_bbb.has_indirect_call, 0
	.section	.AMDGPU.csdata,"",@progbits
; Kernel info:
; codeLenInByte = 2312
; TotalNumSgprs: 93
; NumVgprs: 37
; NumAgprs: 0
; TotalNumVgprs: 37
; ScratchSize: 0
; MemoryBound: 0
; FloatMode: 240
; IeeeMode: 1
; LDSByteSize: 10244 bytes/workgroup (compile time only)
; SGPRBlocks: 11
; VGPRBlocks: 4
; NumSGPRsForWavesPerEU: 93
; NumVGPRsForWavesPerEU: 37
; AccumOffset: 40
; Occupancy: 8
; WaveLimiterHint : 1
; COMPUTE_PGM_RSRC2:SCRATCH_EN: 0
; COMPUTE_PGM_RSRC2:USER_SGPR: 2
; COMPUTE_PGM_RSRC2:TRAP_HANDLER: 0
; COMPUTE_PGM_RSRC2:TGID_X_EN: 1
; COMPUTE_PGM_RSRC2:TGID_Y_EN: 0
; COMPUTE_PGM_RSRC2:TGID_Z_EN: 0
; COMPUTE_PGM_RSRC2:TIDIG_COMP_CNT: 0
; COMPUTE_PGM_RSRC3_GFX90A:ACCUM_OFFSET: 9
; COMPUTE_PGM_RSRC3_GFX90A:TG_SPLIT: 0
	.section	.text._ZN9rocsparseL51csrgemm_numeric_fill_block_per_row_multipass_kernelILj512ELj16ELj2048ELj64EiifEEvT4_PKS1_S3_NS_24const_host_device_scalarIT5_EEPKT3_S3_PKS5_S9_S3_SB_S6_S9_S3_SB_S9_S3_PS5_PS7_21rocsparse_index_base_SE_SE_SE_bbb,"axG",@progbits,_ZN9rocsparseL51csrgemm_numeric_fill_block_per_row_multipass_kernelILj512ELj16ELj2048ELj64EiifEEvT4_PKS1_S3_NS_24const_host_device_scalarIT5_EEPKT3_S3_PKS5_S9_S3_SB_S6_S9_S3_SB_S9_S3_PS5_PS7_21rocsparse_index_base_SE_SE_SE_bbb,comdat
	.globl	_ZN9rocsparseL51csrgemm_numeric_fill_block_per_row_multipass_kernelILj512ELj16ELj2048ELj64EiifEEvT4_PKS1_S3_NS_24const_host_device_scalarIT5_EEPKT3_S3_PKS5_S9_S3_SB_S6_S9_S3_SB_S9_S3_PS5_PS7_21rocsparse_index_base_SE_SE_SE_bbb ; -- Begin function _ZN9rocsparseL51csrgemm_numeric_fill_block_per_row_multipass_kernelILj512ELj16ELj2048ELj64EiifEEvT4_PKS1_S3_NS_24const_host_device_scalarIT5_EEPKT3_S3_PKS5_S9_S3_SB_S6_S9_S3_SB_S9_S3_PS5_PS7_21rocsparse_index_base_SE_SE_SE_bbb
	.p2align	8
	.type	_ZN9rocsparseL51csrgemm_numeric_fill_block_per_row_multipass_kernelILj512ELj16ELj2048ELj64EiifEEvT4_PKS1_S3_NS_24const_host_device_scalarIT5_EEPKT3_S3_PKS5_S9_S3_SB_S6_S9_S3_SB_S9_S3_PS5_PS7_21rocsparse_index_base_SE_SE_SE_bbb,@function
_ZN9rocsparseL51csrgemm_numeric_fill_block_per_row_multipass_kernelILj512ELj16ELj2048ELj64EiifEEvT4_PKS1_S3_NS_24const_host_device_scalarIT5_EEPKT3_S3_PKS5_S9_S3_SB_S6_S9_S3_SB_S9_S3_PS5_PS7_21rocsparse_index_base_SE_SE_SE_bbb: ; @_ZN9rocsparseL51csrgemm_numeric_fill_block_per_row_multipass_kernelILj512ELj16ELj2048ELj64EiifEEvT4_PKS1_S3_NS_24const_host_device_scalarIT5_EEPKT3_S3_PKS5_S9_S3_SB_S6_S9_S3_SB_S9_S3_PS5_PS7_21rocsparse_index_base_SE_SE_SE_bbb
; %bb.0:
	s_load_dword s3, s[0:1], 0xa0
	s_load_dwordx4 s[8:11], s[0:1], 0x8
	s_load_dwordx2 s[12:13], s[0:1], 0x18
	s_load_dwordx4 s[44:47], s[0:1], 0x90
	s_load_dwordx2 s[14:15], s[0:1], 0x50
	s_waitcnt lgkmcnt(0)
	s_bitcmp1_b32 s3, 0
	s_cselect_b64 s[6:7], -1, 0
	s_bitcmp1_b32 s3, 16
	s_cselect_b64 s[4:5], -1, 0
	s_xor_b64 s[16:17], s[6:7], -1
	s_or_b64 s[16:17], s[4:5], s[16:17]
	s_and_b64 vcc, exec, s[16:17]
	s_cbranch_vccnz .LBB19_2
; %bb.1:
	s_load_dword s12, s[12:13], 0x0
	s_waitcnt lgkmcnt(0)
	v_mov_b32_e32 v8, s12
	s_branch .LBB19_3
.LBB19_2:
	v_mov_b32_e32 v1, s12
	v_cndmask_b32_e64 v8, 0, v1, s[6:7]
.LBB19_3:
	s_load_dwordx2 s[12:13], s[0:1], 0x20
	s_bitcmp1_b32 s3, 8
	s_cselect_b64 s[20:21], -1, 0
	s_xor_b64 s[16:17], s[20:21], -1
	s_or_b64 s[16:17], s[4:5], s[16:17]
	s_mov_b32 s5, 0
	s_and_b64 vcc, exec, s[16:17]
	s_cbranch_vccnz .LBB19_5
; %bb.4:
	s_load_dword s3, s[14:15], 0x0
	s_waitcnt lgkmcnt(0)
	v_mov_b32_e32 v9, s3
	s_branch .LBB19_6
.LBB19_5:
	v_mov_b32_e32 v1, s14
	v_cndmask_b32_e64 v9, 0, v1, s[20:21]
.LBB19_6:
	s_load_dword s3, s[8:9], 0x0
	v_cndmask_b32_e64 v1, 0, 1, s[6:7]
	s_waitcnt lgkmcnt(0)
	s_add_i32 s4, s3, s2
	s_lshl_b64 s[2:3], s[4:5], 2
	s_add_u32 s2, s10, s2
	s_addc_u32 s3, s11, s3
	s_load_dword s8, s[2:3], 0x0
	v_cmp_ne_u32_e64 s[2:3], 1, v1
	s_andn2_b64 vcc, exec, s[6:7]
	s_cbranch_vccz .LBB19_9
; %bb.7:
	s_and_b64 vcc, exec, s[2:3]
	s_mov_b32 s33, 0
	s_cbranch_vccz .LBB19_10
.LBB19_8:
	s_load_dword s70, s[0:1], 0x0
	s_waitcnt lgkmcnt(0)
	s_cmp_lt_i32 s70, 1
	s_cbranch_scc0 .LBB19_11
	s_branch .LBB19_64
.LBB19_9:
	s_waitcnt lgkmcnt(0)
	s_ashr_i32 s9, s8, 31
	s_lshl_b64 s[4:5], s[8:9], 2
	s_add_u32 s4, s12, s4
	s_addc_u32 s5, s13, s5
	s_load_dword s4, s[4:5], 0x0
	s_waitcnt lgkmcnt(0)
	s_sub_i32 s5, s4, s44
	s_and_b64 vcc, exec, s[2:3]
	s_mov_b32 s33, 0
	s_cbranch_vccnz .LBB19_8
.LBB19_10:
	s_waitcnt lgkmcnt(0)
	s_ashr_i32 s9, s8, 31
	s_lshl_b64 s[2:3], s[8:9], 2
	s_add_u32 s2, s12, s2
	s_addc_u32 s3, s13, s3
	s_load_dword s2, s[2:3], 0x4
	s_waitcnt lgkmcnt(0)
	s_sub_i32 s33, s2, s44
	s_load_dword s70, s[0:1], 0x0
	s_waitcnt lgkmcnt(0)
	s_cmp_lt_i32 s70, 1
	s_cbranch_scc1 .LBB19_64
.LBB19_11:
	s_load_dwordx8 s[24:31], s[0:1], 0x58
	s_load_dwordx4 s[48:51], s[0:1], 0x80
	s_load_dwordx2 s[34:35], s[0:1], 0x48
	s_ashr_i32 s9, s8, 31
	s_lshl_b64 s[8:9], s[8:9], 2
	s_waitcnt lgkmcnt(0)
	s_add_u32 s2, s30, s8
	s_addc_u32 s3, s31, s9
	s_load_dword s4, s[2:3], 0x0
	s_load_dwordx8 s[36:43], s[0:1], 0x28
	v_lshrrev_b32_e32 v1, 4, v0
	v_add_u32_e32 v11, s5, v1
	v_mbcnt_lo_u32_b32 v2, -1, 0
	s_waitcnt lgkmcnt(0)
	s_sub_i32 s22, s4, s46
	v_cmp_gt_i32_e32 vcc, s33, v11
	s_add_u32 s30, s24, s8
	v_mbcnt_hi_u32_b32 v2, -1, v2
	s_movk_i32 s4, 0x1ff
	s_movk_i32 s8, 0x80
	;; [unrolled: 1-line block ×7, first 2 shown]
	v_and_b32_e32 v10, 15, v0
	v_cmp_eq_u32_e64 s[0:1], 0, v0
	s_addc_u32 s31, s25, s9
	v_subrev_u32_e32 v12, s47, v0
	v_sub_u32_e32 v2, 63, v2
	v_cmp_eq_u32_e64 s[4:5], s4, v0
	s_and_b64 s[52:53], s[6:7], vcc
	v_cmp_gt_u32_e64 s[6:7], 64, v0
	v_cmp_gt_u32_e64 s[8:9], s8, v0
	;; [unrolled: 1-line block ×7, first 2 shown]
	v_or_b32_e32 v14, 0xfffffe00, v0
	v_lshlrev_b32_e32 v15, 2, v0
	v_cndmask_b32_e64 v0, 0, 1, s[20:21]
	v_cmp_eq_u32_e64 s[2:3], 15, v10
	v_lshrrev_b64 v[2:3], v2, -1
	v_and_b32_e32 v13, 28, v1
	v_mov_b32_e32 v16, 0
	v_mov_b32_e32 v19, 0x800
	;; [unrolled: 1-line block ×3, first 2 shown]
	s_movk_i32 s46, 0x5ff
	v_mov_b32_e32 v25, s70
	v_mov_b32_e32 v18, 1
	v_cmp_ne_u32_e64 s[20:21], 1, v0
	v_mov_b32_e32 v20, 0
	s_branch .LBB19_13
.LBB19_12:                              ;   in Loop: Header=BB19_13 Depth=1
	s_or_b64 exec, exec, s[22:23]
	ds_read_b32 v20, v16 offset:10240
	s_waitcnt lgkmcnt(0)
	s_barrier
	v_cmp_le_i32_e32 vcc, s70, v20
	v_add_u32_e32 v19, 0x800, v20
	s_cbranch_vccnz .LBB19_64
.LBB19_13:                              ; =>This Loop Header: Depth=1
                                        ;     Child Loop BB19_14 Depth 2
                                        ;     Child Loop BB19_20 Depth 2
                                        ;       Child Loop BB19_26 Depth 3
                                        ;     Child Loop BB19_43 Depth 2
                                        ;     Child Loop BB19_55 Depth 2
	;; [unrolled: 1-line block ×3, first 2 shown]
	s_mov_b64 s[22:23], 0
	v_mov_b32_e32 v0, v15
	v_mov_b32_e32 v1, v14
.LBB19_14:                              ;   Parent Loop BB19_13 Depth=1
                                        ; =>  This Inner Loop Header: Depth=2
	ds_write_b8 v1, v16 offset:8704
	ds_write_b32 v0, v16
	v_add_u32_e32 v1, 0x200, v1
	v_cmp_lt_u32_e32 vcc, s46, v1
	s_or_b64 s[22:23], vcc, s[22:23]
	v_add_u32_e32 v0, 0x800, v0
	s_andn2_b64 exec, exec, s[22:23]
	s_cbranch_execnz .LBB19_14
; %bb.15:                               ;   in Loop: Header=BB19_13 Depth=1
	s_or_b64 exec, exec, s[22:23]
	s_and_saveexec_b64 s[22:23], s[0:1]
; %bb.16:                               ;   in Loop: Header=BB19_13 Depth=1
	ds_write_b32 v16, v25 offset:10240
; %bb.17:                               ;   in Loop: Header=BB19_13 Depth=1
	s_or_b64 exec, exec, s[22:23]
	v_mov_b32_e32 v21, s70
	s_waitcnt lgkmcnt(0)
	s_barrier
	s_and_saveexec_b64 s[54:55], s[52:53]
	s_cbranch_execz .LBB19_39
; %bb.18:                               ;   in Loop: Header=BB19_13 Depth=1
	s_mov_b64 s[56:57], 0
	v_cmp_ne_u32_e64 s[22:23], 0, v20
	v_mov_b32_e32 v21, s70
	v_mov_b32_e32 v0, v11
	s_branch .LBB19_20
.LBB19_19:                              ;   in Loop: Header=BB19_20 Depth=2
	s_or_b64 exec, exec, s[24:25]
	v_add_u32_e32 v0, 32, v0
	v_cmp_le_i32_e32 vcc, s33, v0
	s_or_b64 s[56:57], vcc, s[56:57]
	s_andn2_b64 exec, exec, s[56:57]
	s_cbranch_execz .LBB19_38
.LBB19_20:                              ;   Parent Loop BB19_13 Depth=1
                                        ; =>  This Loop Header: Depth=2
                                        ;       Child Loop BB19_26 Depth 3
	v_ashrrev_i32_e32 v1, 31, v0
	v_lshlrev_b64 v[4:5], 2, v[0:1]
	v_lshl_add_u64 v[6:7], s[36:37], 0, v[4:5]
	global_load_dword v6, v[6:7], off
	v_lshl_add_u64 v[4:5], s[38:39], 0, v[4:5]
	global_load_dword v23, v[4:5], off
	s_and_b64 vcc, exec, s[22:23]
	v_lshl_add_u64 v[4:5], v[0:1], 2, s[50:51]
	s_waitcnt vmcnt(1)
	v_subrev_u32_e32 v6, s44, v6
	v_ashrrev_i32_e32 v7, 31, v6
	s_cbranch_vccz .LBB19_37
; %bb.21:                               ;   in Loop: Header=BB19_20 Depth=2
	global_load_dword v1, v[4:5], off
	s_cbranch_execnz .LBB19_23
.LBB19_22:                              ;   in Loop: Header=BB19_20 Depth=2
	v_lshl_add_u64 v[26:27], v[6:7], 2, s[40:41]
	global_load_dword v1, v[26:27], off
	s_waitcnt vmcnt(0)
	v_subrev_u32_e32 v1, s45, v1
.LBB19_23:                              ;   in Loop: Header=BB19_20 Depth=2
	v_lshl_add_u64 v[6:7], v[6:7], 2, s[40:41]
	global_load_dword v6, v[6:7], off offset:4
	s_waitcnt vmcnt(1)
	v_add_u32_e32 v1, v1, v10
	s_waitcnt vmcnt(0)
	v_subrev_u32_e32 v22, s45, v6
	v_cmp_lt_i32_e32 vcc, v1, v22
	s_and_saveexec_b64 s[58:59], vcc
	s_cbranch_execz .LBB19_35
; %bb.24:                               ;   in Loop: Header=BB19_20 Depth=2
	v_mul_f32_e32 v23, v8, v23
	s_mov_b64 s[62:63], 0
	v_mov_b32_e32 v7, v1
                                        ; implicit-def: $sgpr60_sgpr61
                                        ; implicit-def: $sgpr64_sgpr65
	s_branch .LBB19_26
.LBB19_25:                              ;   in Loop: Header=BB19_26 Depth=3
	s_or_b64 exec, exec, s[68:69]
	s_and_b64 s[24:25], exec, s[66:67]
	s_or_b64 s[62:63], s[24:25], s[62:63]
	s_andn2_b64 s[24:25], s[60:61], exec
	s_and_b64 s[60:61], s[64:65], exec
	s_or_b64 s[60:61], s[24:25], s[60:61]
	s_andn2_b64 exec, exec, s[62:63]
	s_cbranch_execz .LBB19_32
.LBB19_26:                              ;   Parent Loop BB19_13 Depth=1
                                        ;     Parent Loop BB19_20 Depth=2
                                        ; =>    This Inner Loop Header: Depth=3
	v_mov_b32_e32 v6, v7
	v_ashrrev_i32_e32 v7, 31, v6
	v_lshl_add_u64 v[26:27], v[6:7], 2, s[42:43]
	global_load_dword v24, v[26:27], off
	s_waitcnt vmcnt(0)
	v_subrev_u32_e32 v24, s45, v24
	v_cmp_lt_i32_e32 vcc, v24, v20
	v_cmp_ge_i32_e64 s[24:25], v24, v19
	s_or_b64 s[66:67], vcc, s[24:25]
	s_mov_b64 s[24:25], 0
	s_and_saveexec_b64 s[68:69], s[66:67]
	s_xor_b64 s[66:67], exec, s[68:69]
; %bb.27:                               ;   in Loop: Header=BB19_26 Depth=3
	v_cmp_lt_i32_e32 vcc, v24, v19
	s_and_b64 s[24:25], vcc, exec
; %bb.28:                               ;   in Loop: Header=BB19_26 Depth=3
	s_andn2_saveexec_b64 s[66:67], s[66:67]
	s_cbranch_execz .LBB19_30
; %bb.29:                               ;   in Loop: Header=BB19_26 Depth=3
	v_lshl_add_u64 v[26:27], v[6:7], 2, s[34:35]
	global_load_dword v7, v[26:27], off
	v_sub_u32_e32 v26, v24, v20
	ds_write_b8 v26, v18 offset:8192
	v_lshlrev_b32_e32 v26, 2, v26
	s_or_b64 s[24:25], s[24:25], exec
	s_waitcnt vmcnt(0)
	v_mul_f32_e32 v7, v23, v7
	ds_add_f32 v26, v7
.LBB19_30:                              ;   in Loop: Header=BB19_26 Depth=3
	s_or_b64 exec, exec, s[66:67]
	s_mov_b64 s[66:67], -1
	s_or_b64 s[64:65], s[64:65], exec
                                        ; implicit-def: $vgpr7
	s_and_saveexec_b64 s[68:69], s[24:25]
	s_cbranch_execz .LBB19_25
; %bb.31:                               ;   in Loop: Header=BB19_26 Depth=3
	v_add_u32_e32 v7, 16, v6
	v_cmp_ge_i32_e32 vcc, v7, v22
	s_andn2_b64 s[64:65], s[64:65], exec
	s_orn2_b64 s[66:67], vcc, exec
	s_branch .LBB19_25
.LBB19_32:                              ;   in Loop: Header=BB19_20 Depth=2
	s_or_b64 exec, exec, s[62:63]
	s_and_saveexec_b64 s[24:25], s[60:61]
	s_xor_b64 s[24:25], exec, s[24:25]
; %bb.33:                               ;   in Loop: Header=BB19_20 Depth=2
	v_min_i32_e32 v21, v24, v21
	v_mov_b32_e32 v1, v6
; %bb.34:                               ;   in Loop: Header=BB19_20 Depth=2
	s_or_b64 exec, exec, s[24:25]
.LBB19_35:                              ;   in Loop: Header=BB19_20 Depth=2
	s_or_b64 exec, exec, s[58:59]
	v_mov_b32_dpp v6, v1 row_shr:1 row_mask:0xf bank_mask:0xf
	v_min_i32_e32 v1, v6, v1
	s_nop 1
	v_mov_b32_dpp v6, v1 row_shr:2 row_mask:0xf bank_mask:0xf
	v_min_i32_e32 v1, v6, v1
	s_nop 1
	;; [unrolled: 3-line block ×3, first 2 shown]
	v_mov_b32_dpp v6, v1 row_shr:8 row_mask:0xf bank_mask:0xc
	s_and_saveexec_b64 s[24:25], s[2:3]
	s_cbranch_execz .LBB19_19
; %bb.36:                               ;   in Loop: Header=BB19_20 Depth=2
	v_min_i32_e32 v1, v6, v1
	global_store_dword v[4:5], v1, off
	s_branch .LBB19_19
.LBB19_37:                              ;   in Loop: Header=BB19_20 Depth=2
                                        ; implicit-def: $vgpr1
	s_branch .LBB19_22
.LBB19_38:                              ;   in Loop: Header=BB19_13 Depth=1
	s_or_b64 exec, exec, s[56:57]
.LBB19_39:                              ;   in Loop: Header=BB19_13 Depth=1
	s_or_b64 exec, exec, s[54:55]
	s_and_b64 vcc, exec, s[20:21]
	s_cbranch_vccnz .LBB19_53
; %bb.40:                               ;   in Loop: Header=BB19_13 Depth=1
	s_load_dwordx2 s[22:23], s[30:31], 0x0
	s_waitcnt lgkmcnt(0)
	s_sub_i32 s64, s23, s47
	v_add_u32_e32 v0, s22, v12
	v_cmp_gt_i32_e32 vcc, s64, v0
	s_and_saveexec_b64 s[24:25], vcc
	s_cbranch_execz .LBB19_52
; %bb.41:                               ;   in Loop: Header=BB19_13 Depth=1
	s_mov_b64 s[54:55], 0
                                        ; implicit-def: $sgpr56_sgpr57
                                        ; implicit-def: $sgpr58_sgpr59
	s_branch .LBB19_43
.LBB19_42:                              ;   in Loop: Header=BB19_43 Depth=2
	s_or_b64 exec, exec, s[62:63]
	s_and_b64 s[22:23], exec, s[60:61]
	s_or_b64 s[54:55], s[22:23], s[54:55]
	s_andn2_b64 s[22:23], s[56:57], exec
	s_and_b64 s[56:57], s[58:59], exec
	s_or_b64 s[56:57], s[22:23], s[56:57]
	s_andn2_b64 exec, exec, s[54:55]
	s_cbranch_execz .LBB19_49
.LBB19_43:                              ;   Parent Loop BB19_13 Depth=1
                                        ; =>  This Inner Loop Header: Depth=2
	v_ashrrev_i32_e32 v1, 31, v0
	v_lshl_add_u64 v[4:5], v[0:1], 2, s[26:27]
	global_load_dword v4, v[4:5], off
	s_waitcnt vmcnt(0)
	v_subrev_u32_e32 v4, s47, v4
	v_cmp_lt_i32_e32 vcc, v4, v20
	v_cmp_ge_i32_e64 s[22:23], v4, v19
	s_or_b64 s[60:61], vcc, s[22:23]
	s_mov_b64 s[22:23], 0
	s_and_saveexec_b64 s[62:63], s[60:61]
	s_xor_b64 s[60:61], exec, s[62:63]
; %bb.44:                               ;   in Loop: Header=BB19_43 Depth=2
	v_cmp_lt_i32_e32 vcc, v4, v19
	s_and_b64 s[22:23], vcc, exec
; %bb.45:                               ;   in Loop: Header=BB19_43 Depth=2
	s_andn2_saveexec_b64 s[60:61], s[60:61]
	s_cbranch_execz .LBB19_47
; %bb.46:                               ;   in Loop: Header=BB19_43 Depth=2
	v_lshl_add_u64 v[6:7], v[0:1], 2, s[28:29]
	global_load_dword v1, v[6:7], off
	v_sub_u32_e32 v5, v4, v20
	ds_write_b8 v5, v18 offset:8192
	v_lshlrev_b32_e32 v5, 2, v5
	s_or_b64 s[22:23], s[22:23], exec
	s_waitcnt vmcnt(0)
	v_mul_f32_e32 v1, v9, v1
	ds_add_f32 v5, v1
.LBB19_47:                              ;   in Loop: Header=BB19_43 Depth=2
	s_or_b64 exec, exec, s[60:61]
	s_mov_b64 s[60:61], -1
	s_or_b64 s[58:59], s[58:59], exec
	s_and_saveexec_b64 s[62:63], s[22:23]
	s_cbranch_execz .LBB19_42
; %bb.48:                               ;   in Loop: Header=BB19_43 Depth=2
	v_add_u32_e32 v0, 0x200, v0
	v_cmp_le_i32_e32 vcc, s64, v0
	s_andn2_b64 s[58:59], s[58:59], exec
	s_orn2_b64 s[60:61], vcc, exec
	s_branch .LBB19_42
.LBB19_49:                              ;   in Loop: Header=BB19_13 Depth=1
	s_or_b64 exec, exec, s[54:55]
	s_and_saveexec_b64 s[22:23], s[56:57]
	s_xor_b64 s[22:23], exec, s[22:23]
; %bb.50:                               ;   in Loop: Header=BB19_13 Depth=1
	v_min_i32_e32 v21, v4, v21
; %bb.51:                               ;   in Loop: Header=BB19_13 Depth=1
	s_or_b64 exec, exec, s[22:23]
.LBB19_52:                              ;   in Loop: Header=BB19_13 Depth=1
	s_or_b64 exec, exec, s[24:25]
.LBB19_53:                              ;   in Loop: Header=BB19_13 Depth=1
	v_mov_b32_dpp v0, v21 row_shr:1 row_mask:0xf bank_mask:0xf
	v_min_i32_e32 v0, v0, v21
	s_nop 1
	v_mov_b32_dpp v1, v0 row_shr:2 row_mask:0xf bank_mask:0xf
	v_min_i32_e32 v0, v1, v0
	s_nop 1
	;; [unrolled: 3-line block ×3, first 2 shown]
	v_mov_b32_dpp v1, v0 row_shr:8 row_mask:0xf bank_mask:0xc
	s_and_saveexec_b64 s[22:23], s[2:3]
	s_cbranch_execz .LBB19_58
; %bb.54:                               ;   in Loop: Header=BB19_13 Depth=1
	s_mov_b64 s[24:25], exec
	v_min_i32_e32 v0, v1, v0
	s_brev_b32 s54, -2
.LBB19_55:                              ;   Parent Loop BB19_13 Depth=1
                                        ; =>  This Inner Loop Header: Depth=2
	s_ff1_i32_b64 s55, s[24:25]
	v_readlane_b32 s58, v0, s55
	s_lshl_b64 s[56:57], 1, s55
	s_min_i32 s54, s54, s58
	s_andn2_b64 s[24:25], s[24:25], s[56:57]
	s_cmp_lg_u64 s[24:25], 0
	s_cbranch_scc1 .LBB19_55
; %bb.56:                               ;   in Loop: Header=BB19_13 Depth=1
	v_mbcnt_lo_u32_b32 v0, exec_lo, 0
	v_mbcnt_hi_u32_b32 v0, exec_hi, v0
	v_cmp_eq_u32_e32 vcc, 0, v0
	s_and_saveexec_b64 s[24:25], vcc
	s_xor_b64 s[24:25], exec, s[24:25]
; %bb.57:                               ;   in Loop: Header=BB19_13 Depth=1
	v_mov_b32_e32 v0, s54
	ds_min_i32 v16, v0 offset:10240
.LBB19_58:                              ;   in Loop: Header=BB19_13 Depth=1
	s_or_b64 exec, exec, s[22:23]
	s_mov_b64 s[22:23], 0
	v_mov_b32_e32 v0, v15
	v_mov_b32_e32 v1, v14
	s_waitcnt lgkmcnt(0)
	s_barrier
	s_branch .LBB19_60
.LBB19_59:                              ;   in Loop: Header=BB19_60 Depth=2
	s_or_b64 exec, exec, s[24:25]
	s_waitcnt lgkmcnt(0)
	s_barrier
	ds_read_b32 v4, v16 offset:28
	v_add_u32_e32 v1, 0x200, v1
	v_cmp_lt_u32_e32 vcc, s46, v1
	s_or_b64 s[22:23], vcc, s[22:23]
	v_add_u32_e32 v0, 0x800, v0
	s_waitcnt lgkmcnt(0)
	v_add_u32_e32 v17, v4, v17
	s_andn2_b64 exec, exec, s[22:23]
	s_cbranch_execz .LBB19_12
.LBB19_60:                              ;   Parent Loop BB19_13 Depth=1
                                        ; =>  This Inner Loop Header: Depth=2
	ds_read_u8 v6, v1 offset:8704
	ds_read_b32 v4, v0
	s_waitcnt lgkmcnt(0)
	s_barrier
	v_cmp_ne_u16_e32 vcc, 0, v6
	s_bcnt1_i32_b64 s24, vcc
	v_mov_b32_e32 v7, s24
	ds_write_b32 v13, v7
	s_waitcnt lgkmcnt(0)
	s_barrier
	ds_read_b128 v[20:23], v16
	ds_read_b96 v[26:28], v16 offset:16
	v_and_b32_e32 v7, vcc_lo, v2
	v_and_b32_e32 v5, vcc_hi, v3
	v_bcnt_u32_b32 v7, v7, 0
	v_bcnt_u32_b32 v5, v5, v7
	s_waitcnt lgkmcnt(1)
	v_cndmask_b32_e64 v7, v20, 0, s[6:7]
	v_add_u32_e32 v5, v7, v5
	v_cndmask_b32_e64 v7, v21, 0, s[8:9]
	v_cndmask_b32_e64 v19, v22, 0, s[10:11]
	v_add3_u32 v5, v5, v7, v19
	v_cndmask_b32_e64 v7, v23, 0, s[12:13]
	s_waitcnt lgkmcnt(0)
	v_cndmask_b32_e64 v19, v26, 0, s[14:15]
	v_add3_u32 v5, v5, v7, v19
	v_cndmask_b32_e64 v7, v27, 0, s[16:17]
	v_cndmask_b32_e64 v19, v28, 0, s[18:19]
	v_and_b32_e32 v6, 1, v6
	v_add3_u32 v5, v5, v7, v19
	v_cmp_eq_u32_e32 vcc, 1, v6
	s_and_saveexec_b64 s[24:25], vcc
	s_cbranch_execz .LBB19_62
; %bb.61:                               ;   in Loop: Header=BB19_60 Depth=2
	v_add_u32_e32 v6, v5, v17
	v_ashrrev_i32_e32 v7, 31, v6
	v_lshl_add_u64 v[6:7], v[6:7], 2, s[48:49]
	global_store_dword v[6:7], v4, off offset:-4
.LBB19_62:                              ;   in Loop: Header=BB19_60 Depth=2
	s_or_b64 exec, exec, s[24:25]
	s_and_saveexec_b64 s[24:25], s[4:5]
	s_cbranch_execz .LBB19_59
; %bb.63:                               ;   in Loop: Header=BB19_60 Depth=2
	ds_write_b32 v16, v5 offset:28
	s_branch .LBB19_59
.LBB19_64:
	s_endpgm
	.section	.rodata,"a",@progbits
	.p2align	6, 0x0
	.amdhsa_kernel _ZN9rocsparseL51csrgemm_numeric_fill_block_per_row_multipass_kernelILj512ELj16ELj2048ELj64EiifEEvT4_PKS1_S3_NS_24const_host_device_scalarIT5_EEPKT3_S3_PKS5_S9_S3_SB_S6_S9_S3_SB_S9_S3_PS5_PS7_21rocsparse_index_base_SE_SE_SE_bbb
		.amdhsa_group_segment_fixed_size 10244
		.amdhsa_private_segment_fixed_size 0
		.amdhsa_kernarg_size 164
		.amdhsa_user_sgpr_count 2
		.amdhsa_user_sgpr_dispatch_ptr 0
		.amdhsa_user_sgpr_queue_ptr 0
		.amdhsa_user_sgpr_kernarg_segment_ptr 1
		.amdhsa_user_sgpr_dispatch_id 0
		.amdhsa_user_sgpr_kernarg_preload_length 0
		.amdhsa_user_sgpr_kernarg_preload_offset 0
		.amdhsa_user_sgpr_private_segment_size 0
		.amdhsa_uses_dynamic_stack 0
		.amdhsa_enable_private_segment 0
		.amdhsa_system_sgpr_workgroup_id_x 1
		.amdhsa_system_sgpr_workgroup_id_y 0
		.amdhsa_system_sgpr_workgroup_id_z 0
		.amdhsa_system_sgpr_workgroup_info 0
		.amdhsa_system_vgpr_workitem_id 0
		.amdhsa_next_free_vgpr 29
		.amdhsa_next_free_sgpr 71
		.amdhsa_accum_offset 32
		.amdhsa_reserve_vcc 1
		.amdhsa_float_round_mode_32 0
		.amdhsa_float_round_mode_16_64 0
		.amdhsa_float_denorm_mode_32 3
		.amdhsa_float_denorm_mode_16_64 3
		.amdhsa_dx10_clamp 1
		.amdhsa_ieee_mode 1
		.amdhsa_fp16_overflow 0
		.amdhsa_tg_split 0
		.amdhsa_exception_fp_ieee_invalid_op 0
		.amdhsa_exception_fp_denorm_src 0
		.amdhsa_exception_fp_ieee_div_zero 0
		.amdhsa_exception_fp_ieee_overflow 0
		.amdhsa_exception_fp_ieee_underflow 0
		.amdhsa_exception_fp_ieee_inexact 0
		.amdhsa_exception_int_div_zero 0
	.end_amdhsa_kernel
	.section	.text._ZN9rocsparseL51csrgemm_numeric_fill_block_per_row_multipass_kernelILj512ELj16ELj2048ELj64EiifEEvT4_PKS1_S3_NS_24const_host_device_scalarIT5_EEPKT3_S3_PKS5_S9_S3_SB_S6_S9_S3_SB_S9_S3_PS5_PS7_21rocsparse_index_base_SE_SE_SE_bbb,"axG",@progbits,_ZN9rocsparseL51csrgemm_numeric_fill_block_per_row_multipass_kernelILj512ELj16ELj2048ELj64EiifEEvT4_PKS1_S3_NS_24const_host_device_scalarIT5_EEPKT3_S3_PKS5_S9_S3_SB_S6_S9_S3_SB_S9_S3_PS5_PS7_21rocsparse_index_base_SE_SE_SE_bbb,comdat
.Lfunc_end19:
	.size	_ZN9rocsparseL51csrgemm_numeric_fill_block_per_row_multipass_kernelILj512ELj16ELj2048ELj64EiifEEvT4_PKS1_S3_NS_24const_host_device_scalarIT5_EEPKT3_S3_PKS5_S9_S3_SB_S6_S9_S3_SB_S9_S3_PS5_PS7_21rocsparse_index_base_SE_SE_SE_bbb, .Lfunc_end19-_ZN9rocsparseL51csrgemm_numeric_fill_block_per_row_multipass_kernelILj512ELj16ELj2048ELj64EiifEEvT4_PKS1_S3_NS_24const_host_device_scalarIT5_EEPKT3_S3_PKS5_S9_S3_SB_S6_S9_S3_SB_S9_S3_PS5_PS7_21rocsparse_index_base_SE_SE_SE_bbb
                                        ; -- End function
	.set _ZN9rocsparseL51csrgemm_numeric_fill_block_per_row_multipass_kernelILj512ELj16ELj2048ELj64EiifEEvT4_PKS1_S3_NS_24const_host_device_scalarIT5_EEPKT3_S3_PKS5_S9_S3_SB_S6_S9_S3_SB_S9_S3_PS5_PS7_21rocsparse_index_base_SE_SE_SE_bbb.num_vgpr, 29
	.set _ZN9rocsparseL51csrgemm_numeric_fill_block_per_row_multipass_kernelILj512ELj16ELj2048ELj64EiifEEvT4_PKS1_S3_NS_24const_host_device_scalarIT5_EEPKT3_S3_PKS5_S9_S3_SB_S6_S9_S3_SB_S9_S3_PS5_PS7_21rocsparse_index_base_SE_SE_SE_bbb.num_agpr, 0
	.set _ZN9rocsparseL51csrgemm_numeric_fill_block_per_row_multipass_kernelILj512ELj16ELj2048ELj64EiifEEvT4_PKS1_S3_NS_24const_host_device_scalarIT5_EEPKT3_S3_PKS5_S9_S3_SB_S6_S9_S3_SB_S9_S3_PS5_PS7_21rocsparse_index_base_SE_SE_SE_bbb.numbered_sgpr, 71
	.set _ZN9rocsparseL51csrgemm_numeric_fill_block_per_row_multipass_kernelILj512ELj16ELj2048ELj64EiifEEvT4_PKS1_S3_NS_24const_host_device_scalarIT5_EEPKT3_S3_PKS5_S9_S3_SB_S6_S9_S3_SB_S9_S3_PS5_PS7_21rocsparse_index_base_SE_SE_SE_bbb.num_named_barrier, 0
	.set _ZN9rocsparseL51csrgemm_numeric_fill_block_per_row_multipass_kernelILj512ELj16ELj2048ELj64EiifEEvT4_PKS1_S3_NS_24const_host_device_scalarIT5_EEPKT3_S3_PKS5_S9_S3_SB_S6_S9_S3_SB_S9_S3_PS5_PS7_21rocsparse_index_base_SE_SE_SE_bbb.private_seg_size, 0
	.set _ZN9rocsparseL51csrgemm_numeric_fill_block_per_row_multipass_kernelILj512ELj16ELj2048ELj64EiifEEvT4_PKS1_S3_NS_24const_host_device_scalarIT5_EEPKT3_S3_PKS5_S9_S3_SB_S6_S9_S3_SB_S9_S3_PS5_PS7_21rocsparse_index_base_SE_SE_SE_bbb.uses_vcc, 1
	.set _ZN9rocsparseL51csrgemm_numeric_fill_block_per_row_multipass_kernelILj512ELj16ELj2048ELj64EiifEEvT4_PKS1_S3_NS_24const_host_device_scalarIT5_EEPKT3_S3_PKS5_S9_S3_SB_S6_S9_S3_SB_S9_S3_PS5_PS7_21rocsparse_index_base_SE_SE_SE_bbb.uses_flat_scratch, 0
	.set _ZN9rocsparseL51csrgemm_numeric_fill_block_per_row_multipass_kernelILj512ELj16ELj2048ELj64EiifEEvT4_PKS1_S3_NS_24const_host_device_scalarIT5_EEPKT3_S3_PKS5_S9_S3_SB_S6_S9_S3_SB_S9_S3_PS5_PS7_21rocsparse_index_base_SE_SE_SE_bbb.has_dyn_sized_stack, 0
	.set _ZN9rocsparseL51csrgemm_numeric_fill_block_per_row_multipass_kernelILj512ELj16ELj2048ELj64EiifEEvT4_PKS1_S3_NS_24const_host_device_scalarIT5_EEPKT3_S3_PKS5_S9_S3_SB_S6_S9_S3_SB_S9_S3_PS5_PS7_21rocsparse_index_base_SE_SE_SE_bbb.has_recursion, 0
	.set _ZN9rocsparseL51csrgemm_numeric_fill_block_per_row_multipass_kernelILj512ELj16ELj2048ELj64EiifEEvT4_PKS1_S3_NS_24const_host_device_scalarIT5_EEPKT3_S3_PKS5_S9_S3_SB_S6_S9_S3_SB_S9_S3_PS5_PS7_21rocsparse_index_base_SE_SE_SE_bbb.has_indirect_call, 0
	.section	.AMDGPU.csdata,"",@progbits
; Kernel info:
; codeLenInByte = 2112
; TotalNumSgprs: 77
; NumVgprs: 29
; NumAgprs: 0
; TotalNumVgprs: 29
; ScratchSize: 0
; MemoryBound: 0
; FloatMode: 240
; IeeeMode: 1
; LDSByteSize: 10244 bytes/workgroup (compile time only)
; SGPRBlocks: 9
; VGPRBlocks: 3
; NumSGPRsForWavesPerEU: 77
; NumVGPRsForWavesPerEU: 29
; AccumOffset: 32
; Occupancy: 8
; WaveLimiterHint : 1
; COMPUTE_PGM_RSRC2:SCRATCH_EN: 0
; COMPUTE_PGM_RSRC2:USER_SGPR: 2
; COMPUTE_PGM_RSRC2:TRAP_HANDLER: 0
; COMPUTE_PGM_RSRC2:TGID_X_EN: 1
; COMPUTE_PGM_RSRC2:TGID_Y_EN: 0
; COMPUTE_PGM_RSRC2:TGID_Z_EN: 0
; COMPUTE_PGM_RSRC2:TIDIG_COMP_CNT: 0
; COMPUTE_PGM_RSRC3_GFX90A:ACCUM_OFFSET: 7
; COMPUTE_PGM_RSRC3_GFX90A:TG_SPLIT: 0
	.section	.text._ZN9rocsparseL38csrgemm_numeric_fill_wf_per_row_kernelILj256ELj8ELj16ELj137EiidEEvT4_S1_PKS1_S3_NS_24const_host_device_scalarIT5_EEPKT3_S3_PKS5_S9_S3_SB_S6_S9_S3_SB_S9_S3_PS5_21rocsparse_index_base_SD_SD_SD_bbb,"axG",@progbits,_ZN9rocsparseL38csrgemm_numeric_fill_wf_per_row_kernelILj256ELj8ELj16ELj137EiidEEvT4_S1_PKS1_S3_NS_24const_host_device_scalarIT5_EEPKT3_S3_PKS5_S9_S3_SB_S6_S9_S3_SB_S9_S3_PS5_21rocsparse_index_base_SD_SD_SD_bbb,comdat
	.globl	_ZN9rocsparseL38csrgemm_numeric_fill_wf_per_row_kernelILj256ELj8ELj16ELj137EiidEEvT4_S1_PKS1_S3_NS_24const_host_device_scalarIT5_EEPKT3_S3_PKS5_S9_S3_SB_S6_S9_S3_SB_S9_S3_PS5_21rocsparse_index_base_SD_SD_SD_bbb ; -- Begin function _ZN9rocsparseL38csrgemm_numeric_fill_wf_per_row_kernelILj256ELj8ELj16ELj137EiidEEvT4_S1_PKS1_S3_NS_24const_host_device_scalarIT5_EEPKT3_S3_PKS5_S9_S3_SB_S6_S9_S3_SB_S9_S3_PS5_21rocsparse_index_base_SD_SD_SD_bbb
	.p2align	8
	.type	_ZN9rocsparseL38csrgemm_numeric_fill_wf_per_row_kernelILj256ELj8ELj16ELj137EiidEEvT4_S1_PKS1_S3_NS_24const_host_device_scalarIT5_EEPKT3_S3_PKS5_S9_S3_SB_S6_S9_S3_SB_S9_S3_PS5_21rocsparse_index_base_SD_SD_SD_bbb,@function
_ZN9rocsparseL38csrgemm_numeric_fill_wf_per_row_kernelILj256ELj8ELj16ELj137EiidEEvT4_S1_PKS1_S3_NS_24const_host_device_scalarIT5_EEPKT3_S3_PKS5_S9_S3_SB_S6_S9_S3_SB_S9_S3_PS5_21rocsparse_index_base_SD_SD_SD_bbb: ; @_ZN9rocsparseL38csrgemm_numeric_fill_wf_per_row_kernelILj256ELj8ELj16ELj137EiidEEvT4_S1_PKS1_S3_NS_24const_host_device_scalarIT5_EEPKT3_S3_PKS5_S9_S3_SB_S6_S9_S3_SB_S9_S3_PS5_21rocsparse_index_base_SD_SD_SD_bbb
; %bb.0:
	s_load_dword s3, s[0:1], 0x98
	s_load_dwordx4 s[20:23], s[0:1], 0x88
	s_load_dwordx2 s[4:5], s[0:1], 0x18
	s_load_dwordx2 s[40:41], s[0:1], 0x50
	s_waitcnt lgkmcnt(0)
	s_bitcmp1_b32 s3, 0
	s_cselect_b64 s[38:39], -1, 0
	s_bitcmp1_b32 s3, 16
	s_cselect_b64 s[42:43], -1, 0
	s_xor_b64 s[6:7], s[38:39], -1
	s_or_b64 s[6:7], s[42:43], s[6:7]
	s_and_b64 s[8:9], s[38:39], exec
	s_cselect_b32 s9, s5, 0
	s_cselect_b32 s8, s4, 0
	s_and_b64 vcc, exec, s[6:7]
	v_mov_b64_e32 v[4:5], s[8:9]
	s_cbranch_vccnz .LBB20_2
; %bb.1:
	v_mov_b64_e32 v[2:3], s[4:5]
	flat_load_dwordx2 v[4:5], v[2:3]
.LBB20_2:
	s_load_dwordx2 s[34:35], s[0:1], 0x80
	s_load_dwordx8 s[4:11], s[0:1], 0x58
	s_load_dwordx4 s[24:27], s[0:1], 0x40
	s_load_dwordx4 s[28:31], s[0:1], 0x8
	s_load_dwordx8 s[12:19], s[0:1], 0x20
	s_bitcmp1_b32 s3, 8
	s_cselect_b64 s[36:37], -1, 0
	s_xor_b64 s[44:45], s[36:37], -1
	s_or_b64 s[42:43], s[42:43], s[44:45]
	s_and_b64 s[44:45], s[36:37], exec
	s_cselect_b32 s45, s41, 0
	s_cselect_b32 s44, s40, 0
	s_and_b64 vcc, exec, s[42:43]
	v_mov_b64_e32 v[2:3], s[44:45]
	s_cbranch_vccnz .LBB20_4
; %bb.3:
	v_mov_b64_e32 v[2:3], s[40:41]
	flat_load_dwordx2 v[2:3], v[2:3]
.LBB20_4:
	s_load_dwordx2 s[0:1], s[0:1], 0x0
	v_and_b32_e32 v19, 7, v0
	v_lshrrev_b32_e32 v1, 3, v0
	v_lshlrev_b32_e32 v0, 3, v19
	v_lshl_or_b32 v15, v1, 7, v0
	v_lshlrev_b32_e32 v0, 6, v1
	v_lshlrev_b32_e32 v6, 2, v19
	s_movk_i32 s3, 0x1000
	v_or_b32_e32 v14, -8, v19
	v_or3_b32 v16, v0, v6, s3
	v_mov_b32_e32 v8, 0
	s_mov_b64 s[40:41], 0
	s_waitcnt lgkmcnt(0)
	v_mov_b32_e32 v10, s1
	v_mov_b32_e32 v9, v8
	v_mov_b32_e32 v0, v16
	v_mov_b32_e32 v6, v15
	v_mov_b32_e32 v7, v14
.LBB20_5:                               ; =>This Inner Loop Header: Depth=1
	v_add_co_u32_e32 v7, vcc, 8, v7
	s_xor_b64 s[42:43], vcc, -1
	s_and_b64 s[42:43], exec, s[42:43]
	ds_write_b32 v0, v10
	ds_write_b64 v6, v[8:9]
	v_add_u32_e32 v6, 64, v6
	s_or_b64 s[40:41], s[42:43], s[40:41]
	v_add_u32_e32 v0, 32, v0
	s_andn2_b64 exec, exec, s[40:41]
	s_cbranch_execnz .LBB20_5
; %bb.6:
	s_or_b64 exec, exec, s[40:41]
	s_lshl_b32 s2, s2, 5
	s_and_b32 s2, s2, 0x1fffffe0
	v_or_b32_e32 v0, s2, v1
	v_cmp_gt_i32_e32 vcc, s0, v0
	s_waitcnt lgkmcnt(0)
	s_and_saveexec_b64 s[2:3], vcc
	s_cbranch_execz .LBB20_46
; %bb.7:
	s_cmp_eq_u64 s[30:31], 0
	s_cbranch_scc1 .LBB20_9
; %bb.8:
	s_load_dword s0, s[28:29], 0x0
	s_waitcnt lgkmcnt(0)
	v_add_u32_e32 v6, s0, v0
	v_ashrrev_i32_e32 v7, 31, v6
	v_lshl_add_u64 v[6:7], v[6:7], 2, s[30:31]
	global_load_dword v0, v[6:7], off
.LBB20_9:
	v_mov_b32_e32 v6, 0x1000
	v_lshl_or_b32 v17, v1, 6, v6
	v_lshlrev_b32_e32 v18, 7, v1
	s_andn2_b64 vcc, exec, s[38:39]
	s_waitcnt vmcnt(0)
	v_ashrrev_i32_e32 v1, 31, v0
	s_cbranch_vccnz .LBB20_27
; %bb.10:
	v_lshl_add_u64 v[6:7], v[0:1], 2, s[12:13]
	global_load_dwordx2 v[6:7], v[6:7], off
	v_subrev_u32_e32 v8, s20, v19
	s_waitcnt vmcnt(0)
	v_subrev_u32_e32 v20, s20, v7
	v_add_u32_e32 v6, v6, v8
	v_cmp_lt_i32_e32 vcc, v6, v20
	s_and_saveexec_b64 s[2:3], vcc
	s_cbranch_execz .LBB20_26
; %bb.11:
	s_mov_b64 s[12:13], 0
	s_branch .LBB20_13
.LBB20_12:                              ;   in Loop: Header=BB20_13 Depth=1
	s_or_b64 exec, exec, s[28:29]
	v_add_u32_e32 v6, 8, v6
	v_cmp_ge_i32_e32 vcc, v6, v20
	s_or_b64 s[12:13], vcc, s[12:13]
	s_andn2_b64 exec, exec, s[12:13]
	s_cbranch_execz .LBB20_26
.LBB20_13:                              ; =>This Loop Header: Depth=1
                                        ;     Child Loop BB20_17 Depth 2
                                        ;       Child Loop BB20_20 Depth 3
	v_ashrrev_i32_e32 v7, 31, v6
	v_lshl_add_u64 v[8:9], v[6:7], 2, s[14:15]
	global_load_dword v8, v[8:9], off
	s_waitcnt vmcnt(0)
	v_subrev_u32_e32 v8, s20, v8
	v_ashrrev_i32_e32 v9, 31, v8
	v_lshl_add_u64 v[8:9], v[8:9], 2, s[18:19]
	global_load_dwordx2 v[8:9], v[8:9], off
	s_waitcnt vmcnt(0)
	v_cmp_lt_i32_e32 vcc, v8, v9
	s_and_saveexec_b64 s[28:29], vcc
	s_cbranch_execz .LBB20_12
; %bb.14:                               ;   in Loop: Header=BB20_13 Depth=1
	v_lshl_add_u64 v[10:11], v[6:7], 3, s[16:17]
	global_load_dwordx2 v[10:11], v[10:11], off
	v_subrev_u32_e32 v7, s21, v9
	v_subrev_u32_e32 v8, s21, v8
	s_mov_b64 s[30:31], 0
	s_waitcnt vmcnt(0)
	v_mul_f64 v[10:11], v[4:5], v[10:11]
	s_branch .LBB20_17
.LBB20_15:                              ;   in Loop: Header=BB20_17 Depth=2
	s_or_b64 exec, exec, s[40:41]
.LBB20_16:                              ;   in Loop: Header=BB20_17 Depth=2
	s_or_b64 exec, exec, s[38:39]
	s_waitcnt vmcnt(0)
	v_mul_f64 v[12:13], v[10:11], v[12:13]
	v_lshl_add_u32 v9, v9, 3, v18
	ds_add_f64 v9, v[12:13]
	v_add_u32_e32 v8, 1, v8
	v_cmp_ge_i32_e32 vcc, v8, v7
	s_or_b64 s[30:31], vcc, s[30:31]
	s_andn2_b64 exec, exec, s[30:31]
	s_cbranch_execz .LBB20_12
.LBB20_17:                              ;   Parent Loop BB20_13 Depth=1
                                        ; =>  This Loop Header: Depth=2
                                        ;       Child Loop BB20_20 Depth 3
	v_ashrrev_i32_e32 v9, 31, v8
	v_lshl_add_u64 v[12:13], v[8:9], 2, s[24:25]
	global_load_dword v21, v[12:13], off
	v_lshl_add_u64 v[12:13], v[8:9], 3, s[26:27]
	global_load_dwordx2 v[12:13], v[12:13], off
	s_waitcnt vmcnt(1)
	v_subrev_u32_e32 v21, s21, v21
	v_lshl_add_u32 v9, v21, 3, v21
	v_and_b32_e32 v9, 15, v9
	v_lshl_add_u32 v22, v9, 2, v17
	ds_read_b32 v23, v22
	s_waitcnt lgkmcnt(0)
	v_cmp_ne_u32_e32 vcc, v23, v21
	s_and_saveexec_b64 s[38:39], vcc
	s_cbranch_execz .LBB20_16
; %bb.18:                               ;   in Loop: Header=BB20_17 Depth=2
	s_mov_b64 s[40:41], 0
	s_branch .LBB20_20
.LBB20_19:                              ;   in Loop: Header=BB20_20 Depth=3
	s_or_b64 exec, exec, s[46:47]
	s_and_b64 s[42:43], exec, s[44:45]
	s_or_b64 s[40:41], s[42:43], s[40:41]
	s_andn2_b64 exec, exec, s[40:41]
	s_cbranch_execz .LBB20_15
.LBB20_20:                              ;   Parent Loop BB20_13 Depth=1
                                        ;     Parent Loop BB20_17 Depth=2
                                        ; =>    This Inner Loop Header: Depth=3
	v_cmp_ne_u32_e32 vcc, s1, v23
	s_mov_b64 s[42:43], 0
	s_and_saveexec_b64 s[44:45], vcc
	s_xor_b64 s[44:45], exec, s[44:45]
	s_cbranch_execz .LBB20_22
; %bb.21:                               ;   in Loop: Header=BB20_20 Depth=3
	v_add_u32_e32 v9, 1, v9
	s_mov_b64 s[42:43], exec
	v_and_b32_e32 v9, 15, v9
                                        ; implicit-def: $vgpr22
	s_andn2_saveexec_b64 s[44:45], s[44:45]
	s_cbranch_execz .LBB20_24
	s_branch .LBB20_23
.LBB20_22:                              ;   in Loop: Header=BB20_20 Depth=3
	s_andn2_saveexec_b64 s[44:45], s[44:45]
	s_cbranch_execz .LBB20_24
.LBB20_23:                              ;   in Loop: Header=BB20_20 Depth=3
	v_mov_b32_e32 v23, s1
	ds_cmpst_rtn_b32 v22, v22, v23, v21
	s_andn2_b64 s[42:43], s[42:43], exec
	s_waitcnt lgkmcnt(0)
	v_cmp_ne_u32_e32 vcc, s1, v22
	s_and_b64 s[46:47], vcc, exec
	s_or_b64 s[42:43], s[42:43], s[46:47]
.LBB20_24:                              ;   in Loop: Header=BB20_20 Depth=3
	s_or_b64 exec, exec, s[44:45]
	s_mov_b64 s[44:45], -1
                                        ; implicit-def: $vgpr22
                                        ; implicit-def: $vgpr23
	s_and_saveexec_b64 s[46:47], s[42:43]
	s_cbranch_execz .LBB20_19
; %bb.25:                               ;   in Loop: Header=BB20_20 Depth=3
	v_lshl_add_u32 v22, v9, 2, v17
	ds_read_b32 v23, v22
	s_waitcnt lgkmcnt(0)
	v_cmp_eq_u32_e32 vcc, v23, v21
	s_orn2_b64 s[44:45], vcc, exec
	s_branch .LBB20_19
.LBB20_26:
	s_or_b64 exec, exec, s[2:3]
.LBB20_27:
	s_andn2_b64 vcc, exec, s[36:37]
	s_cbranch_vccnz .LBB20_42
; %bb.28:
	v_lshl_add_u64 v[4:5], v[0:1], 2, s[4:5]
	global_load_dwordx2 v[4:5], v[4:5], off
	v_subrev_u32_e32 v6, s23, v19
	s_waitcnt vmcnt(0)
	v_subrev_u32_e32 v8, s23, v5
	v_add_u32_e32 v4, v4, v6
	v_cmp_lt_i32_e32 vcc, v4, v8
	s_and_saveexec_b64 s[2:3], vcc
	s_cbranch_execz .LBB20_41
; %bb.29:
	s_mov_b64 s[4:5], 0
	s_branch .LBB20_32
.LBB20_30:                              ;   in Loop: Header=BB20_32 Depth=1
	s_or_b64 exec, exec, s[14:15]
.LBB20_31:                              ;   in Loop: Header=BB20_32 Depth=1
	s_or_b64 exec, exec, s[12:13]
	s_waitcnt vmcnt(0)
	v_mul_f64 v[6:7], v[2:3], v[6:7]
	v_lshl_add_u32 v5, v5, 3, v18
	ds_add_f64 v5, v[6:7]
	v_add_u32_e32 v4, 8, v4
	v_cmp_ge_i32_e32 vcc, v4, v8
	s_or_b64 s[4:5], vcc, s[4:5]
	s_andn2_b64 exec, exec, s[4:5]
	s_cbranch_execz .LBB20_41
.LBB20_32:                              ; =>This Loop Header: Depth=1
                                        ;     Child Loop BB20_35 Depth 2
	v_ashrrev_i32_e32 v5, 31, v4
	v_lshl_add_u64 v[6:7], v[4:5], 2, s[6:7]
	global_load_dword v9, v[6:7], off
	v_lshl_add_u64 v[6:7], v[4:5], 3, s[8:9]
	global_load_dwordx2 v[6:7], v[6:7], off
	s_waitcnt vmcnt(1)
	v_subrev_u32_e32 v9, s23, v9
	v_lshl_add_u32 v5, v9, 3, v9
	v_and_b32_e32 v5, 15, v5
	v_lshl_add_u32 v10, v5, 2, v17
	ds_read_b32 v11, v10
	s_waitcnt lgkmcnt(0)
	v_cmp_ne_u32_e32 vcc, v11, v9
	s_and_saveexec_b64 s[12:13], vcc
	s_cbranch_execz .LBB20_31
; %bb.33:                               ;   in Loop: Header=BB20_32 Depth=1
	s_mov_b64 s[14:15], 0
	s_branch .LBB20_35
.LBB20_34:                              ;   in Loop: Header=BB20_35 Depth=2
	s_or_b64 exec, exec, s[20:21]
	s_and_b64 s[16:17], exec, s[18:19]
	s_or_b64 s[14:15], s[16:17], s[14:15]
	s_andn2_b64 exec, exec, s[14:15]
	s_cbranch_execz .LBB20_30
.LBB20_35:                              ;   Parent Loop BB20_32 Depth=1
                                        ; =>  This Inner Loop Header: Depth=2
	v_cmp_ne_u32_e32 vcc, s1, v11
	s_mov_b64 s[16:17], 0
	s_and_saveexec_b64 s[18:19], vcc
	s_xor_b64 s[18:19], exec, s[18:19]
	s_cbranch_execz .LBB20_37
; %bb.36:                               ;   in Loop: Header=BB20_35 Depth=2
	v_add_u32_e32 v5, 1, v5
	s_mov_b64 s[16:17], exec
	v_and_b32_e32 v5, 15, v5
                                        ; implicit-def: $vgpr10
	s_andn2_saveexec_b64 s[18:19], s[18:19]
	s_cbranch_execz .LBB20_39
	s_branch .LBB20_38
.LBB20_37:                              ;   in Loop: Header=BB20_35 Depth=2
	s_andn2_saveexec_b64 s[18:19], s[18:19]
	s_cbranch_execz .LBB20_39
.LBB20_38:                              ;   in Loop: Header=BB20_35 Depth=2
	v_mov_b32_e32 v11, s1
	ds_cmpst_rtn_b32 v10, v10, v11, v9
	s_andn2_b64 s[16:17], s[16:17], exec
	s_waitcnt lgkmcnt(0)
	v_cmp_ne_u32_e32 vcc, s1, v10
	s_and_b64 s[20:21], vcc, exec
	s_or_b64 s[16:17], s[16:17], s[20:21]
.LBB20_39:                              ;   in Loop: Header=BB20_35 Depth=2
	s_or_b64 exec, exec, s[18:19]
	s_mov_b64 s[18:19], -1
                                        ; implicit-def: $vgpr10
                                        ; implicit-def: $vgpr11
	s_and_saveexec_b64 s[20:21], s[16:17]
	s_cbranch_execz .LBB20_34
; %bb.40:                               ;   in Loop: Header=BB20_35 Depth=2
	v_lshl_add_u32 v10, v5, 2, v17
	ds_read_b32 v11, v10
	s_waitcnt lgkmcnt(0)
	v_cmp_eq_u32_e32 vcc, v11, v9
	s_orn2_b64 s[18:19], vcc, exec
	s_branch .LBB20_34
.LBB20_41:
	s_or_b64 exec, exec, s[2:3]
.LBB20_42:
	v_lshl_add_u64 v[0:1], v[0:1], 2, s[10:11]
	s_waitcnt lgkmcnt(0)
	global_load_dword v0, v[0:1], off
	s_mov_b64 s[2:3], 0
	s_waitcnt vmcnt(0)
	v_subrev_u32_e32 v0, s22, v0
	s_branch .LBB20_44
.LBB20_43:                              ;   in Loop: Header=BB20_44 Depth=1
	s_or_b64 exec, exec, s[4:5]
	v_add_co_u32_e32 v14, vcc, 8, v14
	s_xor_b64 s[4:5], vcc, -1
	s_and_b64 s[4:5], exec, s[4:5]
	v_add_u32_e32 v15, 64, v15
	s_or_b64 s[2:3], s[4:5], s[2:3]
	v_add_u32_e32 v16, 32, v16
	s_andn2_b64 exec, exec, s[2:3]
	s_cbranch_execz .LBB20_46
.LBB20_44:                              ; =>This Inner Loop Header: Depth=1
	ds_read_b32 v1, v16
	s_waitcnt lgkmcnt(0)
	v_cmp_gt_i32_e32 vcc, s1, v1
	s_and_saveexec_b64 s[4:5], vcc
	s_cbranch_execz .LBB20_43
; %bb.45:                               ;   in Loop: Header=BB20_44 Depth=1
	ds_read_b128 v[2:5], v17
	ds_read_b128 v[6:9], v17 offset:16
	ds_read_b128 v[10:13], v17 offset:32
	;; [unrolled: 1-line block ×3, first 2 shown]
	s_waitcnt lgkmcnt(3)
	v_cmp_gt_i32_e32 vcc, v1, v2
	s_nop 1
	v_cndmask_b32_e64 v2, 0, 1, vcc
	v_cmp_gt_i32_e32 vcc, v1, v3
	s_nop 1
	v_addc_co_u32_e32 v2, vcc, v0, v2, vcc
	v_cmp_gt_i32_e32 vcc, v1, v4
	s_nop 1
	v_cndmask_b32_e64 v3, 0, 1, vcc
	v_cmp_gt_i32_e32 vcc, v1, v5
	s_nop 1
	v_addc_co_u32_e32 v2, vcc, v2, v3, vcc
	s_waitcnt lgkmcnt(2)
	v_cmp_gt_i32_e32 vcc, v1, v6
	s_nop 1
	v_cndmask_b32_e64 v3, 0, 1, vcc
	v_cmp_gt_i32_e32 vcc, v1, v7
	s_nop 1
	v_addc_co_u32_e32 v2, vcc, v2, v3, vcc
	v_cmp_gt_i32_e32 vcc, v1, v8
	s_nop 1
	v_cndmask_b32_e64 v3, 0, 1, vcc
	v_cmp_gt_i32_e32 vcc, v1, v9
	s_nop 1
	v_addc_co_u32_e32 v2, vcc, v2, v3, vcc
	;; [unrolled: 13-line block ×3, first 2 shown]
	s_waitcnt lgkmcnt(0)
	v_cmp_gt_i32_e32 vcc, v1, v18
	s_nop 1
	v_cndmask_b32_e64 v3, 0, 1, vcc
	v_cmp_gt_i32_e32 vcc, v1, v19
	s_nop 1
	v_addc_co_u32_e32 v4, vcc, v2, v3, vcc
	v_cmp_gt_i32_e32 vcc, v1, v20
	ds_read_b64 v[2:3], v15
	s_nop 0
	v_cndmask_b32_e64 v5, 0, 1, vcc
	v_cmp_gt_i32_e32 vcc, v1, v21
	s_nop 1
	v_addc_co_u32_e32 v4, vcc, v4, v5, vcc
	v_ashrrev_i32_e32 v5, 31, v4
	v_lshl_add_u64 v[4:5], v[4:5], 3, s[34:35]
	s_waitcnt lgkmcnt(0)
	global_store_dwordx2 v[4:5], v[2:3], off
	s_branch .LBB20_43
.LBB20_46:
	s_endpgm
	.section	.rodata,"a",@progbits
	.p2align	6, 0x0
	.amdhsa_kernel _ZN9rocsparseL38csrgemm_numeric_fill_wf_per_row_kernelILj256ELj8ELj16ELj137EiidEEvT4_S1_PKS1_S3_NS_24const_host_device_scalarIT5_EEPKT3_S3_PKS5_S9_S3_SB_S6_S9_S3_SB_S9_S3_PS5_21rocsparse_index_base_SD_SD_SD_bbb
		.amdhsa_group_segment_fixed_size 6144
		.amdhsa_private_segment_fixed_size 0
		.amdhsa_kernarg_size 156
		.amdhsa_user_sgpr_count 2
		.amdhsa_user_sgpr_dispatch_ptr 0
		.amdhsa_user_sgpr_queue_ptr 0
		.amdhsa_user_sgpr_kernarg_segment_ptr 1
		.amdhsa_user_sgpr_dispatch_id 0
		.amdhsa_user_sgpr_kernarg_preload_length 0
		.amdhsa_user_sgpr_kernarg_preload_offset 0
		.amdhsa_user_sgpr_private_segment_size 0
		.amdhsa_uses_dynamic_stack 0
		.amdhsa_enable_private_segment 0
		.amdhsa_system_sgpr_workgroup_id_x 1
		.amdhsa_system_sgpr_workgroup_id_y 0
		.amdhsa_system_sgpr_workgroup_id_z 0
		.amdhsa_system_sgpr_workgroup_info 0
		.amdhsa_system_vgpr_workitem_id 0
		.amdhsa_next_free_vgpr 24
		.amdhsa_next_free_sgpr 48
		.amdhsa_accum_offset 24
		.amdhsa_reserve_vcc 1
		.amdhsa_float_round_mode_32 0
		.amdhsa_float_round_mode_16_64 0
		.amdhsa_float_denorm_mode_32 3
		.amdhsa_float_denorm_mode_16_64 3
		.amdhsa_dx10_clamp 1
		.amdhsa_ieee_mode 1
		.amdhsa_fp16_overflow 0
		.amdhsa_tg_split 0
		.amdhsa_exception_fp_ieee_invalid_op 0
		.amdhsa_exception_fp_denorm_src 0
		.amdhsa_exception_fp_ieee_div_zero 0
		.amdhsa_exception_fp_ieee_overflow 0
		.amdhsa_exception_fp_ieee_underflow 0
		.amdhsa_exception_fp_ieee_inexact 0
		.amdhsa_exception_int_div_zero 0
	.end_amdhsa_kernel
	.section	.text._ZN9rocsparseL38csrgemm_numeric_fill_wf_per_row_kernelILj256ELj8ELj16ELj137EiidEEvT4_S1_PKS1_S3_NS_24const_host_device_scalarIT5_EEPKT3_S3_PKS5_S9_S3_SB_S6_S9_S3_SB_S9_S3_PS5_21rocsparse_index_base_SD_SD_SD_bbb,"axG",@progbits,_ZN9rocsparseL38csrgemm_numeric_fill_wf_per_row_kernelILj256ELj8ELj16ELj137EiidEEvT4_S1_PKS1_S3_NS_24const_host_device_scalarIT5_EEPKT3_S3_PKS5_S9_S3_SB_S6_S9_S3_SB_S9_S3_PS5_21rocsparse_index_base_SD_SD_SD_bbb,comdat
.Lfunc_end20:
	.size	_ZN9rocsparseL38csrgemm_numeric_fill_wf_per_row_kernelILj256ELj8ELj16ELj137EiidEEvT4_S1_PKS1_S3_NS_24const_host_device_scalarIT5_EEPKT3_S3_PKS5_S9_S3_SB_S6_S9_S3_SB_S9_S3_PS5_21rocsparse_index_base_SD_SD_SD_bbb, .Lfunc_end20-_ZN9rocsparseL38csrgemm_numeric_fill_wf_per_row_kernelILj256ELj8ELj16ELj137EiidEEvT4_S1_PKS1_S3_NS_24const_host_device_scalarIT5_EEPKT3_S3_PKS5_S9_S3_SB_S6_S9_S3_SB_S9_S3_PS5_21rocsparse_index_base_SD_SD_SD_bbb
                                        ; -- End function
	.set _ZN9rocsparseL38csrgemm_numeric_fill_wf_per_row_kernelILj256ELj8ELj16ELj137EiidEEvT4_S1_PKS1_S3_NS_24const_host_device_scalarIT5_EEPKT3_S3_PKS5_S9_S3_SB_S6_S9_S3_SB_S9_S3_PS5_21rocsparse_index_base_SD_SD_SD_bbb.num_vgpr, 24
	.set _ZN9rocsparseL38csrgemm_numeric_fill_wf_per_row_kernelILj256ELj8ELj16ELj137EiidEEvT4_S1_PKS1_S3_NS_24const_host_device_scalarIT5_EEPKT3_S3_PKS5_S9_S3_SB_S6_S9_S3_SB_S9_S3_PS5_21rocsparse_index_base_SD_SD_SD_bbb.num_agpr, 0
	.set _ZN9rocsparseL38csrgemm_numeric_fill_wf_per_row_kernelILj256ELj8ELj16ELj137EiidEEvT4_S1_PKS1_S3_NS_24const_host_device_scalarIT5_EEPKT3_S3_PKS5_S9_S3_SB_S6_S9_S3_SB_S9_S3_PS5_21rocsparse_index_base_SD_SD_SD_bbb.numbered_sgpr, 48
	.set _ZN9rocsparseL38csrgemm_numeric_fill_wf_per_row_kernelILj256ELj8ELj16ELj137EiidEEvT4_S1_PKS1_S3_NS_24const_host_device_scalarIT5_EEPKT3_S3_PKS5_S9_S3_SB_S6_S9_S3_SB_S9_S3_PS5_21rocsparse_index_base_SD_SD_SD_bbb.num_named_barrier, 0
	.set _ZN9rocsparseL38csrgemm_numeric_fill_wf_per_row_kernelILj256ELj8ELj16ELj137EiidEEvT4_S1_PKS1_S3_NS_24const_host_device_scalarIT5_EEPKT3_S3_PKS5_S9_S3_SB_S6_S9_S3_SB_S9_S3_PS5_21rocsparse_index_base_SD_SD_SD_bbb.private_seg_size, 0
	.set _ZN9rocsparseL38csrgemm_numeric_fill_wf_per_row_kernelILj256ELj8ELj16ELj137EiidEEvT4_S1_PKS1_S3_NS_24const_host_device_scalarIT5_EEPKT3_S3_PKS5_S9_S3_SB_S6_S9_S3_SB_S9_S3_PS5_21rocsparse_index_base_SD_SD_SD_bbb.uses_vcc, 1
	.set _ZN9rocsparseL38csrgemm_numeric_fill_wf_per_row_kernelILj256ELj8ELj16ELj137EiidEEvT4_S1_PKS1_S3_NS_24const_host_device_scalarIT5_EEPKT3_S3_PKS5_S9_S3_SB_S6_S9_S3_SB_S9_S3_PS5_21rocsparse_index_base_SD_SD_SD_bbb.uses_flat_scratch, 0
	.set _ZN9rocsparseL38csrgemm_numeric_fill_wf_per_row_kernelILj256ELj8ELj16ELj137EiidEEvT4_S1_PKS1_S3_NS_24const_host_device_scalarIT5_EEPKT3_S3_PKS5_S9_S3_SB_S6_S9_S3_SB_S9_S3_PS5_21rocsparse_index_base_SD_SD_SD_bbb.has_dyn_sized_stack, 0
	.set _ZN9rocsparseL38csrgemm_numeric_fill_wf_per_row_kernelILj256ELj8ELj16ELj137EiidEEvT4_S1_PKS1_S3_NS_24const_host_device_scalarIT5_EEPKT3_S3_PKS5_S9_S3_SB_S6_S9_S3_SB_S9_S3_PS5_21rocsparse_index_base_SD_SD_SD_bbb.has_recursion, 0
	.set _ZN9rocsparseL38csrgemm_numeric_fill_wf_per_row_kernelILj256ELj8ELj16ELj137EiidEEvT4_S1_PKS1_S3_NS_24const_host_device_scalarIT5_EEPKT3_S3_PKS5_S9_S3_SB_S6_S9_S3_SB_S9_S3_PS5_21rocsparse_index_base_SD_SD_SD_bbb.has_indirect_call, 0
	.section	.AMDGPU.csdata,"",@progbits
; Kernel info:
; codeLenInByte = 1704
; TotalNumSgprs: 54
; NumVgprs: 24
; NumAgprs: 0
; TotalNumVgprs: 24
; ScratchSize: 0
; MemoryBound: 0
; FloatMode: 240
; IeeeMode: 1
; LDSByteSize: 6144 bytes/workgroup (compile time only)
; SGPRBlocks: 6
; VGPRBlocks: 2
; NumSGPRsForWavesPerEU: 54
; NumVGPRsForWavesPerEU: 24
; AccumOffset: 24
; Occupancy: 8
; WaveLimiterHint : 1
; COMPUTE_PGM_RSRC2:SCRATCH_EN: 0
; COMPUTE_PGM_RSRC2:USER_SGPR: 2
; COMPUTE_PGM_RSRC2:TRAP_HANDLER: 0
; COMPUTE_PGM_RSRC2:TGID_X_EN: 1
; COMPUTE_PGM_RSRC2:TGID_Y_EN: 0
; COMPUTE_PGM_RSRC2:TGID_Z_EN: 0
; COMPUTE_PGM_RSRC2:TIDIG_COMP_CNT: 0
; COMPUTE_PGM_RSRC3_GFX90A:ACCUM_OFFSET: 5
; COMPUTE_PGM_RSRC3_GFX90A:TG_SPLIT: 0
	.section	.text._ZN9rocsparseL38csrgemm_numeric_fill_wf_per_row_kernelILj256ELj16ELj32ELj137EiidEEvT4_S1_PKS1_S3_NS_24const_host_device_scalarIT5_EEPKT3_S3_PKS5_S9_S3_SB_S6_S9_S3_SB_S9_S3_PS5_21rocsparse_index_base_SD_SD_SD_bbb,"axG",@progbits,_ZN9rocsparseL38csrgemm_numeric_fill_wf_per_row_kernelILj256ELj16ELj32ELj137EiidEEvT4_S1_PKS1_S3_NS_24const_host_device_scalarIT5_EEPKT3_S3_PKS5_S9_S3_SB_S6_S9_S3_SB_S9_S3_PS5_21rocsparse_index_base_SD_SD_SD_bbb,comdat
	.globl	_ZN9rocsparseL38csrgemm_numeric_fill_wf_per_row_kernelILj256ELj16ELj32ELj137EiidEEvT4_S1_PKS1_S3_NS_24const_host_device_scalarIT5_EEPKT3_S3_PKS5_S9_S3_SB_S6_S9_S3_SB_S9_S3_PS5_21rocsparse_index_base_SD_SD_SD_bbb ; -- Begin function _ZN9rocsparseL38csrgemm_numeric_fill_wf_per_row_kernelILj256ELj16ELj32ELj137EiidEEvT4_S1_PKS1_S3_NS_24const_host_device_scalarIT5_EEPKT3_S3_PKS5_S9_S3_SB_S6_S9_S3_SB_S9_S3_PS5_21rocsparse_index_base_SD_SD_SD_bbb
	.p2align	8
	.type	_ZN9rocsparseL38csrgemm_numeric_fill_wf_per_row_kernelILj256ELj16ELj32ELj137EiidEEvT4_S1_PKS1_S3_NS_24const_host_device_scalarIT5_EEPKT3_S3_PKS5_S9_S3_SB_S6_S9_S3_SB_S9_S3_PS5_21rocsparse_index_base_SD_SD_SD_bbb,@function
_ZN9rocsparseL38csrgemm_numeric_fill_wf_per_row_kernelILj256ELj16ELj32ELj137EiidEEvT4_S1_PKS1_S3_NS_24const_host_device_scalarIT5_EEPKT3_S3_PKS5_S9_S3_SB_S6_S9_S3_SB_S9_S3_PS5_21rocsparse_index_base_SD_SD_SD_bbb: ; @_ZN9rocsparseL38csrgemm_numeric_fill_wf_per_row_kernelILj256ELj16ELj32ELj137EiidEEvT4_S1_PKS1_S3_NS_24const_host_device_scalarIT5_EEPKT3_S3_PKS5_S9_S3_SB_S6_S9_S3_SB_S9_S3_PS5_21rocsparse_index_base_SD_SD_SD_bbb
; %bb.0:
	s_load_dword s3, s[0:1], 0x98
	s_load_dwordx4 s[20:23], s[0:1], 0x88
	s_load_dwordx2 s[4:5], s[0:1], 0x18
	s_load_dwordx2 s[40:41], s[0:1], 0x50
	s_waitcnt lgkmcnt(0)
	s_bitcmp1_b32 s3, 0
	s_cselect_b64 s[38:39], -1, 0
	s_bitcmp1_b32 s3, 16
	s_cselect_b64 s[42:43], -1, 0
	s_xor_b64 s[6:7], s[38:39], -1
	s_or_b64 s[6:7], s[42:43], s[6:7]
	s_and_b64 s[8:9], s[38:39], exec
	s_cselect_b32 s9, s5, 0
	s_cselect_b32 s8, s4, 0
	s_and_b64 vcc, exec, s[6:7]
	v_mov_b64_e32 v[4:5], s[8:9]
	s_cbranch_vccnz .LBB21_2
; %bb.1:
	v_mov_b64_e32 v[2:3], s[4:5]
	flat_load_dwordx2 v[4:5], v[2:3]
.LBB21_2:
	s_load_dwordx2 s[34:35], s[0:1], 0x80
	s_load_dwordx8 s[4:11], s[0:1], 0x58
	s_load_dwordx4 s[24:27], s[0:1], 0x40
	s_load_dwordx4 s[28:31], s[0:1], 0x8
	s_load_dwordx8 s[12:19], s[0:1], 0x20
	s_bitcmp1_b32 s3, 8
	s_cselect_b64 s[36:37], -1, 0
	s_xor_b64 s[44:45], s[36:37], -1
	s_or_b64 s[42:43], s[42:43], s[44:45]
	s_and_b64 s[44:45], s[36:37], exec
	s_cselect_b32 s45, s41, 0
	s_cselect_b32 s44, s40, 0
	s_and_b64 vcc, exec, s[42:43]
	v_mov_b64_e32 v[2:3], s[44:45]
	s_cbranch_vccnz .LBB21_4
; %bb.3:
	v_mov_b64_e32 v[2:3], s[40:41]
	flat_load_dwordx2 v[2:3], v[2:3]
.LBB21_4:
	s_load_dwordx2 s[0:1], s[0:1], 0x0
	v_and_b32_e32 v19, 15, v0
	v_lshrrev_b32_e32 v1, 4, v0
	v_lshlrev_b32_e32 v0, 3, v19
	v_lshl_or_b32 v15, v1, 8, v0
	v_lshlrev_b32_e32 v0, 7, v1
	v_lshlrev_b32_e32 v6, 2, v19
	s_movk_i32 s3, 0x1000
	v_or_b32_e32 v14, -16, v19
	v_or3_b32 v16, v0, v6, s3
	v_mov_b32_e32 v8, 0
	s_mov_b64 s[40:41], 0
	s_waitcnt lgkmcnt(0)
	v_mov_b32_e32 v10, s1
	v_mov_b32_e32 v9, v8
	;; [unrolled: 1-line block ×5, first 2 shown]
.LBB21_5:                               ; =>This Inner Loop Header: Depth=1
	v_add_co_u32_e32 v7, vcc, 16, v7
	s_xor_b64 s[42:43], vcc, -1
	s_and_b64 s[42:43], exec, s[42:43]
	ds_write_b32 v0, v10
	ds_write_b64 v6, v[8:9]
	v_add_u32_e32 v6, 0x80, v6
	s_or_b64 s[40:41], s[42:43], s[40:41]
	v_add_u32_e32 v0, 64, v0
	s_andn2_b64 exec, exec, s[40:41]
	s_cbranch_execnz .LBB21_5
; %bb.6:
	s_or_b64 exec, exec, s[40:41]
	s_lshl_b32 s2, s2, 4
	s_and_b32 s2, s2, 0xffffff0
	v_or_b32_e32 v0, s2, v1
	v_cmp_gt_i32_e32 vcc, s0, v0
	s_waitcnt lgkmcnt(0)
	s_and_saveexec_b64 s[2:3], vcc
	s_cbranch_execz .LBB21_46
; %bb.7:
	s_cmp_eq_u64 s[30:31], 0
	s_cbranch_scc1 .LBB21_9
; %bb.8:
	s_load_dword s0, s[28:29], 0x0
	s_waitcnt lgkmcnt(0)
	v_add_u32_e32 v6, s0, v0
	v_ashrrev_i32_e32 v7, 31, v6
	v_lshl_add_u64 v[6:7], v[6:7], 2, s[30:31]
	global_load_dword v0, v[6:7], off
.LBB21_9:
	v_mov_b32_e32 v6, 0x1000
	v_lshl_or_b32 v17, v1, 7, v6
	v_lshlrev_b32_e32 v18, 8, v1
	s_andn2_b64 vcc, exec, s[38:39]
	s_waitcnt vmcnt(0)
	v_ashrrev_i32_e32 v1, 31, v0
	s_cbranch_vccnz .LBB21_27
; %bb.10:
	v_lshl_add_u64 v[6:7], v[0:1], 2, s[12:13]
	global_load_dwordx2 v[6:7], v[6:7], off
	v_subrev_u32_e32 v8, s20, v19
	s_waitcnt vmcnt(0)
	v_subrev_u32_e32 v20, s20, v7
	v_add_u32_e32 v6, v6, v8
	v_cmp_lt_i32_e32 vcc, v6, v20
	s_and_saveexec_b64 s[2:3], vcc
	s_cbranch_execz .LBB21_26
; %bb.11:
	s_mov_b64 s[12:13], 0
	s_branch .LBB21_13
.LBB21_12:                              ;   in Loop: Header=BB21_13 Depth=1
	s_or_b64 exec, exec, s[28:29]
	v_add_u32_e32 v6, 16, v6
	v_cmp_ge_i32_e32 vcc, v6, v20
	s_or_b64 s[12:13], vcc, s[12:13]
	s_andn2_b64 exec, exec, s[12:13]
	s_cbranch_execz .LBB21_26
.LBB21_13:                              ; =>This Loop Header: Depth=1
                                        ;     Child Loop BB21_17 Depth 2
                                        ;       Child Loop BB21_20 Depth 3
	v_ashrrev_i32_e32 v7, 31, v6
	v_lshl_add_u64 v[8:9], v[6:7], 2, s[14:15]
	global_load_dword v8, v[8:9], off
	s_waitcnt vmcnt(0)
	v_subrev_u32_e32 v8, s20, v8
	v_ashrrev_i32_e32 v9, 31, v8
	v_lshl_add_u64 v[8:9], v[8:9], 2, s[18:19]
	global_load_dwordx2 v[8:9], v[8:9], off
	s_waitcnt vmcnt(0)
	v_cmp_lt_i32_e32 vcc, v8, v9
	s_and_saveexec_b64 s[28:29], vcc
	s_cbranch_execz .LBB21_12
; %bb.14:                               ;   in Loop: Header=BB21_13 Depth=1
	v_lshl_add_u64 v[10:11], v[6:7], 3, s[16:17]
	global_load_dwordx2 v[10:11], v[10:11], off
	v_subrev_u32_e32 v7, s21, v9
	v_subrev_u32_e32 v8, s21, v8
	s_mov_b64 s[30:31], 0
	s_waitcnt vmcnt(0)
	v_mul_f64 v[10:11], v[4:5], v[10:11]
	s_branch .LBB21_17
.LBB21_15:                              ;   in Loop: Header=BB21_17 Depth=2
	s_or_b64 exec, exec, s[40:41]
.LBB21_16:                              ;   in Loop: Header=BB21_17 Depth=2
	s_or_b64 exec, exec, s[38:39]
	s_waitcnt vmcnt(0)
	v_mul_f64 v[12:13], v[10:11], v[12:13]
	v_lshl_add_u32 v9, v9, 3, v18
	ds_add_f64 v9, v[12:13]
	v_add_u32_e32 v8, 1, v8
	v_cmp_ge_i32_e32 vcc, v8, v7
	s_or_b64 s[30:31], vcc, s[30:31]
	s_andn2_b64 exec, exec, s[30:31]
	s_cbranch_execz .LBB21_12
.LBB21_17:                              ;   Parent Loop BB21_13 Depth=1
                                        ; =>  This Loop Header: Depth=2
                                        ;       Child Loop BB21_20 Depth 3
	v_ashrrev_i32_e32 v9, 31, v8
	v_lshl_add_u64 v[12:13], v[8:9], 2, s[24:25]
	global_load_dword v21, v[12:13], off
	v_lshl_add_u64 v[12:13], v[8:9], 3, s[26:27]
	global_load_dwordx2 v[12:13], v[12:13], off
	s_waitcnt vmcnt(1)
	v_subrev_u32_e32 v21, s21, v21
	v_lshl_add_u32 v9, v21, 3, v21
	v_and_b32_e32 v9, 31, v9
	v_lshl_add_u32 v22, v9, 2, v17
	ds_read_b32 v23, v22
	s_waitcnt lgkmcnt(0)
	v_cmp_ne_u32_e32 vcc, v23, v21
	s_and_saveexec_b64 s[38:39], vcc
	s_cbranch_execz .LBB21_16
; %bb.18:                               ;   in Loop: Header=BB21_17 Depth=2
	s_mov_b64 s[40:41], 0
	s_branch .LBB21_20
.LBB21_19:                              ;   in Loop: Header=BB21_20 Depth=3
	s_or_b64 exec, exec, s[46:47]
	s_and_b64 s[42:43], exec, s[44:45]
	s_or_b64 s[40:41], s[42:43], s[40:41]
	s_andn2_b64 exec, exec, s[40:41]
	s_cbranch_execz .LBB21_15
.LBB21_20:                              ;   Parent Loop BB21_13 Depth=1
                                        ;     Parent Loop BB21_17 Depth=2
                                        ; =>    This Inner Loop Header: Depth=3
	v_cmp_ne_u32_e32 vcc, s1, v23
	s_mov_b64 s[42:43], 0
	s_and_saveexec_b64 s[44:45], vcc
	s_xor_b64 s[44:45], exec, s[44:45]
	s_cbranch_execz .LBB21_22
; %bb.21:                               ;   in Loop: Header=BB21_20 Depth=3
	v_add_u32_e32 v9, 1, v9
	s_mov_b64 s[42:43], exec
	v_and_b32_e32 v9, 31, v9
                                        ; implicit-def: $vgpr22
	s_andn2_saveexec_b64 s[44:45], s[44:45]
	s_cbranch_execz .LBB21_24
	s_branch .LBB21_23
.LBB21_22:                              ;   in Loop: Header=BB21_20 Depth=3
	s_andn2_saveexec_b64 s[44:45], s[44:45]
	s_cbranch_execz .LBB21_24
.LBB21_23:                              ;   in Loop: Header=BB21_20 Depth=3
	v_mov_b32_e32 v23, s1
	ds_cmpst_rtn_b32 v22, v22, v23, v21
	s_andn2_b64 s[42:43], s[42:43], exec
	s_waitcnt lgkmcnt(0)
	v_cmp_ne_u32_e32 vcc, s1, v22
	s_and_b64 s[46:47], vcc, exec
	s_or_b64 s[42:43], s[42:43], s[46:47]
.LBB21_24:                              ;   in Loop: Header=BB21_20 Depth=3
	s_or_b64 exec, exec, s[44:45]
	s_mov_b64 s[44:45], -1
                                        ; implicit-def: $vgpr22
                                        ; implicit-def: $vgpr23
	s_and_saveexec_b64 s[46:47], s[42:43]
	s_cbranch_execz .LBB21_19
; %bb.25:                               ;   in Loop: Header=BB21_20 Depth=3
	v_lshl_add_u32 v22, v9, 2, v17
	ds_read_b32 v23, v22
	s_waitcnt lgkmcnt(0)
	v_cmp_eq_u32_e32 vcc, v23, v21
	s_orn2_b64 s[44:45], vcc, exec
	s_branch .LBB21_19
.LBB21_26:
	s_or_b64 exec, exec, s[2:3]
.LBB21_27:
	s_andn2_b64 vcc, exec, s[36:37]
	s_cbranch_vccnz .LBB21_42
; %bb.28:
	v_lshl_add_u64 v[4:5], v[0:1], 2, s[4:5]
	global_load_dwordx2 v[4:5], v[4:5], off
	v_subrev_u32_e32 v6, s23, v19
	s_waitcnt vmcnt(0)
	v_subrev_u32_e32 v8, s23, v5
	v_add_u32_e32 v4, v4, v6
	v_cmp_lt_i32_e32 vcc, v4, v8
	s_and_saveexec_b64 s[2:3], vcc
	s_cbranch_execz .LBB21_41
; %bb.29:
	s_mov_b64 s[4:5], 0
	s_branch .LBB21_32
.LBB21_30:                              ;   in Loop: Header=BB21_32 Depth=1
	s_or_b64 exec, exec, s[14:15]
.LBB21_31:                              ;   in Loop: Header=BB21_32 Depth=1
	s_or_b64 exec, exec, s[12:13]
	s_waitcnt vmcnt(0)
	v_mul_f64 v[6:7], v[2:3], v[6:7]
	v_lshl_add_u32 v5, v5, 3, v18
	ds_add_f64 v5, v[6:7]
	v_add_u32_e32 v4, 16, v4
	v_cmp_ge_i32_e32 vcc, v4, v8
	s_or_b64 s[4:5], vcc, s[4:5]
	s_andn2_b64 exec, exec, s[4:5]
	s_cbranch_execz .LBB21_41
.LBB21_32:                              ; =>This Loop Header: Depth=1
                                        ;     Child Loop BB21_35 Depth 2
	v_ashrrev_i32_e32 v5, 31, v4
	v_lshl_add_u64 v[6:7], v[4:5], 2, s[6:7]
	global_load_dword v9, v[6:7], off
	v_lshl_add_u64 v[6:7], v[4:5], 3, s[8:9]
	global_load_dwordx2 v[6:7], v[6:7], off
	s_waitcnt vmcnt(1)
	v_subrev_u32_e32 v9, s23, v9
	v_lshl_add_u32 v5, v9, 3, v9
	v_and_b32_e32 v5, 31, v5
	v_lshl_add_u32 v10, v5, 2, v17
	ds_read_b32 v11, v10
	s_waitcnt lgkmcnt(0)
	v_cmp_ne_u32_e32 vcc, v11, v9
	s_and_saveexec_b64 s[12:13], vcc
	s_cbranch_execz .LBB21_31
; %bb.33:                               ;   in Loop: Header=BB21_32 Depth=1
	s_mov_b64 s[14:15], 0
	s_branch .LBB21_35
.LBB21_34:                              ;   in Loop: Header=BB21_35 Depth=2
	s_or_b64 exec, exec, s[20:21]
	s_and_b64 s[16:17], exec, s[18:19]
	s_or_b64 s[14:15], s[16:17], s[14:15]
	s_andn2_b64 exec, exec, s[14:15]
	s_cbranch_execz .LBB21_30
.LBB21_35:                              ;   Parent Loop BB21_32 Depth=1
                                        ; =>  This Inner Loop Header: Depth=2
	v_cmp_ne_u32_e32 vcc, s1, v11
	s_mov_b64 s[16:17], 0
	s_and_saveexec_b64 s[18:19], vcc
	s_xor_b64 s[18:19], exec, s[18:19]
	s_cbranch_execz .LBB21_37
; %bb.36:                               ;   in Loop: Header=BB21_35 Depth=2
	v_add_u32_e32 v5, 1, v5
	s_mov_b64 s[16:17], exec
	v_and_b32_e32 v5, 31, v5
                                        ; implicit-def: $vgpr10
	s_andn2_saveexec_b64 s[18:19], s[18:19]
	s_cbranch_execz .LBB21_39
	s_branch .LBB21_38
.LBB21_37:                              ;   in Loop: Header=BB21_35 Depth=2
	s_andn2_saveexec_b64 s[18:19], s[18:19]
	s_cbranch_execz .LBB21_39
.LBB21_38:                              ;   in Loop: Header=BB21_35 Depth=2
	v_mov_b32_e32 v11, s1
	ds_cmpst_rtn_b32 v10, v10, v11, v9
	s_andn2_b64 s[16:17], s[16:17], exec
	s_waitcnt lgkmcnt(0)
	v_cmp_ne_u32_e32 vcc, s1, v10
	s_and_b64 s[20:21], vcc, exec
	s_or_b64 s[16:17], s[16:17], s[20:21]
.LBB21_39:                              ;   in Loop: Header=BB21_35 Depth=2
	s_or_b64 exec, exec, s[18:19]
	s_mov_b64 s[18:19], -1
                                        ; implicit-def: $vgpr10
                                        ; implicit-def: $vgpr11
	s_and_saveexec_b64 s[20:21], s[16:17]
	s_cbranch_execz .LBB21_34
; %bb.40:                               ;   in Loop: Header=BB21_35 Depth=2
	v_lshl_add_u32 v10, v5, 2, v17
	ds_read_b32 v11, v10
	s_waitcnt lgkmcnt(0)
	v_cmp_eq_u32_e32 vcc, v11, v9
	s_orn2_b64 s[18:19], vcc, exec
	s_branch .LBB21_34
.LBB21_41:
	s_or_b64 exec, exec, s[2:3]
.LBB21_42:
	v_lshl_add_u64 v[0:1], v[0:1], 2, s[10:11]
	s_waitcnt lgkmcnt(0)
	global_load_dword v0, v[0:1], off
	s_mov_b64 s[2:3], 0
	s_waitcnt vmcnt(0)
	v_subrev_u32_e32 v0, s22, v0
	s_branch .LBB21_44
.LBB21_43:                              ;   in Loop: Header=BB21_44 Depth=1
	s_or_b64 exec, exec, s[4:5]
	v_add_co_u32_e32 v14, vcc, 16, v14
	s_xor_b64 s[4:5], vcc, -1
	s_and_b64 s[4:5], exec, s[4:5]
	v_add_u32_e32 v15, 0x80, v15
	s_or_b64 s[2:3], s[4:5], s[2:3]
	v_add_u32_e32 v16, 64, v16
	s_andn2_b64 exec, exec, s[2:3]
	s_cbranch_execz .LBB21_46
.LBB21_44:                              ; =>This Inner Loop Header: Depth=1
	ds_read_b32 v1, v16
	s_waitcnt lgkmcnt(0)
	v_cmp_gt_i32_e32 vcc, s1, v1
	s_and_saveexec_b64 s[4:5], vcc
	s_cbranch_execz .LBB21_43
; %bb.45:                               ;   in Loop: Header=BB21_44 Depth=1
	ds_read_b128 v[2:5], v17
	ds_read_b128 v[6:9], v17 offset:16
	ds_read_b128 v[10:13], v17 offset:32
	;; [unrolled: 1-line block ×3, first 2 shown]
	s_waitcnt lgkmcnt(3)
	v_cmp_gt_i32_e32 vcc, v1, v2
	s_nop 1
	v_cndmask_b32_e64 v2, 0, 1, vcc
	v_cmp_gt_i32_e32 vcc, v1, v3
	s_nop 1
	v_addc_co_u32_e32 v2, vcc, v0, v2, vcc
	v_cmp_gt_i32_e32 vcc, v1, v4
	s_nop 1
	v_cndmask_b32_e64 v3, 0, 1, vcc
	v_cmp_gt_i32_e32 vcc, v1, v5
	s_nop 1
	v_addc_co_u32_e32 v2, vcc, v2, v3, vcc
	s_waitcnt lgkmcnt(2)
	v_cmp_gt_i32_e32 vcc, v1, v6
	s_nop 1
	v_cndmask_b32_e64 v3, 0, 1, vcc
	v_cmp_gt_i32_e32 vcc, v1, v7
	s_nop 1
	v_addc_co_u32_e32 v2, vcc, v2, v3, vcc
	v_cmp_gt_i32_e32 vcc, v1, v8
	s_nop 1
	v_cndmask_b32_e64 v3, 0, 1, vcc
	v_cmp_gt_i32_e32 vcc, v1, v9
	s_nop 1
	v_addc_co_u32_e32 v2, vcc, v2, v3, vcc
	;; [unrolled: 13-line block ×3, first 2 shown]
	s_waitcnt lgkmcnt(0)
	v_cmp_gt_i32_e32 vcc, v1, v18
	s_nop 1
	v_cndmask_b32_e64 v3, 0, 1, vcc
	v_cmp_gt_i32_e32 vcc, v1, v19
	s_nop 1
	v_addc_co_u32_e32 v6, vcc, v2, v3, vcc
	ds_read_b128 v[2:5], v17 offset:64
	v_cmp_gt_i32_e32 vcc, v1, v20
	s_nop 1
	v_cndmask_b32_e64 v7, 0, 1, vcc
	v_cmp_gt_i32_e32 vcc, v1, v21
	s_nop 1
	v_addc_co_u32_e32 v10, vcc, v6, v7, vcc
	ds_read_b128 v[6:9], v17 offset:80
	s_waitcnt lgkmcnt(1)
	v_cmp_gt_i32_e32 vcc, v1, v2
	s_nop 1
	v_cndmask_b32_e64 v2, 0, 1, vcc
	v_cmp_gt_i32_e32 vcc, v1, v3
	s_nop 1
	v_addc_co_u32_e32 v2, vcc, v10, v2, vcc
	v_cmp_gt_i32_e32 vcc, v1, v4
	s_nop 1
	v_cndmask_b32_e64 v3, 0, 1, vcc
	v_cmp_gt_i32_e32 vcc, v1, v5
	s_nop 1
	v_addc_co_u32_e32 v2, vcc, v2, v3, vcc
	s_waitcnt lgkmcnt(0)
	v_cmp_gt_i32_e32 vcc, v1, v6
	s_nop 1
	v_cndmask_b32_e64 v3, 0, 1, vcc
	v_cmp_gt_i32_e32 vcc, v1, v7
	s_nop 1
	v_addc_co_u32_e32 v6, vcc, v2, v3, vcc
	ds_read_b128 v[2:5], v17 offset:96
	v_cmp_gt_i32_e32 vcc, v1, v8
	s_nop 1
	v_cndmask_b32_e64 v7, 0, 1, vcc
	v_cmp_gt_i32_e32 vcc, v1, v9
	s_nop 1
	v_addc_co_u32_e32 v10, vcc, v6, v7, vcc
	ds_read_b128 v[6:9], v17 offset:112
	s_waitcnt lgkmcnt(1)
	v_cmp_gt_i32_e32 vcc, v1, v2
	s_nop 1
	v_cndmask_b32_e64 v2, 0, 1, vcc
	v_cmp_gt_i32_e32 vcc, v1, v3
	s_nop 1
	v_addc_co_u32_e32 v2, vcc, v10, v2, vcc
	v_cmp_gt_i32_e32 vcc, v1, v4
	s_nop 1
	v_cndmask_b32_e64 v3, 0, 1, vcc
	v_cmp_gt_i32_e32 vcc, v1, v5
	s_nop 1
	v_addc_co_u32_e32 v2, vcc, v2, v3, vcc
	s_waitcnt lgkmcnt(0)
	v_cmp_gt_i32_e32 vcc, v1, v6
	s_nop 1
	v_cndmask_b32_e64 v3, 0, 1, vcc
	v_cmp_gt_i32_e32 vcc, v1, v7
	s_nop 1
	v_addc_co_u32_e32 v4, vcc, v2, v3, vcc
	v_cmp_gt_i32_e32 vcc, v1, v8
	ds_read_b64 v[2:3], v15
	s_nop 0
	v_cndmask_b32_e64 v5, 0, 1, vcc
	v_cmp_gt_i32_e32 vcc, v1, v9
	s_nop 1
	v_addc_co_u32_e32 v4, vcc, v4, v5, vcc
	v_ashrrev_i32_e32 v5, 31, v4
	v_lshl_add_u64 v[4:5], v[4:5], 3, s[34:35]
	s_waitcnt lgkmcnt(0)
	global_store_dwordx2 v[4:5], v[2:3], off
	s_branch .LBB21_43
.LBB21_46:
	s_endpgm
	.section	.rodata,"a",@progbits
	.p2align	6, 0x0
	.amdhsa_kernel _ZN9rocsparseL38csrgemm_numeric_fill_wf_per_row_kernelILj256ELj16ELj32ELj137EiidEEvT4_S1_PKS1_S3_NS_24const_host_device_scalarIT5_EEPKT3_S3_PKS5_S9_S3_SB_S6_S9_S3_SB_S9_S3_PS5_21rocsparse_index_base_SD_SD_SD_bbb
		.amdhsa_group_segment_fixed_size 6144
		.amdhsa_private_segment_fixed_size 0
		.amdhsa_kernarg_size 156
		.amdhsa_user_sgpr_count 2
		.amdhsa_user_sgpr_dispatch_ptr 0
		.amdhsa_user_sgpr_queue_ptr 0
		.amdhsa_user_sgpr_kernarg_segment_ptr 1
		.amdhsa_user_sgpr_dispatch_id 0
		.amdhsa_user_sgpr_kernarg_preload_length 0
		.amdhsa_user_sgpr_kernarg_preload_offset 0
		.amdhsa_user_sgpr_private_segment_size 0
		.amdhsa_uses_dynamic_stack 0
		.amdhsa_enable_private_segment 0
		.amdhsa_system_sgpr_workgroup_id_x 1
		.amdhsa_system_sgpr_workgroup_id_y 0
		.amdhsa_system_sgpr_workgroup_id_z 0
		.amdhsa_system_sgpr_workgroup_info 0
		.amdhsa_system_vgpr_workitem_id 0
		.amdhsa_next_free_vgpr 24
		.amdhsa_next_free_sgpr 48
		.amdhsa_accum_offset 24
		.amdhsa_reserve_vcc 1
		.amdhsa_float_round_mode_32 0
		.amdhsa_float_round_mode_16_64 0
		.amdhsa_float_denorm_mode_32 3
		.amdhsa_float_denorm_mode_16_64 3
		.amdhsa_dx10_clamp 1
		.amdhsa_ieee_mode 1
		.amdhsa_fp16_overflow 0
		.amdhsa_tg_split 0
		.amdhsa_exception_fp_ieee_invalid_op 0
		.amdhsa_exception_fp_denorm_src 0
		.amdhsa_exception_fp_ieee_div_zero 0
		.amdhsa_exception_fp_ieee_overflow 0
		.amdhsa_exception_fp_ieee_underflow 0
		.amdhsa_exception_fp_ieee_inexact 0
		.amdhsa_exception_int_div_zero 0
	.end_amdhsa_kernel
	.section	.text._ZN9rocsparseL38csrgemm_numeric_fill_wf_per_row_kernelILj256ELj16ELj32ELj137EiidEEvT4_S1_PKS1_S3_NS_24const_host_device_scalarIT5_EEPKT3_S3_PKS5_S9_S3_SB_S6_S9_S3_SB_S9_S3_PS5_21rocsparse_index_base_SD_SD_SD_bbb,"axG",@progbits,_ZN9rocsparseL38csrgemm_numeric_fill_wf_per_row_kernelILj256ELj16ELj32ELj137EiidEEvT4_S1_PKS1_S3_NS_24const_host_device_scalarIT5_EEPKT3_S3_PKS5_S9_S3_SB_S6_S9_S3_SB_S9_S3_PS5_21rocsparse_index_base_SD_SD_SD_bbb,comdat
.Lfunc_end21:
	.size	_ZN9rocsparseL38csrgemm_numeric_fill_wf_per_row_kernelILj256ELj16ELj32ELj137EiidEEvT4_S1_PKS1_S3_NS_24const_host_device_scalarIT5_EEPKT3_S3_PKS5_S9_S3_SB_S6_S9_S3_SB_S9_S3_PS5_21rocsparse_index_base_SD_SD_SD_bbb, .Lfunc_end21-_ZN9rocsparseL38csrgemm_numeric_fill_wf_per_row_kernelILj256ELj16ELj32ELj137EiidEEvT4_S1_PKS1_S3_NS_24const_host_device_scalarIT5_EEPKT3_S3_PKS5_S9_S3_SB_S6_S9_S3_SB_S9_S3_PS5_21rocsparse_index_base_SD_SD_SD_bbb
                                        ; -- End function
	.set _ZN9rocsparseL38csrgemm_numeric_fill_wf_per_row_kernelILj256ELj16ELj32ELj137EiidEEvT4_S1_PKS1_S3_NS_24const_host_device_scalarIT5_EEPKT3_S3_PKS5_S9_S3_SB_S6_S9_S3_SB_S9_S3_PS5_21rocsparse_index_base_SD_SD_SD_bbb.num_vgpr, 24
	.set _ZN9rocsparseL38csrgemm_numeric_fill_wf_per_row_kernelILj256ELj16ELj32ELj137EiidEEvT4_S1_PKS1_S3_NS_24const_host_device_scalarIT5_EEPKT3_S3_PKS5_S9_S3_SB_S6_S9_S3_SB_S9_S3_PS5_21rocsparse_index_base_SD_SD_SD_bbb.num_agpr, 0
	.set _ZN9rocsparseL38csrgemm_numeric_fill_wf_per_row_kernelILj256ELj16ELj32ELj137EiidEEvT4_S1_PKS1_S3_NS_24const_host_device_scalarIT5_EEPKT3_S3_PKS5_S9_S3_SB_S6_S9_S3_SB_S9_S3_PS5_21rocsparse_index_base_SD_SD_SD_bbb.numbered_sgpr, 48
	.set _ZN9rocsparseL38csrgemm_numeric_fill_wf_per_row_kernelILj256ELj16ELj32ELj137EiidEEvT4_S1_PKS1_S3_NS_24const_host_device_scalarIT5_EEPKT3_S3_PKS5_S9_S3_SB_S6_S9_S3_SB_S9_S3_PS5_21rocsparse_index_base_SD_SD_SD_bbb.num_named_barrier, 0
	.set _ZN9rocsparseL38csrgemm_numeric_fill_wf_per_row_kernelILj256ELj16ELj32ELj137EiidEEvT4_S1_PKS1_S3_NS_24const_host_device_scalarIT5_EEPKT3_S3_PKS5_S9_S3_SB_S6_S9_S3_SB_S9_S3_PS5_21rocsparse_index_base_SD_SD_SD_bbb.private_seg_size, 0
	.set _ZN9rocsparseL38csrgemm_numeric_fill_wf_per_row_kernelILj256ELj16ELj32ELj137EiidEEvT4_S1_PKS1_S3_NS_24const_host_device_scalarIT5_EEPKT3_S3_PKS5_S9_S3_SB_S6_S9_S3_SB_S9_S3_PS5_21rocsparse_index_base_SD_SD_SD_bbb.uses_vcc, 1
	.set _ZN9rocsparseL38csrgemm_numeric_fill_wf_per_row_kernelILj256ELj16ELj32ELj137EiidEEvT4_S1_PKS1_S3_NS_24const_host_device_scalarIT5_EEPKT3_S3_PKS5_S9_S3_SB_S6_S9_S3_SB_S9_S3_PS5_21rocsparse_index_base_SD_SD_SD_bbb.uses_flat_scratch, 0
	.set _ZN9rocsparseL38csrgemm_numeric_fill_wf_per_row_kernelILj256ELj16ELj32ELj137EiidEEvT4_S1_PKS1_S3_NS_24const_host_device_scalarIT5_EEPKT3_S3_PKS5_S9_S3_SB_S6_S9_S3_SB_S9_S3_PS5_21rocsparse_index_base_SD_SD_SD_bbb.has_dyn_sized_stack, 0
	.set _ZN9rocsparseL38csrgemm_numeric_fill_wf_per_row_kernelILj256ELj16ELj32ELj137EiidEEvT4_S1_PKS1_S3_NS_24const_host_device_scalarIT5_EEPKT3_S3_PKS5_S9_S3_SB_S6_S9_S3_SB_S9_S3_PS5_21rocsparse_index_base_SD_SD_SD_bbb.has_recursion, 0
	.set _ZN9rocsparseL38csrgemm_numeric_fill_wf_per_row_kernelILj256ELj16ELj32ELj137EiidEEvT4_S1_PKS1_S3_NS_24const_host_device_scalarIT5_EEPKT3_S3_PKS5_S9_S3_SB_S6_S9_S3_SB_S9_S3_PS5_21rocsparse_index_base_SD_SD_SD_bbb.has_indirect_call, 0
	.section	.AMDGPU.csdata,"",@progbits
; Kernel info:
; codeLenInByte = 1984
; TotalNumSgprs: 54
; NumVgprs: 24
; NumAgprs: 0
; TotalNumVgprs: 24
; ScratchSize: 0
; MemoryBound: 0
; FloatMode: 240
; IeeeMode: 1
; LDSByteSize: 6144 bytes/workgroup (compile time only)
; SGPRBlocks: 6
; VGPRBlocks: 2
; NumSGPRsForWavesPerEU: 54
; NumVGPRsForWavesPerEU: 24
; AccumOffset: 24
; Occupancy: 8
; WaveLimiterHint : 1
; COMPUTE_PGM_RSRC2:SCRATCH_EN: 0
; COMPUTE_PGM_RSRC2:USER_SGPR: 2
; COMPUTE_PGM_RSRC2:TRAP_HANDLER: 0
; COMPUTE_PGM_RSRC2:TGID_X_EN: 1
; COMPUTE_PGM_RSRC2:TGID_Y_EN: 0
; COMPUTE_PGM_RSRC2:TGID_Z_EN: 0
; COMPUTE_PGM_RSRC2:TIDIG_COMP_CNT: 0
; COMPUTE_PGM_RSRC3_GFX90A:ACCUM_OFFSET: 5
; COMPUTE_PGM_RSRC3_GFX90A:TG_SPLIT: 0
	.section	.text._ZN9rocsparseL41csrgemm_numeric_fill_block_per_row_kernelILj128ELj16ELj256ELj137ELj32EiidEEvT5_PKS1_S3_NS_24const_host_device_scalarIT6_EEPKT4_S3_PKS5_S9_S3_SB_S6_S9_S3_SB_S9_S3_PS5_21rocsparse_index_base_SD_SD_SD_bbb,"axG",@progbits,_ZN9rocsparseL41csrgemm_numeric_fill_block_per_row_kernelILj128ELj16ELj256ELj137ELj32EiidEEvT5_PKS1_S3_NS_24const_host_device_scalarIT6_EEPKT4_S3_PKS5_S9_S3_SB_S6_S9_S3_SB_S9_S3_PS5_21rocsparse_index_base_SD_SD_SD_bbb,comdat
	.globl	_ZN9rocsparseL41csrgemm_numeric_fill_block_per_row_kernelILj128ELj16ELj256ELj137ELj32EiidEEvT5_PKS1_S3_NS_24const_host_device_scalarIT6_EEPKT4_S3_PKS5_S9_S3_SB_S6_S9_S3_SB_S9_S3_PS5_21rocsparse_index_base_SD_SD_SD_bbb ; -- Begin function _ZN9rocsparseL41csrgemm_numeric_fill_block_per_row_kernelILj128ELj16ELj256ELj137ELj32EiidEEvT5_PKS1_S3_NS_24const_host_device_scalarIT6_EEPKT4_S3_PKS5_S9_S3_SB_S6_S9_S3_SB_S9_S3_PS5_21rocsparse_index_base_SD_SD_SD_bbb
	.p2align	8
	.type	_ZN9rocsparseL41csrgemm_numeric_fill_block_per_row_kernelILj128ELj16ELj256ELj137ELj32EiidEEvT5_PKS1_S3_NS_24const_host_device_scalarIT6_EEPKT4_S3_PKS5_S9_S3_SB_S6_S9_S3_SB_S9_S3_PS5_21rocsparse_index_base_SD_SD_SD_bbb,@function
_ZN9rocsparseL41csrgemm_numeric_fill_block_per_row_kernelILj128ELj16ELj256ELj137ELj32EiidEEvT5_PKS1_S3_NS_24const_host_device_scalarIT6_EEPKT4_S3_PKS5_S9_S3_SB_S6_S9_S3_SB_S9_S3_PS5_21rocsparse_index_base_SD_SD_SD_bbb: ; @_ZN9rocsparseL41csrgemm_numeric_fill_block_per_row_kernelILj128ELj16ELj256ELj137ELj32EiidEEvT5_PKS1_S3_NS_24const_host_device_scalarIT6_EEPKT4_S3_PKS5_S9_S3_SB_S6_S9_S3_SB_S9_S3_PS5_21rocsparse_index_base_SD_SD_SD_bbb
; %bb.0:
	s_load_dword s3, s[0:1], 0x98
	s_load_dwordx2 s[6:7], s[0:1], 0x18
	s_load_dwordx2 s[4:5], s[0:1], 0x50
	s_waitcnt lgkmcnt(0)
	s_bitcmp1_b32 s3, 0
	s_cselect_b64 s[38:39], -1, 0
	s_bitcmp1_b32 s3, 16
	s_cselect_b64 s[8:9], -1, 0
	s_xor_b64 s[10:11], s[38:39], -1
	s_or_b64 s[10:11], s[8:9], s[10:11]
	s_and_b64 s[12:13], s[38:39], exec
	s_cselect_b32 s13, s7, 0
	s_cselect_b32 s12, s6, 0
	s_and_b64 vcc, exec, s[10:11]
	v_mov_b64_e32 v[4:5], s[12:13]
	s_cbranch_vccnz .LBB22_2
; %bb.1:
	v_mov_b64_e32 v[2:3], s[6:7]
	flat_load_dwordx2 v[4:5], v[2:3]
.LBB22_2:
	s_bitcmp1_b32 s3, 8
	s_cselect_b64 s[36:37], -1, 0
	s_load_dwordx4 s[20:23], s[0:1], 0x88
	s_xor_b64 s[6:7], s[36:37], -1
	s_or_b64 s[6:7], s[8:9], s[6:7]
	s_and_b64 s[8:9], s[36:37], exec
	s_cselect_b32 s9, s5, 0
	s_cselect_b32 s8, s4, 0
	s_and_b64 vcc, exec, s[6:7]
	v_mov_b64_e32 v[2:3], s[8:9]
	s_cbranch_vccnz .LBB22_4
; %bb.3:
	v_mov_b64_e32 v[2:3], s[4:5]
	flat_load_dwordx2 v[2:3], v[2:3]
.LBB22_4:
	s_load_dwordx2 s[34:35], s[0:1], 0x80
	s_load_dwordx8 s[4:11], s[0:1], 0x58
	s_load_dwordx4 s[24:27], s[0:1], 0x40
	s_load_dwordx8 s[12:19], s[0:1], 0x20
	s_load_dwordx4 s[28:31], s[0:1], 0x8
	s_load_dword s33, s[0:1], 0x0
	s_movk_i32 s0, 0x100
	v_cmp_gt_u32_e64 s[0:1], s0, v0
	v_lshl_add_u32 v14, v0, 3, 0
	v_lshl_add_u32 v1, v0, 2, 0
	s_and_saveexec_b64 s[40:41], s[0:1]
	s_cbranch_execz .LBB22_7
; %bb.5:
	v_mov_b32_e32 v10, 0
	v_add_u32_e32 v6, 0x400, v14
	v_or_b32_e32 v7, 0xffffff80, v0
	v_lshl_add_u32 v8, v0, 2, 0
	s_mov_b64 s[42:43], 0
	s_waitcnt lgkmcnt(0)
	v_mov_b32_e32 v9, s33
	v_mov_b32_e32 v11, v10
.LBB22_6:                               ; =>This Inner Loop Header: Depth=1
	v_add_co_u32_e32 v7, vcc, 0x80, v7
	s_xor_b64 s[44:45], vcc, -1
	s_and_b64 s[44:45], exec, s[44:45]
	ds_write_b32 v8, v9
	ds_write_b64 v6, v[10:11]
	v_add_u32_e32 v6, 0x400, v6
	s_or_b64 s[42:43], s[44:45], s[42:43]
	v_add_u32_e32 v8, 0x200, v8
	s_andn2_b64 exec, exec, s[42:43]
	s_cbranch_execnz .LBB22_6
.LBB22_7:
	s_or_b64 exec, exec, s[40:41]
	s_waitcnt lgkmcnt(0)
	s_barrier
	s_load_dword s3, s[28:29], 0x0
	s_waitcnt lgkmcnt(0)
	s_add_i32 s2, s3, s2
	s_mov_b32 s3, 0
	s_lshl_b64 s[2:3], s[2:3], 2
	s_add_u32 s2, s30, s2
	s_addc_u32 s3, s31, s3
	s_load_dword s28, s[2:3], 0x0
	s_and_b64 vcc, exec, s[38:39]
	s_cbranch_vccz .LBB22_25
; %bb.8:
	s_waitcnt lgkmcnt(0)
	s_ashr_i32 s29, s28, 31
	s_lshl_b64 s[2:3], s[28:29], 2
	s_add_u32 s2, s12, s2
	s_addc_u32 s3, s13, s3
	s_load_dwordx2 s[12:13], s[2:3], 0x0
	v_lshrrev_b32_e32 v6, 4, v0
	v_subrev_u32_e32 v6, s20, v6
	s_waitcnt lgkmcnt(0)
	s_sub_i32 s29, s13, s20
	v_add_u32_e32 v6, s12, v6
	v_cmp_gt_i32_e32 vcc, s29, v6
	s_and_saveexec_b64 s[2:3], vcc
	s_cbranch_execz .LBB22_24
; %bb.9:
	v_and_b32_e32 v7, 15, v0
	v_subrev_u32_e32 v15, s21, v7
	s_mov_b64 s[12:13], 0
	s_movk_i32 s50, 0x89
	s_branch .LBB22_11
.LBB22_10:                              ;   in Loop: Header=BB22_11 Depth=1
	s_or_b64 exec, exec, s[30:31]
	v_add_u32_e32 v6, 8, v6
	v_cmp_le_i32_e32 vcc, s29, v6
	s_or_b64 s[12:13], vcc, s[12:13]
	s_andn2_b64 exec, exec, s[12:13]
	s_cbranch_execz .LBB22_24
.LBB22_11:                              ; =>This Loop Header: Depth=1
                                        ;     Child Loop BB22_15 Depth 2
                                        ;       Child Loop BB22_18 Depth 3
	v_ashrrev_i32_e32 v7, 31, v6
	v_lshl_add_u64 v[8:9], v[6:7], 2, s[14:15]
	global_load_dword v8, v[8:9], off
	s_waitcnt vmcnt(0)
	v_subrev_u32_e32 v8, s20, v8
	v_ashrrev_i32_e32 v9, 31, v8
	v_lshl_add_u64 v[8:9], v[8:9], 2, s[18:19]
	global_load_dwordx2 v[8:9], v[8:9], off
	s_waitcnt vmcnt(0)
	v_subrev_u32_e32 v16, s21, v9
	v_add_u32_e32 v8, v8, v15
	v_cmp_lt_i32_e32 vcc, v8, v16
	s_and_saveexec_b64 s[30:31], vcc
	s_cbranch_execz .LBB22_10
; %bb.12:                               ;   in Loop: Header=BB22_11 Depth=1
	v_lshl_add_u64 v[10:11], v[6:7], 3, s[16:17]
	global_load_dwordx2 v[10:11], v[10:11], off
	s_mov_b64 s[38:39], 0
	s_waitcnt vmcnt(0)
	v_mul_f64 v[10:11], v[4:5], v[10:11]
	s_branch .LBB22_15
.LBB22_13:                              ;   in Loop: Header=BB22_15 Depth=2
	s_or_b64 exec, exec, s[42:43]
.LBB22_14:                              ;   in Loop: Header=BB22_15 Depth=2
	s_or_b64 exec, exec, s[40:41]
	s_waitcnt vmcnt(0)
	v_mul_f64 v[12:13], v[10:11], v[12:13]
	v_lshl_add_u32 v7, v7, 3, 0
	ds_add_f64 v7, v[12:13] offset:1024
	v_add_u32_e32 v8, 16, v8
	v_cmp_ge_i32_e32 vcc, v8, v16
	s_or_b64 s[38:39], vcc, s[38:39]
	s_andn2_b64 exec, exec, s[38:39]
	s_cbranch_execz .LBB22_10
.LBB22_15:                              ;   Parent Loop BB22_11 Depth=1
                                        ; =>  This Loop Header: Depth=2
                                        ;       Child Loop BB22_18 Depth 3
	v_ashrrev_i32_e32 v9, 31, v8
	v_lshl_add_u64 v[12:13], v[8:9], 2, s[24:25]
	global_load_dword v7, v[12:13], off
	v_lshl_add_u64 v[12:13], v[8:9], 3, s[26:27]
	global_load_dwordx2 v[12:13], v[12:13], off
	s_waitcnt vmcnt(1)
	v_subrev_u32_e32 v9, s21, v7
	v_mul_lo_u32 v7, v9, s50
	v_and_b32_e32 v7, 0xff, v7
	v_lshl_add_u32 v17, v7, 2, 0
	ds_read_b32 v18, v17
	s_waitcnt lgkmcnt(0)
	v_cmp_ne_u32_e32 vcc, v18, v9
	s_and_saveexec_b64 s[40:41], vcc
	s_cbranch_execz .LBB22_14
; %bb.16:                               ;   in Loop: Header=BB22_15 Depth=2
	s_mov_b64 s[42:43], 0
	s_branch .LBB22_18
.LBB22_17:                              ;   in Loop: Header=BB22_18 Depth=3
	s_or_b64 exec, exec, s[48:49]
	s_and_b64 s[44:45], exec, s[46:47]
	s_or_b64 s[42:43], s[44:45], s[42:43]
	s_andn2_b64 exec, exec, s[42:43]
	s_cbranch_execz .LBB22_13
.LBB22_18:                              ;   Parent Loop BB22_11 Depth=1
                                        ;     Parent Loop BB22_15 Depth=2
                                        ; =>    This Inner Loop Header: Depth=3
	v_cmp_ne_u32_e32 vcc, s33, v18
	s_mov_b64 s[44:45], 0
	s_and_saveexec_b64 s[46:47], vcc
	s_xor_b64 s[46:47], exec, s[46:47]
	s_cbranch_execz .LBB22_20
; %bb.19:                               ;   in Loop: Header=BB22_18 Depth=3
	v_add_u32_e32 v7, 1, v7
	s_mov_b64 s[44:45], exec
	v_and_b32_e32 v7, 0xff, v7
                                        ; implicit-def: $vgpr17
	s_andn2_saveexec_b64 s[46:47], s[46:47]
	s_cbranch_execz .LBB22_22
	s_branch .LBB22_21
.LBB22_20:                              ;   in Loop: Header=BB22_18 Depth=3
	s_andn2_saveexec_b64 s[46:47], s[46:47]
	s_cbranch_execz .LBB22_22
.LBB22_21:                              ;   in Loop: Header=BB22_18 Depth=3
	v_mov_b32_e32 v18, s33
	ds_cmpst_rtn_b32 v17, v17, v18, v9
	s_andn2_b64 s[44:45], s[44:45], exec
	s_waitcnt lgkmcnt(0)
	v_cmp_ne_u32_e32 vcc, s33, v17
	s_and_b64 s[48:49], vcc, exec
	s_or_b64 s[44:45], s[44:45], s[48:49]
.LBB22_22:                              ;   in Loop: Header=BB22_18 Depth=3
	s_or_b64 exec, exec, s[46:47]
	s_mov_b64 s[46:47], -1
                                        ; implicit-def: $vgpr17
                                        ; implicit-def: $vgpr18
	s_and_saveexec_b64 s[48:49], s[44:45]
	s_cbranch_execz .LBB22_17
; %bb.23:                               ;   in Loop: Header=BB22_18 Depth=3
	v_lshl_add_u32 v17, v7, 2, 0
	ds_read_b32 v18, v17
	s_waitcnt lgkmcnt(0)
	v_cmp_eq_u32_e32 vcc, v18, v9
	s_orn2_b64 s[46:47], vcc, exec
	s_branch .LBB22_17
.LBB22_24:
	s_or_b64 exec, exec, s[2:3]
.LBB22_25:
	s_andn2_b64 vcc, exec, s[36:37]
	s_cbranch_vccnz .LBB22_40
; %bb.26:
	s_waitcnt lgkmcnt(0)
	s_ashr_i32 s29, s28, 31
	s_lshl_b64 s[2:3], s[28:29], 2
	s_add_u32 s2, s4, s2
	s_addc_u32 s3, s5, s3
	s_load_dwordx2 s[4:5], s[2:3], 0x0
	s_waitcnt vmcnt(0)
	v_subrev_u32_e32 v4, s23, v0
	s_waitcnt lgkmcnt(0)
	s_sub_i32 s24, s5, s23
	v_add_u32_e32 v4, s4, v4
	v_cmp_gt_i32_e32 vcc, s24, v4
	s_and_saveexec_b64 s[2:3], vcc
	s_cbranch_execz .LBB22_39
; %bb.27:
	s_mov_b64 s[4:5], 0
	s_movk_i32 s25, 0x89
	s_branch .LBB22_30
.LBB22_28:                              ;   in Loop: Header=BB22_30 Depth=1
	s_or_b64 exec, exec, s[14:15]
.LBB22_29:                              ;   in Loop: Header=BB22_30 Depth=1
	s_or_b64 exec, exec, s[12:13]
	s_waitcnt vmcnt(0)
	v_mul_f64 v[6:7], v[2:3], v[6:7]
	v_lshl_add_u32 v5, v5, 3, 0
	ds_add_f64 v5, v[6:7] offset:1024
	v_add_u32_e32 v4, 0x80, v4
	v_cmp_le_i32_e32 vcc, s24, v4
	s_or_b64 s[4:5], vcc, s[4:5]
	s_andn2_b64 exec, exec, s[4:5]
	s_cbranch_execz .LBB22_39
.LBB22_30:                              ; =>This Loop Header: Depth=1
                                        ;     Child Loop BB22_33 Depth 2
	v_ashrrev_i32_e32 v5, 31, v4
	v_lshl_add_u64 v[6:7], v[4:5], 2, s[6:7]
	global_load_dword v8, v[6:7], off
	v_lshl_add_u64 v[6:7], v[4:5], 3, s[8:9]
	global_load_dwordx2 v[6:7], v[6:7], off
	s_waitcnt vmcnt(1)
	v_subrev_u32_e32 v8, s23, v8
	v_mul_lo_u32 v5, v8, s25
	v_and_b32_e32 v5, 0xff, v5
	v_lshl_add_u32 v9, v5, 2, 0
	ds_read_b32 v10, v9
	s_waitcnt lgkmcnt(0)
	v_cmp_ne_u32_e32 vcc, v10, v8
	s_and_saveexec_b64 s[12:13], vcc
	s_cbranch_execz .LBB22_29
; %bb.31:                               ;   in Loop: Header=BB22_30 Depth=1
	s_mov_b64 s[14:15], 0
	s_branch .LBB22_33
.LBB22_32:                              ;   in Loop: Header=BB22_33 Depth=2
	s_or_b64 exec, exec, s[20:21]
	s_and_b64 s[16:17], exec, s[18:19]
	s_or_b64 s[14:15], s[16:17], s[14:15]
	s_andn2_b64 exec, exec, s[14:15]
	s_cbranch_execz .LBB22_28
.LBB22_33:                              ;   Parent Loop BB22_30 Depth=1
                                        ; =>  This Inner Loop Header: Depth=2
	v_cmp_ne_u32_e32 vcc, s33, v10
	s_mov_b64 s[16:17], 0
	s_and_saveexec_b64 s[18:19], vcc
	s_xor_b64 s[18:19], exec, s[18:19]
	s_cbranch_execz .LBB22_35
; %bb.34:                               ;   in Loop: Header=BB22_33 Depth=2
	v_add_u32_e32 v5, 1, v5
	s_mov_b64 s[16:17], exec
	v_and_b32_e32 v5, 0xff, v5
                                        ; implicit-def: $vgpr9
	s_andn2_saveexec_b64 s[18:19], s[18:19]
	s_cbranch_execz .LBB22_37
	s_branch .LBB22_36
.LBB22_35:                              ;   in Loop: Header=BB22_33 Depth=2
	s_andn2_saveexec_b64 s[18:19], s[18:19]
	s_cbranch_execz .LBB22_37
.LBB22_36:                              ;   in Loop: Header=BB22_33 Depth=2
	v_mov_b32_e32 v10, s33
	ds_cmpst_rtn_b32 v9, v9, v10, v8
	s_andn2_b64 s[16:17], s[16:17], exec
	s_waitcnt lgkmcnt(0)
	v_cmp_ne_u32_e32 vcc, s33, v9
	s_and_b64 s[20:21], vcc, exec
	s_or_b64 s[16:17], s[16:17], s[20:21]
.LBB22_37:                              ;   in Loop: Header=BB22_33 Depth=2
	s_or_b64 exec, exec, s[18:19]
	s_mov_b64 s[18:19], -1
                                        ; implicit-def: $vgpr9
                                        ; implicit-def: $vgpr10
	s_and_saveexec_b64 s[20:21], s[16:17]
	s_cbranch_execz .LBB22_32
; %bb.38:                               ;   in Loop: Header=BB22_33 Depth=2
	v_lshl_add_u32 v9, v5, 2, 0
	ds_read_b32 v10, v9
	s_waitcnt lgkmcnt(0)
	v_cmp_eq_u32_e32 vcc, v10, v8
	s_orn2_b64 s[18:19], vcc, exec
	s_branch .LBB22_32
.LBB22_39:
	s_or_b64 exec, exec, s[2:3]
.LBB22_40:
	s_waitcnt lgkmcnt(0)
	s_barrier
	s_and_saveexec_b64 s[8:9], s[0:1]
	s_cbranch_execz .LBB22_53
; %bb.41:
	s_waitcnt vmcnt(0)
	v_mbcnt_lo_u32_b32 v2, -1, 0
	v_mbcnt_hi_u32_b32 v2, -1, v2
	v_lshrrev_b32_e32 v4, 3, v0
	v_sub_u32_e32 v2, 63, v2
	v_and_b32_e32 v4, 12, v4
	s_movk_i32 s0, 0x7f
	s_movk_i32 s6, 0x5f
	v_mov_b32_e32 v6, 0
	v_lshrrev_b64 v[2:3], v2, -1
	v_add_u32_e32 v7, 0, v4
	v_cmp_eq_u32_e64 s[0:1], s0, v0
	v_cmp_lt_u32_e64 s[2:3], 31, v0
	v_cmp_lt_u32_e64 s[4:5], 63, v0
	;; [unrolled: 1-line block ×3, first 2 shown]
	v_add_u32_e32 v8, 0x400, v14
	v_or_b32_e32 v9, 0xffffff80, v0
	s_mov_b64 s[12:13], 0
	v_mov_b32_e32 v10, 0
	s_branch .LBB22_43
.LBB22_42:                              ;   in Loop: Header=BB22_43 Depth=1
	s_or_b64 exec, exec, s[14:15]
	s_waitcnt lgkmcnt(0)
	s_barrier
	ds_read_b32 v4, v6 offset:3084
	v_add_co_u32_e32 v9, vcc, 0x80, v9
	s_xor_b64 s[14:15], vcc, -1
	s_and_b64 s[14:15], exec, s[14:15]
	v_add_u32_e32 v8, 0x400, v8
	s_waitcnt lgkmcnt(0)
	v_add_u32_e32 v10, v4, v10
	s_or_b64 s[12:13], s[14:15], s[12:13]
	v_add_u32_e32 v1, 0x200, v1
	s_andn2_b64 exec, exec, s[12:13]
	s_cbranch_execz .LBB22_53
.LBB22_43:                              ; =>This Inner Loop Header: Depth=1
	ds_read_b32 v11, v1
	ds_read_b64 v[4:5], v8
	s_waitcnt lgkmcnt(0)
	s_barrier
	v_cmp_gt_i32_e32 vcc, s33, v11
	s_bcnt1_i32_b64 s14, vcc
	s_nop 0
	v_and_b32_e32 v13, vcc_lo, v2
	v_and_b32_e32 v12, vcc_hi, v3
	v_bcnt_u32_b32 v13, v13, 0
	v_bcnt_u32_b32 v12, v12, v13
	v_mov_b32_e32 v13, s14
	ds_write_b32 v7, v13 offset:3072
	s_waitcnt lgkmcnt(0)
	s_barrier
	s_and_saveexec_b64 s[14:15], s[2:3]
	s_cbranch_execz .LBB22_48
; %bb.44:                               ;   in Loop: Header=BB22_43 Depth=1
	ds_read_b32 v13, v6 offset:3072
	s_waitcnt lgkmcnt(0)
	v_add_u32_e32 v12, v13, v12
	s_or_b64 exec, exec, s[14:15]
	s_and_saveexec_b64 s[14:15], s[4:5]
	s_cbranch_execnz .LBB22_49
.LBB22_45:                              ;   in Loop: Header=BB22_43 Depth=1
	s_or_b64 exec, exec, s[14:15]
	s_and_saveexec_b64 s[14:15], s[6:7]
	s_cbranch_execz .LBB22_50
.LBB22_46:                              ;   in Loop: Header=BB22_43 Depth=1
	ds_read_b32 v13, v6 offset:3080
	s_waitcnt lgkmcnt(0)
	v_add_u32_e32 v12, v13, v12
	s_or_b64 exec, exec, s[14:15]
	s_and_saveexec_b64 s[14:15], vcc
	s_cbranch_execnz .LBB22_51
.LBB22_47:                              ;   in Loop: Header=BB22_43 Depth=1
	s_or_b64 exec, exec, s[14:15]
	s_and_saveexec_b64 s[14:15], s[0:1]
	s_cbranch_execz .LBB22_42
	s_branch .LBB22_52
.LBB22_48:                              ;   in Loop: Header=BB22_43 Depth=1
	s_or_b64 exec, exec, s[14:15]
	s_and_saveexec_b64 s[14:15], s[4:5]
	s_cbranch_execz .LBB22_45
.LBB22_49:                              ;   in Loop: Header=BB22_43 Depth=1
	ds_read_b32 v13, v6 offset:3076
	s_waitcnt lgkmcnt(0)
	v_add_u32_e32 v12, v13, v12
	s_or_b64 exec, exec, s[14:15]
	s_and_saveexec_b64 s[14:15], s[6:7]
	s_cbranch_execnz .LBB22_46
.LBB22_50:                              ;   in Loop: Header=BB22_43 Depth=1
	s_or_b64 exec, exec, s[14:15]
	s_and_saveexec_b64 s[14:15], vcc
	s_cbranch_execz .LBB22_47
.LBB22_51:                              ;   in Loop: Header=BB22_43 Depth=1
	v_add3_u32 v13, v10, -1, v12
	v_lshl_add_u32 v13, v13, 2, 0
	v_add_u32_e32 v14, v10, v12
	v_lshl_add_u32 v14, v14, 3, 0
	ds_write_b32 v13, v11
	ds_write_b64 v14, v[4:5] offset:1016
	s_or_b64 exec, exec, s[14:15]
	s_and_saveexec_b64 s[14:15], s[0:1]
	s_cbranch_execz .LBB22_42
.LBB22_52:                              ;   in Loop: Header=BB22_43 Depth=1
	ds_write_b32 v6, v12 offset:3084
	s_branch .LBB22_42
.LBB22_53:
	s_or_b64 exec, exec, s[8:9]
	s_ashr_i32 s29, s28, 31
	s_lshl_b64 s[0:1], s[28:29], 2
	s_add_u32 s2, s10, s0
	s_addc_u32 s3, s11, s1
	s_load_dwordx2 s[0:1], s[2:3], 0x0
	s_waitcnt lgkmcnt(0)
	s_sub_i32 s14, s1, s0
	v_cmp_gt_i32_e32 vcc, s14, v0
	s_and_saveexec_b64 s[2:3], vcc
	s_cbranch_execz .LBB22_67
; %bb.54:
	s_sub_i32 s8, s0, s22
	v_sub_co_u32_e64 v1, s[0:1], s14, 2
	s_nop 0
	v_readfirstlane_b32 s2, v1
	s_lshr_b32 s2, s2, 1
	s_add_i32 s2, s2, 1
	s_xor_b64 s[0:1], s[0:1], -1
	s_and_b32 s15, s14, -2
	s_and_b32 s3, s2, 7
	s_and_b32 s16, s2, -8
	s_cmp_lg_u32 s3, 0
	v_cmp_lt_u32_e32 vcc, 13, v1
	s_cselect_b64 s[4:5], -1, 0
	s_cmp_lg_u32 s14, s15
	v_cndmask_b32_e64 v1, 0, 1, vcc
	s_cselect_b64 s[10:11], -1, 0
	s_lshl_b32 s17, s3, 3
	s_waitcnt vmcnt(0)
	v_cndmask_b32_e64 v2, 0, 1, s[0:1]
	v_cmp_ne_u32_e64 s[2:3], 1, v1
	v_cndmask_b32_e64 v1, 0, 1, s[4:5]
	s_mov_b32 s9, 0
	s_mov_b64 s[12:13], 0
	v_cmp_ne_u32_e64 s[0:1], 1, v2
	v_cmp_ne_u32_e64 s[4:5], 1, v1
	s_branch .LBB22_56
.LBB22_55:                              ;   in Loop: Header=BB22_56 Depth=1
	v_add_u32_e32 v0, 0x80, v0
	v_ashrrev_i32_e32 v5, 31, v4
	v_cmp_le_i32_e32 vcc, s14, v0
	v_lshl_add_u64 v[4:5], v[4:5], 3, s[34:35]
	s_or_b64 s[12:13], vcc, s[12:13]
	s_waitcnt lgkmcnt(0)
	global_store_dwordx2 v[4:5], v[2:3], off
	s_andn2_b64 exec, exec, s[12:13]
	s_cbranch_execz .LBB22_67
.LBB22_56:                              ; =>This Loop Header: Depth=1
                                        ;     Child Loop BB22_59 Depth 2
                                        ;     Child Loop BB22_62 Depth 2
	;; [unrolled: 1-line block ×3, first 2 shown]
	v_lshlrev_b32_e32 v1, 2, v0
	v_add_u32_e32 v2, 0, v1
	v_add_u32_e32 v3, v2, v1
	ds_read_b32 v1, v2
	ds_read_b64 v[2:3], v3 offset:1024
	s_and_b64 vcc, exec, s[0:1]
	v_mov_b32_e32 v4, s8
	s_mov_b32 s18, 0
	s_mov_b64 s[6:7], -1
	s_cbranch_vccnz .LBB22_64
; %bb.57:                               ;   in Loop: Header=BB22_56 Depth=1
	s_and_b64 vcc, exec, s[2:3]
	v_mov_b64_e32 v[4:5], s[8:9]
	s_cbranch_vccnz .LBB22_60
; %bb.58:                               ;   in Loop: Header=BB22_56 Depth=1
	s_mov_b32 s19, 0
	v_mov_b32_e32 v4, s8
	v_mov_b32_e32 v5, 0
	s_mov_b32 s20, s16
.LBB22_59:                              ;   Parent Loop BB22_56 Depth=1
                                        ; =>  This Inner Loop Header: Depth=2
	v_mov_b32_e32 v20, s19
	ds_read2_b32 v[6:7], v20 offset1:1
	ds_read2_b32 v[8:9], v20 offset0:2 offset1:3
	ds_read2_b32 v[10:11], v20 offset0:4 offset1:5
	;; [unrolled: 1-line block ×7, first 2 shown]
	s_waitcnt lgkmcnt(7)
	v_cmp_gt_i32_e32 vcc, v1, v7
	s_waitcnt lgkmcnt(5)
	v_cmp_gt_i32_e64 s[6:7], v1, v10
	s_add_i32 s18, s18, 16
	v_cndmask_b32_e64 v7, 0, 1, vcc
	v_cmp_gt_i32_e32 vcc, v1, v6
	s_add_i32 s19, s19, 64
	s_add_i32 s20, s20, -8
	v_cndmask_b32_e64 v6, 0, 1, vcc
	v_cmp_gt_i32_e32 vcc, v1, v9
	v_cndmask_b32_e64 v9, 0, 1, s[6:7]
	v_cmp_gt_i32_e64 s[6:7], v1, v11
	v_addc_co_u32_e32 v5, vcc, v5, v7, vcc
	s_nop 0
	v_cndmask_b32_e64 v10, 0, 1, s[6:7]
	s_waitcnt lgkmcnt(3)
	v_cmp_gt_i32_e64 s[6:7], v1, v15
	v_cmp_gt_i32_e32 vcc, v1, v12
	s_cmp_lg_u32 s20, 0
	v_cndmask_b32_e64 v11, 0, 1, s[6:7]
	v_cmp_gt_i32_e64 s[6:7], v1, v14
	s_nop 1
	v_cndmask_b32_e64 v14, 0, 1, s[6:7]
	s_waitcnt lgkmcnt(1)
	v_cmp_gt_i32_e64 s[6:7], v1, v18
	s_nop 1
	v_cndmask_b32_e64 v15, 0, 1, s[6:7]
	v_cmp_gt_i32_e64 s[6:7], v1, v19
	s_nop 1
	v_cndmask_b32_e64 v18, 0, 1, s[6:7]
	v_cmp_gt_i32_e64 s[6:7], v1, v8
	s_nop 1
	v_addc_co_u32_e64 v4, s[6:7], v4, v6, s[6:7]
	v_cmp_gt_i32_e64 s[6:7], v1, v13
	v_addc_co_u32_e32 v4, vcc, v4, v9, vcc
	s_nop 0
	v_addc_co_u32_e64 v5, s[6:7], v5, v10, s[6:7]
	v_cmp_gt_i32_e32 vcc, v1, v17
	v_cmp_gt_i32_e64 s[6:7], v1, v16
	s_nop 0
	v_addc_co_u32_e32 v5, vcc, v5, v11, vcc
	v_addc_co_u32_e64 v4, s[6:7], v4, v14, s[6:7]
	s_waitcnt lgkmcnt(0)
	v_cmp_gt_i32_e32 vcc, v1, v20
	v_cmp_gt_i32_e64 s[6:7], v1, v21
	s_nop 0
	v_addc_co_u32_e32 v4, vcc, v4, v15, vcc
	v_addc_co_u32_e64 v5, s[6:7], v5, v18, s[6:7]
	s_cbranch_scc1 .LBB22_59
.LBB22_60:                              ;   in Loop: Header=BB22_56 Depth=1
	s_and_b64 vcc, exec, s[4:5]
	s_cbranch_vccnz .LBB22_63
; %bb.61:                               ;   in Loop: Header=BB22_56 Depth=1
	s_lshl_b32 s6, s18, 2
	s_add_i32 s6, s6, 0
	s_mov_b32 s7, s17
.LBB22_62:                              ;   Parent Loop BB22_56 Depth=1
                                        ; =>  This Inner Loop Header: Depth=2
	v_mov_b32_e32 v6, s6
	ds_read2_b32 v[6:7], v6 offset1:1
	s_add_i32 s6, s6, 8
	s_add_i32 s7, s7, -8
	s_cmp_lg_u32 s7, 0
	s_waitcnt lgkmcnt(0)
	v_cmp_gt_i32_e32 vcc, v1, v7
	s_nop 1
	v_addc_co_u32_e32 v5, vcc, 0, v5, vcc
	v_cmp_gt_i32_e32 vcc, v1, v6
	s_nop 1
	v_addc_co_u32_e32 v4, vcc, 0, v4, vcc
	s_cbranch_scc1 .LBB22_62
.LBB22_63:                              ;   in Loop: Header=BB22_56 Depth=1
	v_add_u32_e32 v4, v4, v5
	s_mov_b32 s18, s15
	s_mov_b64 s[6:7], s[10:11]
.LBB22_64:                              ;   in Loop: Header=BB22_56 Depth=1
	s_and_b64 vcc, exec, s[6:7]
	s_cbranch_vccz .LBB22_55
; %bb.65:                               ;   in Loop: Header=BB22_56 Depth=1
	s_lshl_b32 s6, s18, 2
	s_add_i32 s6, s6, 0
.LBB22_66:                              ;   Parent Loop BB22_56 Depth=1
                                        ; =>  This Inner Loop Header: Depth=2
	v_mov_b32_e32 v5, s6
	ds_read_b32 v5, v5
	s_add_i32 s18, s18, 1
	s_add_i32 s6, s6, 4
	s_cmp_ge_i32 s18, s14
	s_waitcnt lgkmcnt(0)
	v_cmp_gt_i32_e32 vcc, v1, v5
	s_nop 1
	v_addc_co_u32_e32 v4, vcc, 0, v4, vcc
	s_cbranch_scc0 .LBB22_66
	s_branch .LBB22_55
.LBB22_67:
	s_endpgm
	.section	.rodata,"a",@progbits
	.p2align	6, 0x0
	.amdhsa_kernel _ZN9rocsparseL41csrgemm_numeric_fill_block_per_row_kernelILj128ELj16ELj256ELj137ELj32EiidEEvT5_PKS1_S3_NS_24const_host_device_scalarIT6_EEPKT4_S3_PKS5_S9_S3_SB_S6_S9_S3_SB_S9_S3_PS5_21rocsparse_index_base_SD_SD_SD_bbb
		.amdhsa_group_segment_fixed_size 0
		.amdhsa_private_segment_fixed_size 0
		.amdhsa_kernarg_size 156
		.amdhsa_user_sgpr_count 2
		.amdhsa_user_sgpr_dispatch_ptr 0
		.amdhsa_user_sgpr_queue_ptr 0
		.amdhsa_user_sgpr_kernarg_segment_ptr 1
		.amdhsa_user_sgpr_dispatch_id 0
		.amdhsa_user_sgpr_kernarg_preload_length 0
		.amdhsa_user_sgpr_kernarg_preload_offset 0
		.amdhsa_user_sgpr_private_segment_size 0
		.amdhsa_uses_dynamic_stack 0
		.amdhsa_enable_private_segment 0
		.amdhsa_system_sgpr_workgroup_id_x 1
		.amdhsa_system_sgpr_workgroup_id_y 0
		.amdhsa_system_sgpr_workgroup_id_z 0
		.amdhsa_system_sgpr_workgroup_info 0
		.amdhsa_system_vgpr_workitem_id 0
		.amdhsa_next_free_vgpr 22
		.amdhsa_next_free_sgpr 51
		.amdhsa_accum_offset 24
		.amdhsa_reserve_vcc 1
		.amdhsa_float_round_mode_32 0
		.amdhsa_float_round_mode_16_64 0
		.amdhsa_float_denorm_mode_32 3
		.amdhsa_float_denorm_mode_16_64 3
		.amdhsa_dx10_clamp 1
		.amdhsa_ieee_mode 1
		.amdhsa_fp16_overflow 0
		.amdhsa_tg_split 0
		.amdhsa_exception_fp_ieee_invalid_op 0
		.amdhsa_exception_fp_denorm_src 0
		.amdhsa_exception_fp_ieee_div_zero 0
		.amdhsa_exception_fp_ieee_overflow 0
		.amdhsa_exception_fp_ieee_underflow 0
		.amdhsa_exception_fp_ieee_inexact 0
		.amdhsa_exception_int_div_zero 0
	.end_amdhsa_kernel
	.section	.text._ZN9rocsparseL41csrgemm_numeric_fill_block_per_row_kernelILj128ELj16ELj256ELj137ELj32EiidEEvT5_PKS1_S3_NS_24const_host_device_scalarIT6_EEPKT4_S3_PKS5_S9_S3_SB_S6_S9_S3_SB_S9_S3_PS5_21rocsparse_index_base_SD_SD_SD_bbb,"axG",@progbits,_ZN9rocsparseL41csrgemm_numeric_fill_block_per_row_kernelILj128ELj16ELj256ELj137ELj32EiidEEvT5_PKS1_S3_NS_24const_host_device_scalarIT6_EEPKT4_S3_PKS5_S9_S3_SB_S6_S9_S3_SB_S9_S3_PS5_21rocsparse_index_base_SD_SD_SD_bbb,comdat
.Lfunc_end22:
	.size	_ZN9rocsparseL41csrgemm_numeric_fill_block_per_row_kernelILj128ELj16ELj256ELj137ELj32EiidEEvT5_PKS1_S3_NS_24const_host_device_scalarIT6_EEPKT4_S3_PKS5_S9_S3_SB_S6_S9_S3_SB_S9_S3_PS5_21rocsparse_index_base_SD_SD_SD_bbb, .Lfunc_end22-_ZN9rocsparseL41csrgemm_numeric_fill_block_per_row_kernelILj128ELj16ELj256ELj137ELj32EiidEEvT5_PKS1_S3_NS_24const_host_device_scalarIT6_EEPKT4_S3_PKS5_S9_S3_SB_S6_S9_S3_SB_S9_S3_PS5_21rocsparse_index_base_SD_SD_SD_bbb
                                        ; -- End function
	.set _ZN9rocsparseL41csrgemm_numeric_fill_block_per_row_kernelILj128ELj16ELj256ELj137ELj32EiidEEvT5_PKS1_S3_NS_24const_host_device_scalarIT6_EEPKT4_S3_PKS5_S9_S3_SB_S6_S9_S3_SB_S9_S3_PS5_21rocsparse_index_base_SD_SD_SD_bbb.num_vgpr, 22
	.set _ZN9rocsparseL41csrgemm_numeric_fill_block_per_row_kernelILj128ELj16ELj256ELj137ELj32EiidEEvT5_PKS1_S3_NS_24const_host_device_scalarIT6_EEPKT4_S3_PKS5_S9_S3_SB_S6_S9_S3_SB_S9_S3_PS5_21rocsparse_index_base_SD_SD_SD_bbb.num_agpr, 0
	.set _ZN9rocsparseL41csrgemm_numeric_fill_block_per_row_kernelILj128ELj16ELj256ELj137ELj32EiidEEvT5_PKS1_S3_NS_24const_host_device_scalarIT6_EEPKT4_S3_PKS5_S9_S3_SB_S6_S9_S3_SB_S9_S3_PS5_21rocsparse_index_base_SD_SD_SD_bbb.numbered_sgpr, 51
	.set _ZN9rocsparseL41csrgemm_numeric_fill_block_per_row_kernelILj128ELj16ELj256ELj137ELj32EiidEEvT5_PKS1_S3_NS_24const_host_device_scalarIT6_EEPKT4_S3_PKS5_S9_S3_SB_S6_S9_S3_SB_S9_S3_PS5_21rocsparse_index_base_SD_SD_SD_bbb.num_named_barrier, 0
	.set _ZN9rocsparseL41csrgemm_numeric_fill_block_per_row_kernelILj128ELj16ELj256ELj137ELj32EiidEEvT5_PKS1_S3_NS_24const_host_device_scalarIT6_EEPKT4_S3_PKS5_S9_S3_SB_S6_S9_S3_SB_S9_S3_PS5_21rocsparse_index_base_SD_SD_SD_bbb.private_seg_size, 0
	.set _ZN9rocsparseL41csrgemm_numeric_fill_block_per_row_kernelILj128ELj16ELj256ELj137ELj32EiidEEvT5_PKS1_S3_NS_24const_host_device_scalarIT6_EEPKT4_S3_PKS5_S9_S3_SB_S6_S9_S3_SB_S9_S3_PS5_21rocsparse_index_base_SD_SD_SD_bbb.uses_vcc, 1
	.set _ZN9rocsparseL41csrgemm_numeric_fill_block_per_row_kernelILj128ELj16ELj256ELj137ELj32EiidEEvT5_PKS1_S3_NS_24const_host_device_scalarIT6_EEPKT4_S3_PKS5_S9_S3_SB_S6_S9_S3_SB_S9_S3_PS5_21rocsparse_index_base_SD_SD_SD_bbb.uses_flat_scratch, 0
	.set _ZN9rocsparseL41csrgemm_numeric_fill_block_per_row_kernelILj128ELj16ELj256ELj137ELj32EiidEEvT5_PKS1_S3_NS_24const_host_device_scalarIT6_EEPKT4_S3_PKS5_S9_S3_SB_S6_S9_S3_SB_S9_S3_PS5_21rocsparse_index_base_SD_SD_SD_bbb.has_dyn_sized_stack, 0
	.set _ZN9rocsparseL41csrgemm_numeric_fill_block_per_row_kernelILj128ELj16ELj256ELj137ELj32EiidEEvT5_PKS1_S3_NS_24const_host_device_scalarIT6_EEPKT4_S3_PKS5_S9_S3_SB_S6_S9_S3_SB_S9_S3_PS5_21rocsparse_index_base_SD_SD_SD_bbb.has_recursion, 0
	.set _ZN9rocsparseL41csrgemm_numeric_fill_block_per_row_kernelILj128ELj16ELj256ELj137ELj32EiidEEvT5_PKS1_S3_NS_24const_host_device_scalarIT6_EEPKT4_S3_PKS5_S9_S3_SB_S6_S9_S3_SB_S9_S3_PS5_21rocsparse_index_base_SD_SD_SD_bbb.has_indirect_call, 0
	.section	.AMDGPU.csdata,"",@progbits
; Kernel info:
; codeLenInByte = 2636
; TotalNumSgprs: 57
; NumVgprs: 22
; NumAgprs: 0
; TotalNumVgprs: 22
; ScratchSize: 0
; MemoryBound: 0
; FloatMode: 240
; IeeeMode: 1
; LDSByteSize: 0 bytes/workgroup (compile time only)
; SGPRBlocks: 7
; VGPRBlocks: 2
; NumSGPRsForWavesPerEU: 57
; NumVGPRsForWavesPerEU: 22
; AccumOffset: 24
; Occupancy: 8
; WaveLimiterHint : 1
; COMPUTE_PGM_RSRC2:SCRATCH_EN: 0
; COMPUTE_PGM_RSRC2:USER_SGPR: 2
; COMPUTE_PGM_RSRC2:TRAP_HANDLER: 0
; COMPUTE_PGM_RSRC2:TGID_X_EN: 1
; COMPUTE_PGM_RSRC2:TGID_Y_EN: 0
; COMPUTE_PGM_RSRC2:TGID_Z_EN: 0
; COMPUTE_PGM_RSRC2:TIDIG_COMP_CNT: 0
; COMPUTE_PGM_RSRC3_GFX90A:ACCUM_OFFSET: 5
; COMPUTE_PGM_RSRC3_GFX90A:TG_SPLIT: 0
	.section	.text._ZN9rocsparseL41csrgemm_numeric_fill_block_per_row_kernelILj128ELj16ELj256ELj137ELj64EiidEEvT5_PKS1_S3_NS_24const_host_device_scalarIT6_EEPKT4_S3_PKS5_S9_S3_SB_S6_S9_S3_SB_S9_S3_PS5_21rocsparse_index_base_SD_SD_SD_bbb,"axG",@progbits,_ZN9rocsparseL41csrgemm_numeric_fill_block_per_row_kernelILj128ELj16ELj256ELj137ELj64EiidEEvT5_PKS1_S3_NS_24const_host_device_scalarIT6_EEPKT4_S3_PKS5_S9_S3_SB_S6_S9_S3_SB_S9_S3_PS5_21rocsparse_index_base_SD_SD_SD_bbb,comdat
	.globl	_ZN9rocsparseL41csrgemm_numeric_fill_block_per_row_kernelILj128ELj16ELj256ELj137ELj64EiidEEvT5_PKS1_S3_NS_24const_host_device_scalarIT6_EEPKT4_S3_PKS5_S9_S3_SB_S6_S9_S3_SB_S9_S3_PS5_21rocsparse_index_base_SD_SD_SD_bbb ; -- Begin function _ZN9rocsparseL41csrgemm_numeric_fill_block_per_row_kernelILj128ELj16ELj256ELj137ELj64EiidEEvT5_PKS1_S3_NS_24const_host_device_scalarIT6_EEPKT4_S3_PKS5_S9_S3_SB_S6_S9_S3_SB_S9_S3_PS5_21rocsparse_index_base_SD_SD_SD_bbb
	.p2align	8
	.type	_ZN9rocsparseL41csrgemm_numeric_fill_block_per_row_kernelILj128ELj16ELj256ELj137ELj64EiidEEvT5_PKS1_S3_NS_24const_host_device_scalarIT6_EEPKT4_S3_PKS5_S9_S3_SB_S6_S9_S3_SB_S9_S3_PS5_21rocsparse_index_base_SD_SD_SD_bbb,@function
_ZN9rocsparseL41csrgemm_numeric_fill_block_per_row_kernelILj128ELj16ELj256ELj137ELj64EiidEEvT5_PKS1_S3_NS_24const_host_device_scalarIT6_EEPKT4_S3_PKS5_S9_S3_SB_S6_S9_S3_SB_S9_S3_PS5_21rocsparse_index_base_SD_SD_SD_bbb: ; @_ZN9rocsparseL41csrgemm_numeric_fill_block_per_row_kernelILj128ELj16ELj256ELj137ELj64EiidEEvT5_PKS1_S3_NS_24const_host_device_scalarIT6_EEPKT4_S3_PKS5_S9_S3_SB_S6_S9_S3_SB_S9_S3_PS5_21rocsparse_index_base_SD_SD_SD_bbb
; %bb.0:
	s_load_dword s3, s[0:1], 0x98
	s_load_dwordx2 s[6:7], s[0:1], 0x18
	s_load_dwordx2 s[4:5], s[0:1], 0x50
	s_waitcnt lgkmcnt(0)
	s_bitcmp1_b32 s3, 0
	s_cselect_b64 s[38:39], -1, 0
	s_bitcmp1_b32 s3, 16
	s_cselect_b64 s[8:9], -1, 0
	s_xor_b64 s[10:11], s[38:39], -1
	s_or_b64 s[10:11], s[8:9], s[10:11]
	s_and_b64 s[12:13], s[38:39], exec
	s_cselect_b32 s13, s7, 0
	s_cselect_b32 s12, s6, 0
	s_and_b64 vcc, exec, s[10:11]
	v_mov_b64_e32 v[4:5], s[12:13]
	s_cbranch_vccnz .LBB23_2
; %bb.1:
	v_mov_b64_e32 v[2:3], s[6:7]
	flat_load_dwordx2 v[4:5], v[2:3]
.LBB23_2:
	s_bitcmp1_b32 s3, 8
	s_cselect_b64 s[36:37], -1, 0
	s_load_dwordx4 s[20:23], s[0:1], 0x88
	s_xor_b64 s[6:7], s[36:37], -1
	s_or_b64 s[6:7], s[8:9], s[6:7]
	s_and_b64 s[8:9], s[36:37], exec
	s_cselect_b32 s9, s5, 0
	s_cselect_b32 s8, s4, 0
	s_and_b64 vcc, exec, s[6:7]
	v_mov_b64_e32 v[2:3], s[8:9]
	s_cbranch_vccnz .LBB23_4
; %bb.3:
	v_mov_b64_e32 v[2:3], s[4:5]
	flat_load_dwordx2 v[2:3], v[2:3]
.LBB23_4:
	s_load_dwordx2 s[34:35], s[0:1], 0x80
	s_load_dwordx8 s[4:11], s[0:1], 0x58
	s_load_dwordx4 s[24:27], s[0:1], 0x40
	s_load_dwordx8 s[12:19], s[0:1], 0x20
	s_load_dwordx4 s[28:31], s[0:1], 0x8
	s_load_dword s33, s[0:1], 0x0
	s_movk_i32 s0, 0x100
	v_cmp_gt_u32_e64 s[0:1], s0, v0
	v_lshl_add_u32 v14, v0, 3, 0
	v_lshl_add_u32 v1, v0, 2, 0
	s_and_saveexec_b64 s[40:41], s[0:1]
	s_cbranch_execz .LBB23_7
; %bb.5:
	v_mov_b32_e32 v10, 0
	v_add_u32_e32 v6, 0x400, v14
	v_or_b32_e32 v7, 0xffffff80, v0
	v_lshl_add_u32 v8, v0, 2, 0
	s_mov_b64 s[42:43], 0
	s_waitcnt lgkmcnt(0)
	v_mov_b32_e32 v9, s33
	v_mov_b32_e32 v11, v10
.LBB23_6:                               ; =>This Inner Loop Header: Depth=1
	v_add_co_u32_e32 v7, vcc, 0x80, v7
	s_xor_b64 s[44:45], vcc, -1
	s_and_b64 s[44:45], exec, s[44:45]
	ds_write_b32 v8, v9
	ds_write_b64 v6, v[10:11]
	v_add_u32_e32 v6, 0x400, v6
	s_or_b64 s[42:43], s[44:45], s[42:43]
	v_add_u32_e32 v8, 0x200, v8
	s_andn2_b64 exec, exec, s[42:43]
	s_cbranch_execnz .LBB23_6
.LBB23_7:
	s_or_b64 exec, exec, s[40:41]
	s_waitcnt lgkmcnt(0)
	s_barrier
	s_load_dword s3, s[28:29], 0x0
	v_lshrrev_b32_e32 v15, 4, v0
	s_waitcnt lgkmcnt(0)
	s_add_i32 s2, s3, s2
	s_mov_b32 s3, 0
	s_lshl_b64 s[2:3], s[2:3], 2
	s_add_u32 s2, s30, s2
	s_addc_u32 s3, s31, s3
	s_load_dword s28, s[2:3], 0x0
	s_and_b64 vcc, exec, s[38:39]
	s_cbranch_vccz .LBB23_25
; %bb.8:
	s_waitcnt lgkmcnt(0)
	s_ashr_i32 s29, s28, 31
	s_lshl_b64 s[2:3], s[28:29], 2
	s_add_u32 s2, s12, s2
	s_addc_u32 s3, s13, s3
	s_load_dwordx2 s[12:13], s[2:3], 0x0
	v_subrev_u32_e32 v6, s20, v15
	s_waitcnt lgkmcnt(0)
	s_sub_i32 s29, s13, s20
	v_add_u32_e32 v6, s12, v6
	v_cmp_gt_i32_e32 vcc, s29, v6
	s_and_saveexec_b64 s[2:3], vcc
	s_cbranch_execz .LBB23_24
; %bb.9:
	v_and_b32_e32 v7, 15, v0
	v_subrev_u32_e32 v16, s21, v7
	s_mov_b64 s[12:13], 0
	s_movk_i32 s50, 0x89
	s_branch .LBB23_11
.LBB23_10:                              ;   in Loop: Header=BB23_11 Depth=1
	s_or_b64 exec, exec, s[30:31]
	v_add_u32_e32 v6, 8, v6
	v_cmp_le_i32_e32 vcc, s29, v6
	s_or_b64 s[12:13], vcc, s[12:13]
	s_andn2_b64 exec, exec, s[12:13]
	s_cbranch_execz .LBB23_24
.LBB23_11:                              ; =>This Loop Header: Depth=1
                                        ;     Child Loop BB23_15 Depth 2
                                        ;       Child Loop BB23_18 Depth 3
	v_ashrrev_i32_e32 v7, 31, v6
	v_lshl_add_u64 v[8:9], v[6:7], 2, s[14:15]
	global_load_dword v8, v[8:9], off
	s_waitcnt vmcnt(0)
	v_subrev_u32_e32 v8, s20, v8
	v_ashrrev_i32_e32 v9, 31, v8
	v_lshl_add_u64 v[8:9], v[8:9], 2, s[18:19]
	global_load_dwordx2 v[8:9], v[8:9], off
	s_waitcnt vmcnt(0)
	v_subrev_u32_e32 v17, s21, v9
	v_add_u32_e32 v8, v8, v16
	v_cmp_lt_i32_e32 vcc, v8, v17
	s_and_saveexec_b64 s[30:31], vcc
	s_cbranch_execz .LBB23_10
; %bb.12:                               ;   in Loop: Header=BB23_11 Depth=1
	v_lshl_add_u64 v[10:11], v[6:7], 3, s[16:17]
	global_load_dwordx2 v[10:11], v[10:11], off
	s_mov_b64 s[38:39], 0
	s_waitcnt vmcnt(0)
	v_mul_f64 v[10:11], v[4:5], v[10:11]
	s_branch .LBB23_15
.LBB23_13:                              ;   in Loop: Header=BB23_15 Depth=2
	s_or_b64 exec, exec, s[42:43]
.LBB23_14:                              ;   in Loop: Header=BB23_15 Depth=2
	s_or_b64 exec, exec, s[40:41]
	s_waitcnt vmcnt(0)
	v_mul_f64 v[12:13], v[10:11], v[12:13]
	v_lshl_add_u32 v7, v7, 3, 0
	ds_add_f64 v7, v[12:13] offset:1024
	v_add_u32_e32 v8, 16, v8
	v_cmp_ge_i32_e32 vcc, v8, v17
	s_or_b64 s[38:39], vcc, s[38:39]
	s_andn2_b64 exec, exec, s[38:39]
	s_cbranch_execz .LBB23_10
.LBB23_15:                              ;   Parent Loop BB23_11 Depth=1
                                        ; =>  This Loop Header: Depth=2
                                        ;       Child Loop BB23_18 Depth 3
	v_ashrrev_i32_e32 v9, 31, v8
	v_lshl_add_u64 v[12:13], v[8:9], 2, s[24:25]
	global_load_dword v7, v[12:13], off
	v_lshl_add_u64 v[12:13], v[8:9], 3, s[26:27]
	global_load_dwordx2 v[12:13], v[12:13], off
	s_waitcnt vmcnt(1)
	v_subrev_u32_e32 v9, s21, v7
	v_mul_lo_u32 v7, v9, s50
	v_and_b32_e32 v7, 0xff, v7
	v_lshl_add_u32 v18, v7, 2, 0
	ds_read_b32 v19, v18
	s_waitcnt lgkmcnt(0)
	v_cmp_ne_u32_e32 vcc, v19, v9
	s_and_saveexec_b64 s[40:41], vcc
	s_cbranch_execz .LBB23_14
; %bb.16:                               ;   in Loop: Header=BB23_15 Depth=2
	s_mov_b64 s[42:43], 0
	s_branch .LBB23_18
.LBB23_17:                              ;   in Loop: Header=BB23_18 Depth=3
	s_or_b64 exec, exec, s[48:49]
	s_and_b64 s[44:45], exec, s[46:47]
	s_or_b64 s[42:43], s[44:45], s[42:43]
	s_andn2_b64 exec, exec, s[42:43]
	s_cbranch_execz .LBB23_13
.LBB23_18:                              ;   Parent Loop BB23_11 Depth=1
                                        ;     Parent Loop BB23_15 Depth=2
                                        ; =>    This Inner Loop Header: Depth=3
	v_cmp_ne_u32_e32 vcc, s33, v19
	s_mov_b64 s[44:45], 0
	s_and_saveexec_b64 s[46:47], vcc
	s_xor_b64 s[46:47], exec, s[46:47]
	s_cbranch_execz .LBB23_20
; %bb.19:                               ;   in Loop: Header=BB23_18 Depth=3
	v_add_u32_e32 v7, 1, v7
	s_mov_b64 s[44:45], exec
	v_and_b32_e32 v7, 0xff, v7
                                        ; implicit-def: $vgpr18
	s_andn2_saveexec_b64 s[46:47], s[46:47]
	s_cbranch_execz .LBB23_22
	s_branch .LBB23_21
.LBB23_20:                              ;   in Loop: Header=BB23_18 Depth=3
	s_andn2_saveexec_b64 s[46:47], s[46:47]
	s_cbranch_execz .LBB23_22
.LBB23_21:                              ;   in Loop: Header=BB23_18 Depth=3
	v_mov_b32_e32 v19, s33
	ds_cmpst_rtn_b32 v18, v18, v19, v9
	s_andn2_b64 s[44:45], s[44:45], exec
	s_waitcnt lgkmcnt(0)
	v_cmp_ne_u32_e32 vcc, s33, v18
	s_and_b64 s[48:49], vcc, exec
	s_or_b64 s[44:45], s[44:45], s[48:49]
.LBB23_22:                              ;   in Loop: Header=BB23_18 Depth=3
	s_or_b64 exec, exec, s[46:47]
	s_mov_b64 s[46:47], -1
                                        ; implicit-def: $vgpr18
                                        ; implicit-def: $vgpr19
	s_and_saveexec_b64 s[48:49], s[44:45]
	s_cbranch_execz .LBB23_17
; %bb.23:                               ;   in Loop: Header=BB23_18 Depth=3
	v_lshl_add_u32 v18, v7, 2, 0
	ds_read_b32 v19, v18
	s_waitcnt lgkmcnt(0)
	v_cmp_eq_u32_e32 vcc, v19, v9
	s_orn2_b64 s[46:47], vcc, exec
	s_branch .LBB23_17
.LBB23_24:
	s_or_b64 exec, exec, s[2:3]
.LBB23_25:
	s_andn2_b64 vcc, exec, s[36:37]
	s_cbranch_vccnz .LBB23_40
; %bb.26:
	s_waitcnt lgkmcnt(0)
	s_ashr_i32 s29, s28, 31
	s_lshl_b64 s[2:3], s[28:29], 2
	s_add_u32 s2, s4, s2
	s_addc_u32 s3, s5, s3
	s_load_dwordx2 s[4:5], s[2:3], 0x0
	s_waitcnt vmcnt(0)
	v_subrev_u32_e32 v4, s23, v0
	s_waitcnt lgkmcnt(0)
	s_sub_i32 s24, s5, s23
	v_add_u32_e32 v4, s4, v4
	v_cmp_gt_i32_e32 vcc, s24, v4
	s_and_saveexec_b64 s[2:3], vcc
	s_cbranch_execz .LBB23_39
; %bb.27:
	s_mov_b64 s[4:5], 0
	s_movk_i32 s25, 0x89
	s_branch .LBB23_30
.LBB23_28:                              ;   in Loop: Header=BB23_30 Depth=1
	s_or_b64 exec, exec, s[14:15]
.LBB23_29:                              ;   in Loop: Header=BB23_30 Depth=1
	s_or_b64 exec, exec, s[12:13]
	s_waitcnt vmcnt(0)
	v_mul_f64 v[6:7], v[2:3], v[6:7]
	v_lshl_add_u32 v5, v5, 3, 0
	ds_add_f64 v5, v[6:7] offset:1024
	v_add_u32_e32 v4, 0x80, v4
	v_cmp_le_i32_e32 vcc, s24, v4
	s_or_b64 s[4:5], vcc, s[4:5]
	s_andn2_b64 exec, exec, s[4:5]
	s_cbranch_execz .LBB23_39
.LBB23_30:                              ; =>This Loop Header: Depth=1
                                        ;     Child Loop BB23_33 Depth 2
	v_ashrrev_i32_e32 v5, 31, v4
	v_lshl_add_u64 v[6:7], v[4:5], 2, s[6:7]
	global_load_dword v8, v[6:7], off
	v_lshl_add_u64 v[6:7], v[4:5], 3, s[8:9]
	global_load_dwordx2 v[6:7], v[6:7], off
	s_waitcnt vmcnt(1)
	v_subrev_u32_e32 v8, s23, v8
	v_mul_lo_u32 v5, v8, s25
	v_and_b32_e32 v5, 0xff, v5
	v_lshl_add_u32 v9, v5, 2, 0
	ds_read_b32 v10, v9
	s_waitcnt lgkmcnt(0)
	v_cmp_ne_u32_e32 vcc, v10, v8
	s_and_saveexec_b64 s[12:13], vcc
	s_cbranch_execz .LBB23_29
; %bb.31:                               ;   in Loop: Header=BB23_30 Depth=1
	s_mov_b64 s[14:15], 0
	s_branch .LBB23_33
.LBB23_32:                              ;   in Loop: Header=BB23_33 Depth=2
	s_or_b64 exec, exec, s[20:21]
	s_and_b64 s[16:17], exec, s[18:19]
	s_or_b64 s[14:15], s[16:17], s[14:15]
	s_andn2_b64 exec, exec, s[14:15]
	s_cbranch_execz .LBB23_28
.LBB23_33:                              ;   Parent Loop BB23_30 Depth=1
                                        ; =>  This Inner Loop Header: Depth=2
	v_cmp_ne_u32_e32 vcc, s33, v10
	s_mov_b64 s[16:17], 0
	s_and_saveexec_b64 s[18:19], vcc
	s_xor_b64 s[18:19], exec, s[18:19]
	s_cbranch_execz .LBB23_35
; %bb.34:                               ;   in Loop: Header=BB23_33 Depth=2
	v_add_u32_e32 v5, 1, v5
	s_mov_b64 s[16:17], exec
	v_and_b32_e32 v5, 0xff, v5
                                        ; implicit-def: $vgpr9
	s_andn2_saveexec_b64 s[18:19], s[18:19]
	s_cbranch_execz .LBB23_37
	s_branch .LBB23_36
.LBB23_35:                              ;   in Loop: Header=BB23_33 Depth=2
	s_andn2_saveexec_b64 s[18:19], s[18:19]
	s_cbranch_execz .LBB23_37
.LBB23_36:                              ;   in Loop: Header=BB23_33 Depth=2
	v_mov_b32_e32 v10, s33
	ds_cmpst_rtn_b32 v9, v9, v10, v8
	s_andn2_b64 s[16:17], s[16:17], exec
	s_waitcnt lgkmcnt(0)
	v_cmp_ne_u32_e32 vcc, s33, v9
	s_and_b64 s[20:21], vcc, exec
	s_or_b64 s[16:17], s[16:17], s[20:21]
.LBB23_37:                              ;   in Loop: Header=BB23_33 Depth=2
	s_or_b64 exec, exec, s[18:19]
	s_mov_b64 s[18:19], -1
                                        ; implicit-def: $vgpr9
                                        ; implicit-def: $vgpr10
	s_and_saveexec_b64 s[20:21], s[16:17]
	s_cbranch_execz .LBB23_32
; %bb.38:                               ;   in Loop: Header=BB23_33 Depth=2
	v_lshl_add_u32 v9, v5, 2, 0
	ds_read_b32 v10, v9
	s_waitcnt lgkmcnt(0)
	v_cmp_eq_u32_e32 vcc, v10, v8
	s_orn2_b64 s[18:19], vcc, exec
	s_branch .LBB23_32
.LBB23_39:
	s_or_b64 exec, exec, s[2:3]
.LBB23_40:
	s_waitcnt lgkmcnt(0)
	s_barrier
	s_and_saveexec_b64 s[4:5], s[0:1]
	s_cbranch_execz .LBB23_49
; %bb.41:
	s_waitcnt vmcnt(0)
	v_mbcnt_lo_u32_b32 v2, -1, 0
	v_mbcnt_hi_u32_b32 v2, -1, v2
	v_sub_u32_e32 v2, 63, v2
	v_and_b32_e32 v4, 4, v15
	s_movk_i32 s2, 0x7f
	v_mov_b32_e32 v6, 0
	v_lshrrev_b64 v[2:3], v2, -1
	v_add_u32_e32 v7, 0, v4
	v_cmp_lt_u32_e64 s[0:1], 63, v0
	v_cmp_eq_u32_e64 s[2:3], s2, v0
	v_add_u32_e32 v8, 0x400, v14
	v_or_b32_e32 v9, 0xffffff80, v0
	s_mov_b64 s[6:7], 0
	v_mov_b32_e32 v10, 0
	s_branch .LBB23_43
.LBB23_42:                              ;   in Loop: Header=BB23_43 Depth=1
	s_or_b64 exec, exec, s[8:9]
	s_waitcnt lgkmcnt(0)
	s_barrier
	ds_read_b32 v4, v6 offset:3076
	v_add_co_u32_e32 v9, vcc, 0x80, v9
	s_xor_b64 s[8:9], vcc, -1
	s_and_b64 s[8:9], exec, s[8:9]
	v_add_u32_e32 v8, 0x400, v8
	s_waitcnt lgkmcnt(0)
	v_add_u32_e32 v10, v4, v10
	s_or_b64 s[6:7], s[8:9], s[6:7]
	v_add_u32_e32 v1, 0x200, v1
	s_andn2_b64 exec, exec, s[6:7]
	s_cbranch_execz .LBB23_49
.LBB23_43:                              ; =>This Inner Loop Header: Depth=1
	ds_read_b32 v11, v1
	ds_read_b64 v[4:5], v8
	s_waitcnt lgkmcnt(0)
	s_barrier
	v_cmp_gt_i32_e32 vcc, s33, v11
	s_bcnt1_i32_b64 s8, vcc
	s_nop 0
	v_and_b32_e32 v13, vcc_lo, v2
	v_and_b32_e32 v12, vcc_hi, v3
	v_bcnt_u32_b32 v13, v13, 0
	v_bcnt_u32_b32 v12, v12, v13
	v_mov_b32_e32 v13, s8
	ds_write_b32 v7, v13 offset:3072
	s_waitcnt lgkmcnt(0)
	s_barrier
	s_and_saveexec_b64 s[8:9], s[0:1]
	s_cbranch_execz .LBB23_46
; %bb.44:                               ;   in Loop: Header=BB23_43 Depth=1
	ds_read_b32 v13, v6 offset:3072
	s_waitcnt lgkmcnt(0)
	v_add_u32_e32 v12, v13, v12
	s_or_b64 exec, exec, s[8:9]
	s_and_saveexec_b64 s[8:9], vcc
	s_cbranch_execnz .LBB23_47
.LBB23_45:                              ;   in Loop: Header=BB23_43 Depth=1
	s_or_b64 exec, exec, s[8:9]
	s_and_saveexec_b64 s[8:9], s[2:3]
	s_cbranch_execz .LBB23_42
	s_branch .LBB23_48
.LBB23_46:                              ;   in Loop: Header=BB23_43 Depth=1
	s_or_b64 exec, exec, s[8:9]
	s_and_saveexec_b64 s[8:9], vcc
	s_cbranch_execz .LBB23_45
.LBB23_47:                              ;   in Loop: Header=BB23_43 Depth=1
	v_add3_u32 v13, v10, -1, v12
	v_lshl_add_u32 v13, v13, 2, 0
	v_add_u32_e32 v14, v10, v12
	v_lshl_add_u32 v14, v14, 3, 0
	ds_write_b32 v13, v11
	ds_write_b64 v14, v[4:5] offset:1016
	s_or_b64 exec, exec, s[8:9]
	s_and_saveexec_b64 s[8:9], s[2:3]
	s_cbranch_execz .LBB23_42
.LBB23_48:                              ;   in Loop: Header=BB23_43 Depth=1
	ds_write_b32 v6, v12 offset:3076
	s_branch .LBB23_42
.LBB23_49:
	s_or_b64 exec, exec, s[4:5]
	s_ashr_i32 s29, s28, 31
	s_lshl_b64 s[0:1], s[28:29], 2
	s_add_u32 s2, s10, s0
	s_addc_u32 s3, s11, s1
	s_load_dwordx2 s[0:1], s[2:3], 0x0
	s_waitcnt lgkmcnt(0)
	s_sub_i32 s14, s1, s0
	v_cmp_gt_i32_e32 vcc, s14, v0
	s_and_saveexec_b64 s[2:3], vcc
	s_cbranch_execz .LBB23_63
; %bb.50:
	s_sub_i32 s8, s0, s22
	v_sub_co_u32_e64 v1, s[0:1], s14, 2
	s_nop 0
	v_readfirstlane_b32 s2, v1
	s_lshr_b32 s2, s2, 1
	s_add_i32 s2, s2, 1
	s_xor_b64 s[0:1], s[0:1], -1
	s_and_b32 s15, s14, -2
	s_and_b32 s3, s2, 7
	s_and_b32 s16, s2, -8
	s_cmp_lg_u32 s3, 0
	v_cmp_lt_u32_e32 vcc, 13, v1
	s_cselect_b64 s[4:5], -1, 0
	s_cmp_lg_u32 s14, s15
	v_cndmask_b32_e64 v1, 0, 1, vcc
	s_cselect_b64 s[10:11], -1, 0
	s_lshl_b32 s17, s3, 3
	s_waitcnt vmcnt(0)
	v_cndmask_b32_e64 v2, 0, 1, s[0:1]
	v_cmp_ne_u32_e64 s[2:3], 1, v1
	v_cndmask_b32_e64 v1, 0, 1, s[4:5]
	s_mov_b32 s9, 0
	s_mov_b64 s[12:13], 0
	v_cmp_ne_u32_e64 s[0:1], 1, v2
	v_cmp_ne_u32_e64 s[4:5], 1, v1
	s_branch .LBB23_52
.LBB23_51:                              ;   in Loop: Header=BB23_52 Depth=1
	v_add_u32_e32 v0, 0x80, v0
	v_ashrrev_i32_e32 v5, 31, v4
	v_cmp_le_i32_e32 vcc, s14, v0
	v_lshl_add_u64 v[4:5], v[4:5], 3, s[34:35]
	s_or_b64 s[12:13], vcc, s[12:13]
	s_waitcnt lgkmcnt(0)
	global_store_dwordx2 v[4:5], v[2:3], off
	s_andn2_b64 exec, exec, s[12:13]
	s_cbranch_execz .LBB23_63
.LBB23_52:                              ; =>This Loop Header: Depth=1
                                        ;     Child Loop BB23_55 Depth 2
                                        ;     Child Loop BB23_58 Depth 2
	;; [unrolled: 1-line block ×3, first 2 shown]
	v_lshlrev_b32_e32 v1, 2, v0
	v_add_u32_e32 v2, 0, v1
	v_add_u32_e32 v3, v2, v1
	ds_read_b32 v1, v2
	ds_read_b64 v[2:3], v3 offset:1024
	s_and_b64 vcc, exec, s[0:1]
	v_mov_b32_e32 v4, s8
	s_mov_b32 s18, 0
	s_mov_b64 s[6:7], -1
	s_cbranch_vccnz .LBB23_60
; %bb.53:                               ;   in Loop: Header=BB23_52 Depth=1
	s_and_b64 vcc, exec, s[2:3]
	v_mov_b64_e32 v[4:5], s[8:9]
	s_cbranch_vccnz .LBB23_56
; %bb.54:                               ;   in Loop: Header=BB23_52 Depth=1
	s_mov_b32 s19, 0
	v_mov_b32_e32 v4, s8
	v_mov_b32_e32 v5, 0
	s_mov_b32 s20, s16
.LBB23_55:                              ;   Parent Loop BB23_52 Depth=1
                                        ; =>  This Inner Loop Header: Depth=2
	v_mov_b32_e32 v20, s19
	ds_read2_b32 v[6:7], v20 offset1:1
	ds_read2_b32 v[8:9], v20 offset0:2 offset1:3
	ds_read2_b32 v[10:11], v20 offset0:4 offset1:5
	;; [unrolled: 1-line block ×7, first 2 shown]
	s_waitcnt lgkmcnt(7)
	v_cmp_gt_i32_e32 vcc, v1, v7
	s_waitcnt lgkmcnt(5)
	v_cmp_gt_i32_e64 s[6:7], v1, v10
	s_add_i32 s18, s18, 16
	v_cndmask_b32_e64 v7, 0, 1, vcc
	v_cmp_gt_i32_e32 vcc, v1, v6
	s_add_i32 s19, s19, 64
	s_add_i32 s20, s20, -8
	v_cndmask_b32_e64 v6, 0, 1, vcc
	v_cmp_gt_i32_e32 vcc, v1, v9
	v_cndmask_b32_e64 v9, 0, 1, s[6:7]
	v_cmp_gt_i32_e64 s[6:7], v1, v11
	v_addc_co_u32_e32 v5, vcc, v5, v7, vcc
	s_nop 0
	v_cndmask_b32_e64 v10, 0, 1, s[6:7]
	s_waitcnt lgkmcnt(3)
	v_cmp_gt_i32_e64 s[6:7], v1, v15
	v_cmp_gt_i32_e32 vcc, v1, v12
	s_cmp_lg_u32 s20, 0
	v_cndmask_b32_e64 v11, 0, 1, s[6:7]
	v_cmp_gt_i32_e64 s[6:7], v1, v14
	s_nop 1
	v_cndmask_b32_e64 v14, 0, 1, s[6:7]
	s_waitcnt lgkmcnt(1)
	v_cmp_gt_i32_e64 s[6:7], v1, v18
	s_nop 1
	v_cndmask_b32_e64 v15, 0, 1, s[6:7]
	v_cmp_gt_i32_e64 s[6:7], v1, v19
	s_nop 1
	v_cndmask_b32_e64 v18, 0, 1, s[6:7]
	v_cmp_gt_i32_e64 s[6:7], v1, v8
	s_nop 1
	v_addc_co_u32_e64 v4, s[6:7], v4, v6, s[6:7]
	v_cmp_gt_i32_e64 s[6:7], v1, v13
	v_addc_co_u32_e32 v4, vcc, v4, v9, vcc
	s_nop 0
	v_addc_co_u32_e64 v5, s[6:7], v5, v10, s[6:7]
	v_cmp_gt_i32_e32 vcc, v1, v17
	v_cmp_gt_i32_e64 s[6:7], v1, v16
	s_nop 0
	v_addc_co_u32_e32 v5, vcc, v5, v11, vcc
	v_addc_co_u32_e64 v4, s[6:7], v4, v14, s[6:7]
	s_waitcnt lgkmcnt(0)
	v_cmp_gt_i32_e32 vcc, v1, v20
	v_cmp_gt_i32_e64 s[6:7], v1, v21
	s_nop 0
	v_addc_co_u32_e32 v4, vcc, v4, v15, vcc
	v_addc_co_u32_e64 v5, s[6:7], v5, v18, s[6:7]
	s_cbranch_scc1 .LBB23_55
.LBB23_56:                              ;   in Loop: Header=BB23_52 Depth=1
	s_and_b64 vcc, exec, s[4:5]
	s_cbranch_vccnz .LBB23_59
; %bb.57:                               ;   in Loop: Header=BB23_52 Depth=1
	s_lshl_b32 s6, s18, 2
	s_add_i32 s6, s6, 0
	s_mov_b32 s7, s17
.LBB23_58:                              ;   Parent Loop BB23_52 Depth=1
                                        ; =>  This Inner Loop Header: Depth=2
	v_mov_b32_e32 v6, s6
	ds_read2_b32 v[6:7], v6 offset1:1
	s_add_i32 s6, s6, 8
	s_add_i32 s7, s7, -8
	s_cmp_lg_u32 s7, 0
	s_waitcnt lgkmcnt(0)
	v_cmp_gt_i32_e32 vcc, v1, v7
	s_nop 1
	v_addc_co_u32_e32 v5, vcc, 0, v5, vcc
	v_cmp_gt_i32_e32 vcc, v1, v6
	s_nop 1
	v_addc_co_u32_e32 v4, vcc, 0, v4, vcc
	s_cbranch_scc1 .LBB23_58
.LBB23_59:                              ;   in Loop: Header=BB23_52 Depth=1
	v_add_u32_e32 v4, v4, v5
	s_mov_b32 s18, s15
	s_mov_b64 s[6:7], s[10:11]
.LBB23_60:                              ;   in Loop: Header=BB23_52 Depth=1
	s_and_b64 vcc, exec, s[6:7]
	s_cbranch_vccz .LBB23_51
; %bb.61:                               ;   in Loop: Header=BB23_52 Depth=1
	s_lshl_b32 s6, s18, 2
	s_add_i32 s6, s6, 0
.LBB23_62:                              ;   Parent Loop BB23_52 Depth=1
                                        ; =>  This Inner Loop Header: Depth=2
	v_mov_b32_e32 v5, s6
	ds_read_b32 v5, v5
	s_add_i32 s18, s18, 1
	s_add_i32 s6, s6, 4
	s_cmp_ge_i32 s18, s14
	s_waitcnt lgkmcnt(0)
	v_cmp_gt_i32_e32 vcc, v1, v5
	s_nop 1
	v_addc_co_u32_e32 v4, vcc, 0, v4, vcc
	s_cbranch_scc0 .LBB23_62
	s_branch .LBB23_51
.LBB23_63:
	s_endpgm
	.section	.rodata,"a",@progbits
	.p2align	6, 0x0
	.amdhsa_kernel _ZN9rocsparseL41csrgemm_numeric_fill_block_per_row_kernelILj128ELj16ELj256ELj137ELj64EiidEEvT5_PKS1_S3_NS_24const_host_device_scalarIT6_EEPKT4_S3_PKS5_S9_S3_SB_S6_S9_S3_SB_S9_S3_PS5_21rocsparse_index_base_SD_SD_SD_bbb
		.amdhsa_group_segment_fixed_size 0
		.amdhsa_private_segment_fixed_size 0
		.amdhsa_kernarg_size 156
		.amdhsa_user_sgpr_count 2
		.amdhsa_user_sgpr_dispatch_ptr 0
		.amdhsa_user_sgpr_queue_ptr 0
		.amdhsa_user_sgpr_kernarg_segment_ptr 1
		.amdhsa_user_sgpr_dispatch_id 0
		.amdhsa_user_sgpr_kernarg_preload_length 0
		.amdhsa_user_sgpr_kernarg_preload_offset 0
		.amdhsa_user_sgpr_private_segment_size 0
		.amdhsa_uses_dynamic_stack 0
		.amdhsa_enable_private_segment 0
		.amdhsa_system_sgpr_workgroup_id_x 1
		.amdhsa_system_sgpr_workgroup_id_y 0
		.amdhsa_system_sgpr_workgroup_id_z 0
		.amdhsa_system_sgpr_workgroup_info 0
		.amdhsa_system_vgpr_workitem_id 0
		.amdhsa_next_free_vgpr 22
		.amdhsa_next_free_sgpr 51
		.amdhsa_accum_offset 24
		.amdhsa_reserve_vcc 1
		.amdhsa_float_round_mode_32 0
		.amdhsa_float_round_mode_16_64 0
		.amdhsa_float_denorm_mode_32 3
		.amdhsa_float_denorm_mode_16_64 3
		.amdhsa_dx10_clamp 1
		.amdhsa_ieee_mode 1
		.amdhsa_fp16_overflow 0
		.amdhsa_tg_split 0
		.amdhsa_exception_fp_ieee_invalid_op 0
		.amdhsa_exception_fp_denorm_src 0
		.amdhsa_exception_fp_ieee_div_zero 0
		.amdhsa_exception_fp_ieee_overflow 0
		.amdhsa_exception_fp_ieee_underflow 0
		.amdhsa_exception_fp_ieee_inexact 0
		.amdhsa_exception_int_div_zero 0
	.end_amdhsa_kernel
	.section	.text._ZN9rocsparseL41csrgemm_numeric_fill_block_per_row_kernelILj128ELj16ELj256ELj137ELj64EiidEEvT5_PKS1_S3_NS_24const_host_device_scalarIT6_EEPKT4_S3_PKS5_S9_S3_SB_S6_S9_S3_SB_S9_S3_PS5_21rocsparse_index_base_SD_SD_SD_bbb,"axG",@progbits,_ZN9rocsparseL41csrgemm_numeric_fill_block_per_row_kernelILj128ELj16ELj256ELj137ELj64EiidEEvT5_PKS1_S3_NS_24const_host_device_scalarIT6_EEPKT4_S3_PKS5_S9_S3_SB_S6_S9_S3_SB_S9_S3_PS5_21rocsparse_index_base_SD_SD_SD_bbb,comdat
.Lfunc_end23:
	.size	_ZN9rocsparseL41csrgemm_numeric_fill_block_per_row_kernelILj128ELj16ELj256ELj137ELj64EiidEEvT5_PKS1_S3_NS_24const_host_device_scalarIT6_EEPKT4_S3_PKS5_S9_S3_SB_S6_S9_S3_SB_S9_S3_PS5_21rocsparse_index_base_SD_SD_SD_bbb, .Lfunc_end23-_ZN9rocsparseL41csrgemm_numeric_fill_block_per_row_kernelILj128ELj16ELj256ELj137ELj64EiidEEvT5_PKS1_S3_NS_24const_host_device_scalarIT6_EEPKT4_S3_PKS5_S9_S3_SB_S6_S9_S3_SB_S9_S3_PS5_21rocsparse_index_base_SD_SD_SD_bbb
                                        ; -- End function
	.set _ZN9rocsparseL41csrgemm_numeric_fill_block_per_row_kernelILj128ELj16ELj256ELj137ELj64EiidEEvT5_PKS1_S3_NS_24const_host_device_scalarIT6_EEPKT4_S3_PKS5_S9_S3_SB_S6_S9_S3_SB_S9_S3_PS5_21rocsparse_index_base_SD_SD_SD_bbb.num_vgpr, 22
	.set _ZN9rocsparseL41csrgemm_numeric_fill_block_per_row_kernelILj128ELj16ELj256ELj137ELj64EiidEEvT5_PKS1_S3_NS_24const_host_device_scalarIT6_EEPKT4_S3_PKS5_S9_S3_SB_S6_S9_S3_SB_S9_S3_PS5_21rocsparse_index_base_SD_SD_SD_bbb.num_agpr, 0
	.set _ZN9rocsparseL41csrgemm_numeric_fill_block_per_row_kernelILj128ELj16ELj256ELj137ELj64EiidEEvT5_PKS1_S3_NS_24const_host_device_scalarIT6_EEPKT4_S3_PKS5_S9_S3_SB_S6_S9_S3_SB_S9_S3_PS5_21rocsparse_index_base_SD_SD_SD_bbb.numbered_sgpr, 51
	.set _ZN9rocsparseL41csrgemm_numeric_fill_block_per_row_kernelILj128ELj16ELj256ELj137ELj64EiidEEvT5_PKS1_S3_NS_24const_host_device_scalarIT6_EEPKT4_S3_PKS5_S9_S3_SB_S6_S9_S3_SB_S9_S3_PS5_21rocsparse_index_base_SD_SD_SD_bbb.num_named_barrier, 0
	.set _ZN9rocsparseL41csrgemm_numeric_fill_block_per_row_kernelILj128ELj16ELj256ELj137ELj64EiidEEvT5_PKS1_S3_NS_24const_host_device_scalarIT6_EEPKT4_S3_PKS5_S9_S3_SB_S6_S9_S3_SB_S9_S3_PS5_21rocsparse_index_base_SD_SD_SD_bbb.private_seg_size, 0
	.set _ZN9rocsparseL41csrgemm_numeric_fill_block_per_row_kernelILj128ELj16ELj256ELj137ELj64EiidEEvT5_PKS1_S3_NS_24const_host_device_scalarIT6_EEPKT4_S3_PKS5_S9_S3_SB_S6_S9_S3_SB_S9_S3_PS5_21rocsparse_index_base_SD_SD_SD_bbb.uses_vcc, 1
	.set _ZN9rocsparseL41csrgemm_numeric_fill_block_per_row_kernelILj128ELj16ELj256ELj137ELj64EiidEEvT5_PKS1_S3_NS_24const_host_device_scalarIT6_EEPKT4_S3_PKS5_S9_S3_SB_S6_S9_S3_SB_S9_S3_PS5_21rocsparse_index_base_SD_SD_SD_bbb.uses_flat_scratch, 0
	.set _ZN9rocsparseL41csrgemm_numeric_fill_block_per_row_kernelILj128ELj16ELj256ELj137ELj64EiidEEvT5_PKS1_S3_NS_24const_host_device_scalarIT6_EEPKT4_S3_PKS5_S9_S3_SB_S6_S9_S3_SB_S9_S3_PS5_21rocsparse_index_base_SD_SD_SD_bbb.has_dyn_sized_stack, 0
	.set _ZN9rocsparseL41csrgemm_numeric_fill_block_per_row_kernelILj128ELj16ELj256ELj137ELj64EiidEEvT5_PKS1_S3_NS_24const_host_device_scalarIT6_EEPKT4_S3_PKS5_S9_S3_SB_S6_S9_S3_SB_S9_S3_PS5_21rocsparse_index_base_SD_SD_SD_bbb.has_recursion, 0
	.set _ZN9rocsparseL41csrgemm_numeric_fill_block_per_row_kernelILj128ELj16ELj256ELj137ELj64EiidEEvT5_PKS1_S3_NS_24const_host_device_scalarIT6_EEPKT4_S3_PKS5_S9_S3_SB_S6_S9_S3_SB_S9_S3_PS5_21rocsparse_index_base_SD_SD_SD_bbb.has_indirect_call, 0
	.section	.AMDGPU.csdata,"",@progbits
; Kernel info:
; codeLenInByte = 2532
; TotalNumSgprs: 57
; NumVgprs: 22
; NumAgprs: 0
; TotalNumVgprs: 22
; ScratchSize: 0
; MemoryBound: 0
; FloatMode: 240
; IeeeMode: 1
; LDSByteSize: 0 bytes/workgroup (compile time only)
; SGPRBlocks: 7
; VGPRBlocks: 2
; NumSGPRsForWavesPerEU: 57
; NumVGPRsForWavesPerEU: 22
; AccumOffset: 24
; Occupancy: 8
; WaveLimiterHint : 1
; COMPUTE_PGM_RSRC2:SCRATCH_EN: 0
; COMPUTE_PGM_RSRC2:USER_SGPR: 2
; COMPUTE_PGM_RSRC2:TRAP_HANDLER: 0
; COMPUTE_PGM_RSRC2:TGID_X_EN: 1
; COMPUTE_PGM_RSRC2:TGID_Y_EN: 0
; COMPUTE_PGM_RSRC2:TGID_Z_EN: 0
; COMPUTE_PGM_RSRC2:TIDIG_COMP_CNT: 0
; COMPUTE_PGM_RSRC3_GFX90A:ACCUM_OFFSET: 5
; COMPUTE_PGM_RSRC3_GFX90A:TG_SPLIT: 0
	.section	.text._ZN9rocsparseL41csrgemm_numeric_fill_block_per_row_kernelILj256ELj32ELj512ELj137ELj32EiidEEvT5_PKS1_S3_NS_24const_host_device_scalarIT6_EEPKT4_S3_PKS5_S9_S3_SB_S6_S9_S3_SB_S9_S3_PS5_21rocsparse_index_base_SD_SD_SD_bbb,"axG",@progbits,_ZN9rocsparseL41csrgemm_numeric_fill_block_per_row_kernelILj256ELj32ELj512ELj137ELj32EiidEEvT5_PKS1_S3_NS_24const_host_device_scalarIT6_EEPKT4_S3_PKS5_S9_S3_SB_S6_S9_S3_SB_S9_S3_PS5_21rocsparse_index_base_SD_SD_SD_bbb,comdat
	.globl	_ZN9rocsparseL41csrgemm_numeric_fill_block_per_row_kernelILj256ELj32ELj512ELj137ELj32EiidEEvT5_PKS1_S3_NS_24const_host_device_scalarIT6_EEPKT4_S3_PKS5_S9_S3_SB_S6_S9_S3_SB_S9_S3_PS5_21rocsparse_index_base_SD_SD_SD_bbb ; -- Begin function _ZN9rocsparseL41csrgemm_numeric_fill_block_per_row_kernelILj256ELj32ELj512ELj137ELj32EiidEEvT5_PKS1_S3_NS_24const_host_device_scalarIT6_EEPKT4_S3_PKS5_S9_S3_SB_S6_S9_S3_SB_S9_S3_PS5_21rocsparse_index_base_SD_SD_SD_bbb
	.p2align	8
	.type	_ZN9rocsparseL41csrgemm_numeric_fill_block_per_row_kernelILj256ELj32ELj512ELj137ELj32EiidEEvT5_PKS1_S3_NS_24const_host_device_scalarIT6_EEPKT4_S3_PKS5_S9_S3_SB_S6_S9_S3_SB_S9_S3_PS5_21rocsparse_index_base_SD_SD_SD_bbb,@function
_ZN9rocsparseL41csrgemm_numeric_fill_block_per_row_kernelILj256ELj32ELj512ELj137ELj32EiidEEvT5_PKS1_S3_NS_24const_host_device_scalarIT6_EEPKT4_S3_PKS5_S9_S3_SB_S6_S9_S3_SB_S9_S3_PS5_21rocsparse_index_base_SD_SD_SD_bbb: ; @_ZN9rocsparseL41csrgemm_numeric_fill_block_per_row_kernelILj256ELj32ELj512ELj137ELj32EiidEEvT5_PKS1_S3_NS_24const_host_device_scalarIT6_EEPKT4_S3_PKS5_S9_S3_SB_S6_S9_S3_SB_S9_S3_PS5_21rocsparse_index_base_SD_SD_SD_bbb
; %bb.0:
	s_load_dword s3, s[0:1], 0x98
	s_load_dwordx2 s[6:7], s[0:1], 0x18
	s_load_dwordx2 s[4:5], s[0:1], 0x50
	s_waitcnt lgkmcnt(0)
	s_bitcmp1_b32 s3, 0
	s_cselect_b64 s[38:39], -1, 0
	s_bitcmp1_b32 s3, 16
	s_cselect_b64 s[8:9], -1, 0
	s_xor_b64 s[10:11], s[38:39], -1
	s_or_b64 s[10:11], s[8:9], s[10:11]
	s_and_b64 s[12:13], s[38:39], exec
	s_cselect_b32 s13, s7, 0
	s_cselect_b32 s12, s6, 0
	s_and_b64 vcc, exec, s[10:11]
	v_mov_b64_e32 v[4:5], s[12:13]
	s_cbranch_vccnz .LBB24_2
; %bb.1:
	v_mov_b64_e32 v[2:3], s[6:7]
	flat_load_dwordx2 v[4:5], v[2:3]
.LBB24_2:
	s_bitcmp1_b32 s3, 8
	s_cselect_b64 s[36:37], -1, 0
	s_load_dwordx4 s[20:23], s[0:1], 0x88
	s_xor_b64 s[6:7], s[36:37], -1
	s_or_b64 s[6:7], s[8:9], s[6:7]
	s_and_b64 s[8:9], s[36:37], exec
	s_cselect_b32 s9, s5, 0
	s_cselect_b32 s8, s4, 0
	s_and_b64 vcc, exec, s[6:7]
	v_mov_b64_e32 v[2:3], s[8:9]
	s_cbranch_vccnz .LBB24_4
; %bb.3:
	v_mov_b64_e32 v[2:3], s[4:5]
	flat_load_dwordx2 v[2:3], v[2:3]
.LBB24_4:
	s_load_dwordx2 s[34:35], s[0:1], 0x80
	s_load_dwordx8 s[12:19], s[0:1], 0x58
	s_load_dwordx4 s[24:27], s[0:1], 0x40
	s_load_dwordx8 s[4:11], s[0:1], 0x20
	s_load_dwordx4 s[28:31], s[0:1], 0x8
	s_load_dword s33, s[0:1], 0x0
	s_movk_i32 s0, 0x200
	v_cmp_gt_u32_e64 s[0:1], s0, v0
	v_lshl_add_u32 v14, v0, 3, 0
	v_lshl_add_u32 v1, v0, 2, 0
	s_and_saveexec_b64 s[40:41], s[0:1]
	s_cbranch_execz .LBB24_7
; %bb.5:
	v_mov_b32_e32 v10, 0
	v_add_u32_e32 v6, 0x800, v14
	v_or_b32_e32 v7, 0xffffff00, v0
	v_lshl_add_u32 v8, v0, 2, 0
	s_mov_b64 s[42:43], 0
	s_waitcnt lgkmcnt(0)
	v_mov_b32_e32 v9, s33
	v_mov_b32_e32 v11, v10
.LBB24_6:                               ; =>This Inner Loop Header: Depth=1
	v_add_co_u32_e32 v7, vcc, 0x100, v7
	s_xor_b64 s[44:45], vcc, -1
	s_and_b64 s[44:45], exec, s[44:45]
	ds_write_b32 v8, v9
	ds_write_b64 v6, v[10:11]
	v_add_u32_e32 v6, 0x800, v6
	s_or_b64 s[42:43], s[44:45], s[42:43]
	v_add_u32_e32 v8, 0x400, v8
	s_andn2_b64 exec, exec, s[42:43]
	s_cbranch_execnz .LBB24_6
.LBB24_7:
	s_or_b64 exec, exec, s[40:41]
	s_waitcnt lgkmcnt(0)
	s_barrier
	s_load_dword s3, s[28:29], 0x0
	v_lshrrev_b32_e32 v15, 5, v0
	s_waitcnt lgkmcnt(0)
	s_add_i32 s2, s3, s2
	s_mov_b32 s3, 0
	s_lshl_b64 s[2:3], s[2:3], 2
	s_add_u32 s2, s30, s2
	s_addc_u32 s3, s31, s3
	s_load_dword s28, s[2:3], 0x0
	s_and_b64 vcc, exec, s[38:39]
	s_cbranch_vccz .LBB24_25
; %bb.8:
	s_waitcnt lgkmcnt(0)
	s_ashr_i32 s29, s28, 31
	s_lshl_b64 s[2:3], s[28:29], 2
	s_add_u32 s2, s4, s2
	s_addc_u32 s3, s5, s3
	s_load_dwordx2 s[4:5], s[2:3], 0x0
	v_subrev_u32_e32 v6, s20, v15
	s_waitcnt lgkmcnt(0)
	s_sub_i32 s29, s5, s20
	v_add_u32_e32 v6, s4, v6
	v_cmp_gt_i32_e32 vcc, s29, v6
	s_and_saveexec_b64 s[2:3], vcc
	s_cbranch_execz .LBB24_24
; %bb.9:
	v_and_b32_e32 v7, 31, v0
	v_subrev_u32_e32 v16, s21, v7
	s_mov_b64 s[4:5], 0
	s_movk_i32 s50, 0x89
	s_branch .LBB24_11
.LBB24_10:                              ;   in Loop: Header=BB24_11 Depth=1
	s_or_b64 exec, exec, s[30:31]
	v_add_u32_e32 v6, 8, v6
	v_cmp_le_i32_e32 vcc, s29, v6
	s_or_b64 s[4:5], vcc, s[4:5]
	s_andn2_b64 exec, exec, s[4:5]
	s_cbranch_execz .LBB24_24
.LBB24_11:                              ; =>This Loop Header: Depth=1
                                        ;     Child Loop BB24_15 Depth 2
                                        ;       Child Loop BB24_18 Depth 3
	v_ashrrev_i32_e32 v7, 31, v6
	v_lshl_add_u64 v[8:9], v[6:7], 2, s[6:7]
	global_load_dword v8, v[8:9], off
	s_waitcnt vmcnt(0)
	v_subrev_u32_e32 v8, s20, v8
	v_ashrrev_i32_e32 v9, 31, v8
	v_lshl_add_u64 v[8:9], v[8:9], 2, s[10:11]
	global_load_dwordx2 v[8:9], v[8:9], off
	s_waitcnt vmcnt(0)
	v_subrev_u32_e32 v17, s21, v9
	v_add_u32_e32 v8, v8, v16
	v_cmp_lt_i32_e32 vcc, v8, v17
	s_and_saveexec_b64 s[30:31], vcc
	s_cbranch_execz .LBB24_10
; %bb.12:                               ;   in Loop: Header=BB24_11 Depth=1
	v_lshl_add_u64 v[10:11], v[6:7], 3, s[8:9]
	global_load_dwordx2 v[10:11], v[10:11], off
	s_mov_b64 s[38:39], 0
	s_waitcnt vmcnt(0)
	v_mul_f64 v[10:11], v[4:5], v[10:11]
	s_branch .LBB24_15
.LBB24_13:                              ;   in Loop: Header=BB24_15 Depth=2
	s_or_b64 exec, exec, s[42:43]
.LBB24_14:                              ;   in Loop: Header=BB24_15 Depth=2
	s_or_b64 exec, exec, s[40:41]
	s_waitcnt vmcnt(0)
	v_mul_f64 v[12:13], v[10:11], v[12:13]
	v_lshl_add_u32 v7, v7, 3, 0
	ds_add_f64 v7, v[12:13] offset:2048
	v_add_u32_e32 v8, 32, v8
	v_cmp_ge_i32_e32 vcc, v8, v17
	s_or_b64 s[38:39], vcc, s[38:39]
	s_andn2_b64 exec, exec, s[38:39]
	s_cbranch_execz .LBB24_10
.LBB24_15:                              ;   Parent Loop BB24_11 Depth=1
                                        ; =>  This Loop Header: Depth=2
                                        ;       Child Loop BB24_18 Depth 3
	v_ashrrev_i32_e32 v9, 31, v8
	v_lshl_add_u64 v[12:13], v[8:9], 2, s[24:25]
	global_load_dword v7, v[12:13], off
	v_lshl_add_u64 v[12:13], v[8:9], 3, s[26:27]
	global_load_dwordx2 v[12:13], v[12:13], off
	s_waitcnt vmcnt(1)
	v_subrev_u32_e32 v9, s21, v7
	v_mul_lo_u32 v7, v9, s50
	v_and_b32_e32 v7, 0x1ff, v7
	v_lshl_add_u32 v18, v7, 2, 0
	ds_read_b32 v19, v18
	s_waitcnt lgkmcnt(0)
	v_cmp_ne_u32_e32 vcc, v19, v9
	s_and_saveexec_b64 s[40:41], vcc
	s_cbranch_execz .LBB24_14
; %bb.16:                               ;   in Loop: Header=BB24_15 Depth=2
	s_mov_b64 s[42:43], 0
	s_branch .LBB24_18
.LBB24_17:                              ;   in Loop: Header=BB24_18 Depth=3
	s_or_b64 exec, exec, s[48:49]
	s_and_b64 s[44:45], exec, s[46:47]
	s_or_b64 s[42:43], s[44:45], s[42:43]
	s_andn2_b64 exec, exec, s[42:43]
	s_cbranch_execz .LBB24_13
.LBB24_18:                              ;   Parent Loop BB24_11 Depth=1
                                        ;     Parent Loop BB24_15 Depth=2
                                        ; =>    This Inner Loop Header: Depth=3
	v_cmp_ne_u32_e32 vcc, s33, v19
	s_mov_b64 s[44:45], 0
	s_and_saveexec_b64 s[46:47], vcc
	s_xor_b64 s[46:47], exec, s[46:47]
	s_cbranch_execz .LBB24_20
; %bb.19:                               ;   in Loop: Header=BB24_18 Depth=3
	v_add_u32_e32 v7, 1, v7
	s_mov_b64 s[44:45], exec
	v_and_b32_e32 v7, 0x1ff, v7
                                        ; implicit-def: $vgpr18
	s_andn2_saveexec_b64 s[46:47], s[46:47]
	s_cbranch_execz .LBB24_22
	s_branch .LBB24_21
.LBB24_20:                              ;   in Loop: Header=BB24_18 Depth=3
	s_andn2_saveexec_b64 s[46:47], s[46:47]
	s_cbranch_execz .LBB24_22
.LBB24_21:                              ;   in Loop: Header=BB24_18 Depth=3
	v_mov_b32_e32 v19, s33
	ds_cmpst_rtn_b32 v18, v18, v19, v9
	s_andn2_b64 s[44:45], s[44:45], exec
	s_waitcnt lgkmcnt(0)
	v_cmp_ne_u32_e32 vcc, s33, v18
	s_and_b64 s[48:49], vcc, exec
	s_or_b64 s[44:45], s[44:45], s[48:49]
.LBB24_22:                              ;   in Loop: Header=BB24_18 Depth=3
	s_or_b64 exec, exec, s[46:47]
	s_mov_b64 s[46:47], -1
                                        ; implicit-def: $vgpr18
                                        ; implicit-def: $vgpr19
	s_and_saveexec_b64 s[48:49], s[44:45]
	s_cbranch_execz .LBB24_17
; %bb.23:                               ;   in Loop: Header=BB24_18 Depth=3
	v_lshl_add_u32 v18, v7, 2, 0
	ds_read_b32 v19, v18
	s_waitcnt lgkmcnt(0)
	v_cmp_eq_u32_e32 vcc, v19, v9
	s_orn2_b64 s[46:47], vcc, exec
	s_branch .LBB24_17
.LBB24_24:
	s_or_b64 exec, exec, s[2:3]
.LBB24_25:
	s_andn2_b64 vcc, exec, s[36:37]
	s_cbranch_vccnz .LBB24_40
; %bb.26:
	s_waitcnt lgkmcnt(0)
	s_ashr_i32 s29, s28, 31
	s_lshl_b64 s[2:3], s[28:29], 2
	s_add_u32 s2, s12, s2
	s_addc_u32 s3, s13, s3
	s_load_dwordx2 s[4:5], s[2:3], 0x0
	s_waitcnt vmcnt(0)
	v_subrev_u32_e32 v4, s23, v0
	s_waitcnt lgkmcnt(0)
	s_sub_i32 s24, s5, s23
	v_add_u32_e32 v4, s4, v4
	v_cmp_gt_i32_e32 vcc, s24, v4
	s_and_saveexec_b64 s[2:3], vcc
	s_cbranch_execz .LBB24_39
; %bb.27:
	s_mov_b64 s[4:5], 0
	s_movk_i32 s25, 0x89
	s_branch .LBB24_30
.LBB24_28:                              ;   in Loop: Header=BB24_30 Depth=1
	s_or_b64 exec, exec, s[8:9]
.LBB24_29:                              ;   in Loop: Header=BB24_30 Depth=1
	s_or_b64 exec, exec, s[6:7]
	s_waitcnt vmcnt(0)
	v_mul_f64 v[6:7], v[2:3], v[6:7]
	v_lshl_add_u32 v5, v5, 3, 0
	ds_add_f64 v5, v[6:7] offset:2048
	v_add_u32_e32 v4, 0x100, v4
	v_cmp_le_i32_e32 vcc, s24, v4
	s_or_b64 s[4:5], vcc, s[4:5]
	s_andn2_b64 exec, exec, s[4:5]
	s_cbranch_execz .LBB24_39
.LBB24_30:                              ; =>This Loop Header: Depth=1
                                        ;     Child Loop BB24_33 Depth 2
	v_ashrrev_i32_e32 v5, 31, v4
	v_lshl_add_u64 v[6:7], v[4:5], 2, s[14:15]
	global_load_dword v8, v[6:7], off
	v_lshl_add_u64 v[6:7], v[4:5], 3, s[16:17]
	global_load_dwordx2 v[6:7], v[6:7], off
	s_waitcnt vmcnt(1)
	v_subrev_u32_e32 v8, s23, v8
	v_mul_lo_u32 v5, v8, s25
	v_and_b32_e32 v5, 0x1ff, v5
	v_lshl_add_u32 v9, v5, 2, 0
	ds_read_b32 v10, v9
	s_waitcnt lgkmcnt(0)
	v_cmp_ne_u32_e32 vcc, v10, v8
	s_and_saveexec_b64 s[6:7], vcc
	s_cbranch_execz .LBB24_29
; %bb.31:                               ;   in Loop: Header=BB24_30 Depth=1
	s_mov_b64 s[8:9], 0
	s_branch .LBB24_33
.LBB24_32:                              ;   in Loop: Header=BB24_33 Depth=2
	s_or_b64 exec, exec, s[20:21]
	s_and_b64 s[10:11], exec, s[12:13]
	s_or_b64 s[8:9], s[10:11], s[8:9]
	s_andn2_b64 exec, exec, s[8:9]
	s_cbranch_execz .LBB24_28
.LBB24_33:                              ;   Parent Loop BB24_30 Depth=1
                                        ; =>  This Inner Loop Header: Depth=2
	v_cmp_ne_u32_e32 vcc, s33, v10
	s_mov_b64 s[10:11], 0
	s_and_saveexec_b64 s[12:13], vcc
	s_xor_b64 s[12:13], exec, s[12:13]
	s_cbranch_execz .LBB24_35
; %bb.34:                               ;   in Loop: Header=BB24_33 Depth=2
	v_add_u32_e32 v5, 1, v5
	s_mov_b64 s[10:11], exec
	v_and_b32_e32 v5, 0x1ff, v5
                                        ; implicit-def: $vgpr9
	s_andn2_saveexec_b64 s[12:13], s[12:13]
	s_cbranch_execz .LBB24_37
	s_branch .LBB24_36
.LBB24_35:                              ;   in Loop: Header=BB24_33 Depth=2
	s_andn2_saveexec_b64 s[12:13], s[12:13]
	s_cbranch_execz .LBB24_37
.LBB24_36:                              ;   in Loop: Header=BB24_33 Depth=2
	v_mov_b32_e32 v10, s33
	ds_cmpst_rtn_b32 v9, v9, v10, v8
	s_andn2_b64 s[10:11], s[10:11], exec
	s_waitcnt lgkmcnt(0)
	v_cmp_ne_u32_e32 vcc, s33, v9
	s_and_b64 s[20:21], vcc, exec
	s_or_b64 s[10:11], s[10:11], s[20:21]
.LBB24_37:                              ;   in Loop: Header=BB24_33 Depth=2
	s_or_b64 exec, exec, s[12:13]
	s_mov_b64 s[12:13], -1
                                        ; implicit-def: $vgpr9
                                        ; implicit-def: $vgpr10
	s_and_saveexec_b64 s[20:21], s[10:11]
	s_cbranch_execz .LBB24_32
; %bb.38:                               ;   in Loop: Header=BB24_33 Depth=2
	v_lshl_add_u32 v9, v5, 2, 0
	ds_read_b32 v10, v9
	s_waitcnt lgkmcnt(0)
	v_cmp_eq_u32_e32 vcc, v10, v8
	s_orn2_b64 s[12:13], vcc, exec
	s_branch .LBB24_32
.LBB24_39:
	s_or_b64 exec, exec, s[2:3]
.LBB24_40:
	s_waitcnt lgkmcnt(0)
	s_barrier
	s_and_saveexec_b64 s[16:17], s[0:1]
	s_cbranch_execz .LBB24_61
; %bb.41:
	s_waitcnt vmcnt(0)
	v_mbcnt_lo_u32_b32 v2, -1, 0
	v_mbcnt_hi_u32_b32 v2, -1, v2
	v_sub_u32_e32 v2, 63, v2
	s_movk_i32 s0, 0xff
	s_movk_i32 s6, 0x5f
	s_movk_i32 s8, 0x7f
	s_movk_i32 s10, 0x9f
	s_movk_i32 s12, 0xbf
	s_movk_i32 s14, 0xdf
	v_mov_b32_e32 v6, 0
	v_lshrrev_b64 v[2:3], v2, -1
	v_lshl_add_u32 v7, v15, 2, 0
	v_cmp_eq_u32_e64 s[0:1], s0, v0
	v_cmp_lt_u32_e64 s[2:3], 31, v0
	v_cmp_lt_u32_e64 s[4:5], 63, v0
	;; [unrolled: 1-line block ×7, first 2 shown]
	v_add_u32_e32 v8, 0x800, v14
	v_or_b32_e32 v9, 0xffffff00, v0
	s_mov_b64 s[20:21], 0
	v_mov_b32_e32 v10, 0
	s_branch .LBB24_43
.LBB24_42:                              ;   in Loop: Header=BB24_43 Depth=1
	s_or_b64 exec, exec, s[24:25]
	s_waitcnt lgkmcnt(0)
	s_barrier
	ds_read_b32 v4, v6 offset:6172
	v_add_co_u32_e32 v9, vcc, 0x100, v9
	s_xor_b64 s[24:25], vcc, -1
	s_and_b64 s[24:25], exec, s[24:25]
	v_add_u32_e32 v8, 0x800, v8
	s_waitcnt lgkmcnt(0)
	v_add_u32_e32 v10, v4, v10
	s_or_b64 s[20:21], s[24:25], s[20:21]
	v_add_u32_e32 v1, 0x400, v1
	s_andn2_b64 exec, exec, s[20:21]
	s_cbranch_execz .LBB24_61
.LBB24_43:                              ; =>This Inner Loop Header: Depth=1
	ds_read_b32 v11, v1
	ds_read_b64 v[4:5], v8
	s_waitcnt lgkmcnt(0)
	s_barrier
	v_cmp_gt_i32_e32 vcc, s33, v11
	s_bcnt1_i32_b64 s23, vcc
	s_nop 0
	v_and_b32_e32 v13, vcc_lo, v2
	v_and_b32_e32 v12, vcc_hi, v3
	v_bcnt_u32_b32 v13, v13, 0
	v_bcnt_u32_b32 v12, v12, v13
	v_mov_b32_e32 v13, s23
	ds_write_b32 v7, v13 offset:6144
	s_waitcnt lgkmcnt(0)
	s_barrier
	s_and_saveexec_b64 s[24:25], s[2:3]
	s_cbranch_execz .LBB24_52
; %bb.44:                               ;   in Loop: Header=BB24_43 Depth=1
	ds_read_b32 v13, v6 offset:6144
	s_waitcnt lgkmcnt(0)
	v_add_u32_e32 v12, v13, v12
	s_or_b64 exec, exec, s[24:25]
	s_and_saveexec_b64 s[24:25], s[4:5]
	s_cbranch_execnz .LBB24_53
.LBB24_45:                              ;   in Loop: Header=BB24_43 Depth=1
	s_or_b64 exec, exec, s[24:25]
	s_and_saveexec_b64 s[24:25], s[6:7]
	s_cbranch_execz .LBB24_54
.LBB24_46:                              ;   in Loop: Header=BB24_43 Depth=1
	ds_read_b32 v13, v6 offset:6152
	s_waitcnt lgkmcnt(0)
	v_add_u32_e32 v12, v13, v12
	s_or_b64 exec, exec, s[24:25]
	s_and_saveexec_b64 s[24:25], s[8:9]
	s_cbranch_execnz .LBB24_55
.LBB24_47:                              ;   in Loop: Header=BB24_43 Depth=1
	s_or_b64 exec, exec, s[24:25]
	s_and_saveexec_b64 s[24:25], s[10:11]
	s_cbranch_execz .LBB24_56
.LBB24_48:                              ;   in Loop: Header=BB24_43 Depth=1
	ds_read_b32 v13, v6 offset:6160
	s_waitcnt lgkmcnt(0)
	v_add_u32_e32 v12, v13, v12
	s_or_b64 exec, exec, s[24:25]
	s_and_saveexec_b64 s[24:25], s[12:13]
	s_cbranch_execnz .LBB24_57
.LBB24_49:                              ;   in Loop: Header=BB24_43 Depth=1
	s_or_b64 exec, exec, s[24:25]
	s_and_saveexec_b64 s[24:25], s[14:15]
	s_cbranch_execz .LBB24_58
.LBB24_50:                              ;   in Loop: Header=BB24_43 Depth=1
	ds_read_b32 v13, v6 offset:6168
	s_waitcnt lgkmcnt(0)
	v_add_u32_e32 v12, v13, v12
	s_or_b64 exec, exec, s[24:25]
	s_and_saveexec_b64 s[24:25], vcc
	s_cbranch_execnz .LBB24_59
.LBB24_51:                              ;   in Loop: Header=BB24_43 Depth=1
	s_or_b64 exec, exec, s[24:25]
	s_and_saveexec_b64 s[24:25], s[0:1]
	s_cbranch_execz .LBB24_42
	s_branch .LBB24_60
.LBB24_52:                              ;   in Loop: Header=BB24_43 Depth=1
	s_or_b64 exec, exec, s[24:25]
	s_and_saveexec_b64 s[24:25], s[4:5]
	s_cbranch_execz .LBB24_45
.LBB24_53:                              ;   in Loop: Header=BB24_43 Depth=1
	ds_read_b32 v13, v6 offset:6148
	s_waitcnt lgkmcnt(0)
	v_add_u32_e32 v12, v13, v12
	s_or_b64 exec, exec, s[24:25]
	s_and_saveexec_b64 s[24:25], s[6:7]
	s_cbranch_execnz .LBB24_46
.LBB24_54:                              ;   in Loop: Header=BB24_43 Depth=1
	s_or_b64 exec, exec, s[24:25]
	s_and_saveexec_b64 s[24:25], s[8:9]
	s_cbranch_execz .LBB24_47
.LBB24_55:                              ;   in Loop: Header=BB24_43 Depth=1
	ds_read_b32 v13, v6 offset:6156
	s_waitcnt lgkmcnt(0)
	v_add_u32_e32 v12, v13, v12
	s_or_b64 exec, exec, s[24:25]
	s_and_saveexec_b64 s[24:25], s[10:11]
	s_cbranch_execnz .LBB24_48
.LBB24_56:                              ;   in Loop: Header=BB24_43 Depth=1
	s_or_b64 exec, exec, s[24:25]
	s_and_saveexec_b64 s[24:25], s[12:13]
	s_cbranch_execz .LBB24_49
.LBB24_57:                              ;   in Loop: Header=BB24_43 Depth=1
	ds_read_b32 v13, v6 offset:6164
	s_waitcnt lgkmcnt(0)
	v_add_u32_e32 v12, v13, v12
	s_or_b64 exec, exec, s[24:25]
	s_and_saveexec_b64 s[24:25], s[14:15]
	s_cbranch_execnz .LBB24_50
.LBB24_58:                              ;   in Loop: Header=BB24_43 Depth=1
	s_or_b64 exec, exec, s[24:25]
	s_and_saveexec_b64 s[24:25], vcc
	s_cbranch_execz .LBB24_51
.LBB24_59:                              ;   in Loop: Header=BB24_43 Depth=1
	v_add3_u32 v13, v10, -1, v12
	v_lshl_add_u32 v13, v13, 2, 0
	v_add_u32_e32 v14, v10, v12
	v_lshl_add_u32 v14, v14, 3, 0
	ds_write_b32 v13, v11
	ds_write_b64 v14, v[4:5] offset:2040
	s_or_b64 exec, exec, s[24:25]
	s_and_saveexec_b64 s[24:25], s[0:1]
	s_cbranch_execz .LBB24_42
.LBB24_60:                              ;   in Loop: Header=BB24_43 Depth=1
	ds_write_b32 v6, v12 offset:6172
	s_branch .LBB24_42
.LBB24_61:
	s_or_b64 exec, exec, s[16:17]
	s_ashr_i32 s29, s28, 31
	s_lshl_b64 s[0:1], s[28:29], 2
	s_add_u32 s2, s18, s0
	s_addc_u32 s3, s19, s1
	s_load_dwordx2 s[0:1], s[2:3], 0x0
	s_waitcnt lgkmcnt(0)
	s_sub_i32 s14, s1, s0
	v_cmp_gt_i32_e32 vcc, s14, v0
	s_and_saveexec_b64 s[2:3], vcc
	s_cbranch_execz .LBB24_75
; %bb.62:
	s_sub_i32 s8, s0, s22
	v_sub_co_u32_e64 v1, s[0:1], s14, 2
	s_nop 0
	v_readfirstlane_b32 s2, v1
	s_lshr_b32 s2, s2, 1
	s_add_i32 s2, s2, 1
	s_xor_b64 s[0:1], s[0:1], -1
	s_and_b32 s15, s14, -2
	s_and_b32 s3, s2, 7
	s_and_b32 s16, s2, -8
	s_cmp_lg_u32 s3, 0
	v_cmp_lt_u32_e32 vcc, 13, v1
	s_cselect_b64 s[4:5], -1, 0
	s_cmp_lg_u32 s14, s15
	v_cndmask_b32_e64 v1, 0, 1, vcc
	s_cselect_b64 s[10:11], -1, 0
	s_lshl_b32 s17, s3, 3
	s_waitcnt vmcnt(0)
	v_cndmask_b32_e64 v2, 0, 1, s[0:1]
	v_cmp_ne_u32_e64 s[2:3], 1, v1
	v_cndmask_b32_e64 v1, 0, 1, s[4:5]
	s_mov_b32 s9, 0
	s_mov_b64 s[12:13], 0
	v_cmp_ne_u32_e64 s[0:1], 1, v2
	v_cmp_ne_u32_e64 s[4:5], 1, v1
	s_branch .LBB24_64
.LBB24_63:                              ;   in Loop: Header=BB24_64 Depth=1
	v_add_u32_e32 v0, 0x100, v0
	v_ashrrev_i32_e32 v5, 31, v4
	v_cmp_le_i32_e32 vcc, s14, v0
	v_lshl_add_u64 v[4:5], v[4:5], 3, s[34:35]
	s_or_b64 s[12:13], vcc, s[12:13]
	s_waitcnt lgkmcnt(0)
	global_store_dwordx2 v[4:5], v[2:3], off
	s_andn2_b64 exec, exec, s[12:13]
	s_cbranch_execz .LBB24_75
.LBB24_64:                              ; =>This Loop Header: Depth=1
                                        ;     Child Loop BB24_67 Depth 2
                                        ;     Child Loop BB24_70 Depth 2
	;; [unrolled: 1-line block ×3, first 2 shown]
	v_lshlrev_b32_e32 v1, 2, v0
	v_add_u32_e32 v2, 0, v1
	v_add_u32_e32 v3, v2, v1
	ds_read_b32 v1, v2
	ds_read_b64 v[2:3], v3 offset:2048
	s_and_b64 vcc, exec, s[0:1]
	v_mov_b32_e32 v4, s8
	s_mov_b32 s18, 0
	s_mov_b64 s[6:7], -1
	s_cbranch_vccnz .LBB24_72
; %bb.65:                               ;   in Loop: Header=BB24_64 Depth=1
	s_and_b64 vcc, exec, s[2:3]
	v_mov_b64_e32 v[4:5], s[8:9]
	s_cbranch_vccnz .LBB24_68
; %bb.66:                               ;   in Loop: Header=BB24_64 Depth=1
	s_mov_b32 s19, 0
	v_mov_b32_e32 v4, s8
	v_mov_b32_e32 v5, 0
	s_mov_b32 s20, s16
.LBB24_67:                              ;   Parent Loop BB24_64 Depth=1
                                        ; =>  This Inner Loop Header: Depth=2
	v_mov_b32_e32 v20, s19
	ds_read2_b32 v[6:7], v20 offset1:1
	ds_read2_b32 v[8:9], v20 offset0:2 offset1:3
	ds_read2_b32 v[10:11], v20 offset0:4 offset1:5
	;; [unrolled: 1-line block ×7, first 2 shown]
	s_waitcnt lgkmcnt(7)
	v_cmp_gt_i32_e32 vcc, v1, v7
	s_waitcnt lgkmcnt(5)
	v_cmp_gt_i32_e64 s[6:7], v1, v10
	s_add_i32 s18, s18, 16
	v_cndmask_b32_e64 v7, 0, 1, vcc
	v_cmp_gt_i32_e32 vcc, v1, v6
	s_add_i32 s19, s19, 64
	s_add_i32 s20, s20, -8
	v_cndmask_b32_e64 v6, 0, 1, vcc
	v_cmp_gt_i32_e32 vcc, v1, v9
	v_cndmask_b32_e64 v9, 0, 1, s[6:7]
	v_cmp_gt_i32_e64 s[6:7], v1, v11
	v_addc_co_u32_e32 v5, vcc, v5, v7, vcc
	s_nop 0
	v_cndmask_b32_e64 v10, 0, 1, s[6:7]
	s_waitcnt lgkmcnt(3)
	v_cmp_gt_i32_e64 s[6:7], v1, v15
	v_cmp_gt_i32_e32 vcc, v1, v12
	s_cmp_lg_u32 s20, 0
	v_cndmask_b32_e64 v11, 0, 1, s[6:7]
	v_cmp_gt_i32_e64 s[6:7], v1, v14
	s_nop 1
	v_cndmask_b32_e64 v14, 0, 1, s[6:7]
	s_waitcnt lgkmcnt(1)
	v_cmp_gt_i32_e64 s[6:7], v1, v18
	s_nop 1
	v_cndmask_b32_e64 v15, 0, 1, s[6:7]
	v_cmp_gt_i32_e64 s[6:7], v1, v19
	s_nop 1
	v_cndmask_b32_e64 v18, 0, 1, s[6:7]
	v_cmp_gt_i32_e64 s[6:7], v1, v8
	s_nop 1
	v_addc_co_u32_e64 v4, s[6:7], v4, v6, s[6:7]
	v_cmp_gt_i32_e64 s[6:7], v1, v13
	v_addc_co_u32_e32 v4, vcc, v4, v9, vcc
	s_nop 0
	v_addc_co_u32_e64 v5, s[6:7], v5, v10, s[6:7]
	v_cmp_gt_i32_e32 vcc, v1, v17
	v_cmp_gt_i32_e64 s[6:7], v1, v16
	s_nop 0
	v_addc_co_u32_e32 v5, vcc, v5, v11, vcc
	v_addc_co_u32_e64 v4, s[6:7], v4, v14, s[6:7]
	s_waitcnt lgkmcnt(0)
	v_cmp_gt_i32_e32 vcc, v1, v20
	v_cmp_gt_i32_e64 s[6:7], v1, v21
	s_nop 0
	v_addc_co_u32_e32 v4, vcc, v4, v15, vcc
	v_addc_co_u32_e64 v5, s[6:7], v5, v18, s[6:7]
	s_cbranch_scc1 .LBB24_67
.LBB24_68:                              ;   in Loop: Header=BB24_64 Depth=1
	s_and_b64 vcc, exec, s[4:5]
	s_cbranch_vccnz .LBB24_71
; %bb.69:                               ;   in Loop: Header=BB24_64 Depth=1
	s_lshl_b32 s6, s18, 2
	s_add_i32 s6, s6, 0
	s_mov_b32 s7, s17
.LBB24_70:                              ;   Parent Loop BB24_64 Depth=1
                                        ; =>  This Inner Loop Header: Depth=2
	v_mov_b32_e32 v6, s6
	ds_read2_b32 v[6:7], v6 offset1:1
	s_add_i32 s6, s6, 8
	s_add_i32 s7, s7, -8
	s_cmp_lg_u32 s7, 0
	s_waitcnt lgkmcnt(0)
	v_cmp_gt_i32_e32 vcc, v1, v7
	s_nop 1
	v_addc_co_u32_e32 v5, vcc, 0, v5, vcc
	v_cmp_gt_i32_e32 vcc, v1, v6
	s_nop 1
	v_addc_co_u32_e32 v4, vcc, 0, v4, vcc
	s_cbranch_scc1 .LBB24_70
.LBB24_71:                              ;   in Loop: Header=BB24_64 Depth=1
	v_add_u32_e32 v4, v4, v5
	s_mov_b32 s18, s15
	s_mov_b64 s[6:7], s[10:11]
.LBB24_72:                              ;   in Loop: Header=BB24_64 Depth=1
	s_and_b64 vcc, exec, s[6:7]
	s_cbranch_vccz .LBB24_63
; %bb.73:                               ;   in Loop: Header=BB24_64 Depth=1
	s_lshl_b32 s6, s18, 2
	s_add_i32 s6, s6, 0
.LBB24_74:                              ;   Parent Loop BB24_64 Depth=1
                                        ; =>  This Inner Loop Header: Depth=2
	v_mov_b32_e32 v5, s6
	ds_read_b32 v5, v5
	s_add_i32 s18, s18, 1
	s_add_i32 s6, s6, 4
	s_cmp_ge_i32 s18, s14
	s_waitcnt lgkmcnt(0)
	v_cmp_gt_i32_e32 vcc, v1, v5
	s_nop 1
	v_addc_co_u32_e32 v4, vcc, 0, v4, vcc
	s_cbranch_scc0 .LBB24_74
	s_branch .LBB24_63
.LBB24_75:
	s_endpgm
	.section	.rodata,"a",@progbits
	.p2align	6, 0x0
	.amdhsa_kernel _ZN9rocsparseL41csrgemm_numeric_fill_block_per_row_kernelILj256ELj32ELj512ELj137ELj32EiidEEvT5_PKS1_S3_NS_24const_host_device_scalarIT6_EEPKT4_S3_PKS5_S9_S3_SB_S6_S9_S3_SB_S9_S3_PS5_21rocsparse_index_base_SD_SD_SD_bbb
		.amdhsa_group_segment_fixed_size 0
		.amdhsa_private_segment_fixed_size 0
		.amdhsa_kernarg_size 156
		.amdhsa_user_sgpr_count 2
		.amdhsa_user_sgpr_dispatch_ptr 0
		.amdhsa_user_sgpr_queue_ptr 0
		.amdhsa_user_sgpr_kernarg_segment_ptr 1
		.amdhsa_user_sgpr_dispatch_id 0
		.amdhsa_user_sgpr_kernarg_preload_length 0
		.amdhsa_user_sgpr_kernarg_preload_offset 0
		.amdhsa_user_sgpr_private_segment_size 0
		.amdhsa_uses_dynamic_stack 0
		.amdhsa_enable_private_segment 0
		.amdhsa_system_sgpr_workgroup_id_x 1
		.amdhsa_system_sgpr_workgroup_id_y 0
		.amdhsa_system_sgpr_workgroup_id_z 0
		.amdhsa_system_sgpr_workgroup_info 0
		.amdhsa_system_vgpr_workitem_id 0
		.amdhsa_next_free_vgpr 22
		.amdhsa_next_free_sgpr 51
		.amdhsa_accum_offset 24
		.amdhsa_reserve_vcc 1
		.amdhsa_float_round_mode_32 0
		.amdhsa_float_round_mode_16_64 0
		.amdhsa_float_denorm_mode_32 3
		.amdhsa_float_denorm_mode_16_64 3
		.amdhsa_dx10_clamp 1
		.amdhsa_ieee_mode 1
		.amdhsa_fp16_overflow 0
		.amdhsa_tg_split 0
		.amdhsa_exception_fp_ieee_invalid_op 0
		.amdhsa_exception_fp_denorm_src 0
		.amdhsa_exception_fp_ieee_div_zero 0
		.amdhsa_exception_fp_ieee_overflow 0
		.amdhsa_exception_fp_ieee_underflow 0
		.amdhsa_exception_fp_ieee_inexact 0
		.amdhsa_exception_int_div_zero 0
	.end_amdhsa_kernel
	.section	.text._ZN9rocsparseL41csrgemm_numeric_fill_block_per_row_kernelILj256ELj32ELj512ELj137ELj32EiidEEvT5_PKS1_S3_NS_24const_host_device_scalarIT6_EEPKT4_S3_PKS5_S9_S3_SB_S6_S9_S3_SB_S9_S3_PS5_21rocsparse_index_base_SD_SD_SD_bbb,"axG",@progbits,_ZN9rocsparseL41csrgemm_numeric_fill_block_per_row_kernelILj256ELj32ELj512ELj137ELj32EiidEEvT5_PKS1_S3_NS_24const_host_device_scalarIT6_EEPKT4_S3_PKS5_S9_S3_SB_S6_S9_S3_SB_S9_S3_PS5_21rocsparse_index_base_SD_SD_SD_bbb,comdat
.Lfunc_end24:
	.size	_ZN9rocsparseL41csrgemm_numeric_fill_block_per_row_kernelILj256ELj32ELj512ELj137ELj32EiidEEvT5_PKS1_S3_NS_24const_host_device_scalarIT6_EEPKT4_S3_PKS5_S9_S3_SB_S6_S9_S3_SB_S9_S3_PS5_21rocsparse_index_base_SD_SD_SD_bbb, .Lfunc_end24-_ZN9rocsparseL41csrgemm_numeric_fill_block_per_row_kernelILj256ELj32ELj512ELj137ELj32EiidEEvT5_PKS1_S3_NS_24const_host_device_scalarIT6_EEPKT4_S3_PKS5_S9_S3_SB_S6_S9_S3_SB_S9_S3_PS5_21rocsparse_index_base_SD_SD_SD_bbb
                                        ; -- End function
	.set _ZN9rocsparseL41csrgemm_numeric_fill_block_per_row_kernelILj256ELj32ELj512ELj137ELj32EiidEEvT5_PKS1_S3_NS_24const_host_device_scalarIT6_EEPKT4_S3_PKS5_S9_S3_SB_S6_S9_S3_SB_S9_S3_PS5_21rocsparse_index_base_SD_SD_SD_bbb.num_vgpr, 22
	.set _ZN9rocsparseL41csrgemm_numeric_fill_block_per_row_kernelILj256ELj32ELj512ELj137ELj32EiidEEvT5_PKS1_S3_NS_24const_host_device_scalarIT6_EEPKT4_S3_PKS5_S9_S3_SB_S6_S9_S3_SB_S9_S3_PS5_21rocsparse_index_base_SD_SD_SD_bbb.num_agpr, 0
	.set _ZN9rocsparseL41csrgemm_numeric_fill_block_per_row_kernelILj256ELj32ELj512ELj137ELj32EiidEEvT5_PKS1_S3_NS_24const_host_device_scalarIT6_EEPKT4_S3_PKS5_S9_S3_SB_S6_S9_S3_SB_S9_S3_PS5_21rocsparse_index_base_SD_SD_SD_bbb.numbered_sgpr, 51
	.set _ZN9rocsparseL41csrgemm_numeric_fill_block_per_row_kernelILj256ELj32ELj512ELj137ELj32EiidEEvT5_PKS1_S3_NS_24const_host_device_scalarIT6_EEPKT4_S3_PKS5_S9_S3_SB_S6_S9_S3_SB_S9_S3_PS5_21rocsparse_index_base_SD_SD_SD_bbb.num_named_barrier, 0
	.set _ZN9rocsparseL41csrgemm_numeric_fill_block_per_row_kernelILj256ELj32ELj512ELj137ELj32EiidEEvT5_PKS1_S3_NS_24const_host_device_scalarIT6_EEPKT4_S3_PKS5_S9_S3_SB_S6_S9_S3_SB_S9_S3_PS5_21rocsparse_index_base_SD_SD_SD_bbb.private_seg_size, 0
	.set _ZN9rocsparseL41csrgemm_numeric_fill_block_per_row_kernelILj256ELj32ELj512ELj137ELj32EiidEEvT5_PKS1_S3_NS_24const_host_device_scalarIT6_EEPKT4_S3_PKS5_S9_S3_SB_S6_S9_S3_SB_S9_S3_PS5_21rocsparse_index_base_SD_SD_SD_bbb.uses_vcc, 1
	.set _ZN9rocsparseL41csrgemm_numeric_fill_block_per_row_kernelILj256ELj32ELj512ELj137ELj32EiidEEvT5_PKS1_S3_NS_24const_host_device_scalarIT6_EEPKT4_S3_PKS5_S9_S3_SB_S6_S9_S3_SB_S9_S3_PS5_21rocsparse_index_base_SD_SD_SD_bbb.uses_flat_scratch, 0
	.set _ZN9rocsparseL41csrgemm_numeric_fill_block_per_row_kernelILj256ELj32ELj512ELj137ELj32EiidEEvT5_PKS1_S3_NS_24const_host_device_scalarIT6_EEPKT4_S3_PKS5_S9_S3_SB_S6_S9_S3_SB_S9_S3_PS5_21rocsparse_index_base_SD_SD_SD_bbb.has_dyn_sized_stack, 0
	.set _ZN9rocsparseL41csrgemm_numeric_fill_block_per_row_kernelILj256ELj32ELj512ELj137ELj32EiidEEvT5_PKS1_S3_NS_24const_host_device_scalarIT6_EEPKT4_S3_PKS5_S9_S3_SB_S6_S9_S3_SB_S9_S3_PS5_21rocsparse_index_base_SD_SD_SD_bbb.has_recursion, 0
	.set _ZN9rocsparseL41csrgemm_numeric_fill_block_per_row_kernelILj256ELj32ELj512ELj137ELj32EiidEEvT5_PKS1_S3_NS_24const_host_device_scalarIT6_EEPKT4_S3_PKS5_S9_S3_SB_S6_S9_S3_SB_S9_S3_PS5_21rocsparse_index_base_SD_SD_SD_bbb.has_indirect_call, 0
	.section	.AMDGPU.csdata,"",@progbits
; Kernel info:
; codeLenInByte = 2840
; TotalNumSgprs: 57
; NumVgprs: 22
; NumAgprs: 0
; TotalNumVgprs: 22
; ScratchSize: 0
; MemoryBound: 0
; FloatMode: 240
; IeeeMode: 1
; LDSByteSize: 0 bytes/workgroup (compile time only)
; SGPRBlocks: 7
; VGPRBlocks: 2
; NumSGPRsForWavesPerEU: 57
; NumVGPRsForWavesPerEU: 22
; AccumOffset: 24
; Occupancy: 8
; WaveLimiterHint : 1
; COMPUTE_PGM_RSRC2:SCRATCH_EN: 0
; COMPUTE_PGM_RSRC2:USER_SGPR: 2
; COMPUTE_PGM_RSRC2:TRAP_HANDLER: 0
; COMPUTE_PGM_RSRC2:TGID_X_EN: 1
; COMPUTE_PGM_RSRC2:TGID_Y_EN: 0
; COMPUTE_PGM_RSRC2:TGID_Z_EN: 0
; COMPUTE_PGM_RSRC2:TIDIG_COMP_CNT: 0
; COMPUTE_PGM_RSRC3_GFX90A:ACCUM_OFFSET: 5
; COMPUTE_PGM_RSRC3_GFX90A:TG_SPLIT: 0
	.section	.text._ZN9rocsparseL41csrgemm_numeric_fill_block_per_row_kernelILj256ELj32ELj512ELj137ELj64EiidEEvT5_PKS1_S3_NS_24const_host_device_scalarIT6_EEPKT4_S3_PKS5_S9_S3_SB_S6_S9_S3_SB_S9_S3_PS5_21rocsparse_index_base_SD_SD_SD_bbb,"axG",@progbits,_ZN9rocsparseL41csrgemm_numeric_fill_block_per_row_kernelILj256ELj32ELj512ELj137ELj64EiidEEvT5_PKS1_S3_NS_24const_host_device_scalarIT6_EEPKT4_S3_PKS5_S9_S3_SB_S6_S9_S3_SB_S9_S3_PS5_21rocsparse_index_base_SD_SD_SD_bbb,comdat
	.globl	_ZN9rocsparseL41csrgemm_numeric_fill_block_per_row_kernelILj256ELj32ELj512ELj137ELj64EiidEEvT5_PKS1_S3_NS_24const_host_device_scalarIT6_EEPKT4_S3_PKS5_S9_S3_SB_S6_S9_S3_SB_S9_S3_PS5_21rocsparse_index_base_SD_SD_SD_bbb ; -- Begin function _ZN9rocsparseL41csrgemm_numeric_fill_block_per_row_kernelILj256ELj32ELj512ELj137ELj64EiidEEvT5_PKS1_S3_NS_24const_host_device_scalarIT6_EEPKT4_S3_PKS5_S9_S3_SB_S6_S9_S3_SB_S9_S3_PS5_21rocsparse_index_base_SD_SD_SD_bbb
	.p2align	8
	.type	_ZN9rocsparseL41csrgemm_numeric_fill_block_per_row_kernelILj256ELj32ELj512ELj137ELj64EiidEEvT5_PKS1_S3_NS_24const_host_device_scalarIT6_EEPKT4_S3_PKS5_S9_S3_SB_S6_S9_S3_SB_S9_S3_PS5_21rocsparse_index_base_SD_SD_SD_bbb,@function
_ZN9rocsparseL41csrgemm_numeric_fill_block_per_row_kernelILj256ELj32ELj512ELj137ELj64EiidEEvT5_PKS1_S3_NS_24const_host_device_scalarIT6_EEPKT4_S3_PKS5_S9_S3_SB_S6_S9_S3_SB_S9_S3_PS5_21rocsparse_index_base_SD_SD_SD_bbb: ; @_ZN9rocsparseL41csrgemm_numeric_fill_block_per_row_kernelILj256ELj32ELj512ELj137ELj64EiidEEvT5_PKS1_S3_NS_24const_host_device_scalarIT6_EEPKT4_S3_PKS5_S9_S3_SB_S6_S9_S3_SB_S9_S3_PS5_21rocsparse_index_base_SD_SD_SD_bbb
; %bb.0:
	s_load_dword s3, s[0:1], 0x98
	s_load_dwordx2 s[6:7], s[0:1], 0x18
	s_load_dwordx2 s[4:5], s[0:1], 0x50
	s_waitcnt lgkmcnt(0)
	s_bitcmp1_b32 s3, 0
	s_cselect_b64 s[38:39], -1, 0
	s_bitcmp1_b32 s3, 16
	s_cselect_b64 s[8:9], -1, 0
	s_xor_b64 s[10:11], s[38:39], -1
	s_or_b64 s[10:11], s[8:9], s[10:11]
	s_and_b64 s[12:13], s[38:39], exec
	s_cselect_b32 s13, s7, 0
	s_cselect_b32 s12, s6, 0
	s_and_b64 vcc, exec, s[10:11]
	v_mov_b64_e32 v[4:5], s[12:13]
	s_cbranch_vccnz .LBB25_2
; %bb.1:
	v_mov_b64_e32 v[2:3], s[6:7]
	flat_load_dwordx2 v[4:5], v[2:3]
.LBB25_2:
	s_bitcmp1_b32 s3, 8
	s_cselect_b64 s[36:37], -1, 0
	s_load_dwordx4 s[20:23], s[0:1], 0x88
	s_xor_b64 s[6:7], s[36:37], -1
	s_or_b64 s[6:7], s[8:9], s[6:7]
	s_and_b64 s[8:9], s[36:37], exec
	s_cselect_b32 s9, s5, 0
	s_cselect_b32 s8, s4, 0
	s_and_b64 vcc, exec, s[6:7]
	v_mov_b64_e32 v[2:3], s[8:9]
	s_cbranch_vccnz .LBB25_4
; %bb.3:
	v_mov_b64_e32 v[2:3], s[4:5]
	flat_load_dwordx2 v[2:3], v[2:3]
.LBB25_4:
	s_load_dwordx2 s[34:35], s[0:1], 0x80
	s_load_dwordx8 s[4:11], s[0:1], 0x58
	s_load_dwordx4 s[24:27], s[0:1], 0x40
	s_load_dwordx8 s[12:19], s[0:1], 0x20
	s_load_dwordx4 s[28:31], s[0:1], 0x8
	s_load_dword s33, s[0:1], 0x0
	s_movk_i32 s0, 0x200
	v_cmp_gt_u32_e64 s[0:1], s0, v0
	v_lshl_add_u32 v14, v0, 3, 0
	v_lshl_add_u32 v1, v0, 2, 0
	s_and_saveexec_b64 s[40:41], s[0:1]
	s_cbranch_execz .LBB25_7
; %bb.5:
	v_mov_b32_e32 v10, 0
	v_add_u32_e32 v6, 0x800, v14
	v_or_b32_e32 v7, 0xffffff00, v0
	v_lshl_add_u32 v8, v0, 2, 0
	s_mov_b64 s[42:43], 0
	s_waitcnt lgkmcnt(0)
	v_mov_b32_e32 v9, s33
	v_mov_b32_e32 v11, v10
.LBB25_6:                               ; =>This Inner Loop Header: Depth=1
	v_add_co_u32_e32 v7, vcc, 0x100, v7
	s_xor_b64 s[44:45], vcc, -1
	s_and_b64 s[44:45], exec, s[44:45]
	ds_write_b32 v8, v9
	ds_write_b64 v6, v[10:11]
	v_add_u32_e32 v6, 0x800, v6
	s_or_b64 s[42:43], s[44:45], s[42:43]
	v_add_u32_e32 v8, 0x400, v8
	s_andn2_b64 exec, exec, s[42:43]
	s_cbranch_execnz .LBB25_6
.LBB25_7:
	s_or_b64 exec, exec, s[40:41]
	s_waitcnt lgkmcnt(0)
	s_barrier
	s_load_dword s3, s[28:29], 0x0
	s_waitcnt lgkmcnt(0)
	s_add_i32 s2, s3, s2
	s_mov_b32 s3, 0
	s_lshl_b64 s[2:3], s[2:3], 2
	s_add_u32 s2, s30, s2
	s_addc_u32 s3, s31, s3
	s_load_dword s28, s[2:3], 0x0
	s_and_b64 vcc, exec, s[38:39]
	s_cbranch_vccz .LBB25_25
; %bb.8:
	s_waitcnt lgkmcnt(0)
	s_ashr_i32 s29, s28, 31
	s_lshl_b64 s[2:3], s[28:29], 2
	s_add_u32 s2, s12, s2
	s_addc_u32 s3, s13, s3
	s_load_dwordx2 s[12:13], s[2:3], 0x0
	v_lshrrev_b32_e32 v6, 5, v0
	v_subrev_u32_e32 v6, s20, v6
	s_waitcnt lgkmcnt(0)
	s_sub_i32 s29, s13, s20
	v_add_u32_e32 v6, s12, v6
	v_cmp_gt_i32_e32 vcc, s29, v6
	s_and_saveexec_b64 s[2:3], vcc
	s_cbranch_execz .LBB25_24
; %bb.9:
	v_and_b32_e32 v7, 31, v0
	v_subrev_u32_e32 v15, s21, v7
	s_mov_b64 s[12:13], 0
	s_movk_i32 s50, 0x89
	s_branch .LBB25_11
.LBB25_10:                              ;   in Loop: Header=BB25_11 Depth=1
	s_or_b64 exec, exec, s[30:31]
	v_add_u32_e32 v6, 8, v6
	v_cmp_le_i32_e32 vcc, s29, v6
	s_or_b64 s[12:13], vcc, s[12:13]
	s_andn2_b64 exec, exec, s[12:13]
	s_cbranch_execz .LBB25_24
.LBB25_11:                              ; =>This Loop Header: Depth=1
                                        ;     Child Loop BB25_15 Depth 2
                                        ;       Child Loop BB25_18 Depth 3
	v_ashrrev_i32_e32 v7, 31, v6
	v_lshl_add_u64 v[8:9], v[6:7], 2, s[14:15]
	global_load_dword v8, v[8:9], off
	s_waitcnt vmcnt(0)
	v_subrev_u32_e32 v8, s20, v8
	v_ashrrev_i32_e32 v9, 31, v8
	v_lshl_add_u64 v[8:9], v[8:9], 2, s[18:19]
	global_load_dwordx2 v[8:9], v[8:9], off
	s_waitcnt vmcnt(0)
	v_subrev_u32_e32 v16, s21, v9
	v_add_u32_e32 v8, v8, v15
	v_cmp_lt_i32_e32 vcc, v8, v16
	s_and_saveexec_b64 s[30:31], vcc
	s_cbranch_execz .LBB25_10
; %bb.12:                               ;   in Loop: Header=BB25_11 Depth=1
	v_lshl_add_u64 v[10:11], v[6:7], 3, s[16:17]
	global_load_dwordx2 v[10:11], v[10:11], off
	s_mov_b64 s[38:39], 0
	s_waitcnt vmcnt(0)
	v_mul_f64 v[10:11], v[4:5], v[10:11]
	s_branch .LBB25_15
.LBB25_13:                              ;   in Loop: Header=BB25_15 Depth=2
	s_or_b64 exec, exec, s[42:43]
.LBB25_14:                              ;   in Loop: Header=BB25_15 Depth=2
	s_or_b64 exec, exec, s[40:41]
	s_waitcnt vmcnt(0)
	v_mul_f64 v[12:13], v[10:11], v[12:13]
	v_lshl_add_u32 v7, v7, 3, 0
	ds_add_f64 v7, v[12:13] offset:2048
	v_add_u32_e32 v8, 32, v8
	v_cmp_ge_i32_e32 vcc, v8, v16
	s_or_b64 s[38:39], vcc, s[38:39]
	s_andn2_b64 exec, exec, s[38:39]
	s_cbranch_execz .LBB25_10
.LBB25_15:                              ;   Parent Loop BB25_11 Depth=1
                                        ; =>  This Loop Header: Depth=2
                                        ;       Child Loop BB25_18 Depth 3
	v_ashrrev_i32_e32 v9, 31, v8
	v_lshl_add_u64 v[12:13], v[8:9], 2, s[24:25]
	global_load_dword v7, v[12:13], off
	v_lshl_add_u64 v[12:13], v[8:9], 3, s[26:27]
	global_load_dwordx2 v[12:13], v[12:13], off
	s_waitcnt vmcnt(1)
	v_subrev_u32_e32 v9, s21, v7
	v_mul_lo_u32 v7, v9, s50
	v_and_b32_e32 v7, 0x1ff, v7
	v_lshl_add_u32 v17, v7, 2, 0
	ds_read_b32 v18, v17
	s_waitcnt lgkmcnt(0)
	v_cmp_ne_u32_e32 vcc, v18, v9
	s_and_saveexec_b64 s[40:41], vcc
	s_cbranch_execz .LBB25_14
; %bb.16:                               ;   in Loop: Header=BB25_15 Depth=2
	s_mov_b64 s[42:43], 0
	s_branch .LBB25_18
.LBB25_17:                              ;   in Loop: Header=BB25_18 Depth=3
	s_or_b64 exec, exec, s[48:49]
	s_and_b64 s[44:45], exec, s[46:47]
	s_or_b64 s[42:43], s[44:45], s[42:43]
	s_andn2_b64 exec, exec, s[42:43]
	s_cbranch_execz .LBB25_13
.LBB25_18:                              ;   Parent Loop BB25_11 Depth=1
                                        ;     Parent Loop BB25_15 Depth=2
                                        ; =>    This Inner Loop Header: Depth=3
	v_cmp_ne_u32_e32 vcc, s33, v18
	s_mov_b64 s[44:45], 0
	s_and_saveexec_b64 s[46:47], vcc
	s_xor_b64 s[46:47], exec, s[46:47]
	s_cbranch_execz .LBB25_20
; %bb.19:                               ;   in Loop: Header=BB25_18 Depth=3
	v_add_u32_e32 v7, 1, v7
	s_mov_b64 s[44:45], exec
	v_and_b32_e32 v7, 0x1ff, v7
                                        ; implicit-def: $vgpr17
	s_andn2_saveexec_b64 s[46:47], s[46:47]
	s_cbranch_execz .LBB25_22
	s_branch .LBB25_21
.LBB25_20:                              ;   in Loop: Header=BB25_18 Depth=3
	s_andn2_saveexec_b64 s[46:47], s[46:47]
	s_cbranch_execz .LBB25_22
.LBB25_21:                              ;   in Loop: Header=BB25_18 Depth=3
	v_mov_b32_e32 v18, s33
	ds_cmpst_rtn_b32 v17, v17, v18, v9
	s_andn2_b64 s[44:45], s[44:45], exec
	s_waitcnt lgkmcnt(0)
	v_cmp_ne_u32_e32 vcc, s33, v17
	s_and_b64 s[48:49], vcc, exec
	s_or_b64 s[44:45], s[44:45], s[48:49]
.LBB25_22:                              ;   in Loop: Header=BB25_18 Depth=3
	s_or_b64 exec, exec, s[46:47]
	s_mov_b64 s[46:47], -1
                                        ; implicit-def: $vgpr17
                                        ; implicit-def: $vgpr18
	s_and_saveexec_b64 s[48:49], s[44:45]
	s_cbranch_execz .LBB25_17
; %bb.23:                               ;   in Loop: Header=BB25_18 Depth=3
	v_lshl_add_u32 v17, v7, 2, 0
	ds_read_b32 v18, v17
	s_waitcnt lgkmcnt(0)
	v_cmp_eq_u32_e32 vcc, v18, v9
	s_orn2_b64 s[46:47], vcc, exec
	s_branch .LBB25_17
.LBB25_24:
	s_or_b64 exec, exec, s[2:3]
.LBB25_25:
	s_andn2_b64 vcc, exec, s[36:37]
	s_cbranch_vccnz .LBB25_40
; %bb.26:
	s_waitcnt lgkmcnt(0)
	s_ashr_i32 s29, s28, 31
	s_lshl_b64 s[2:3], s[28:29], 2
	s_add_u32 s2, s4, s2
	s_addc_u32 s3, s5, s3
	s_load_dwordx2 s[4:5], s[2:3], 0x0
	s_waitcnt vmcnt(0)
	v_subrev_u32_e32 v4, s23, v0
	s_waitcnt lgkmcnt(0)
	s_sub_i32 s24, s5, s23
	v_add_u32_e32 v4, s4, v4
	v_cmp_gt_i32_e32 vcc, s24, v4
	s_and_saveexec_b64 s[2:3], vcc
	s_cbranch_execz .LBB25_39
; %bb.27:
	s_mov_b64 s[4:5], 0
	s_movk_i32 s25, 0x89
	s_branch .LBB25_30
.LBB25_28:                              ;   in Loop: Header=BB25_30 Depth=1
	s_or_b64 exec, exec, s[14:15]
.LBB25_29:                              ;   in Loop: Header=BB25_30 Depth=1
	s_or_b64 exec, exec, s[12:13]
	s_waitcnt vmcnt(0)
	v_mul_f64 v[6:7], v[2:3], v[6:7]
	v_lshl_add_u32 v5, v5, 3, 0
	ds_add_f64 v5, v[6:7] offset:2048
	v_add_u32_e32 v4, 0x100, v4
	v_cmp_le_i32_e32 vcc, s24, v4
	s_or_b64 s[4:5], vcc, s[4:5]
	s_andn2_b64 exec, exec, s[4:5]
	s_cbranch_execz .LBB25_39
.LBB25_30:                              ; =>This Loop Header: Depth=1
                                        ;     Child Loop BB25_33 Depth 2
	v_ashrrev_i32_e32 v5, 31, v4
	v_lshl_add_u64 v[6:7], v[4:5], 2, s[6:7]
	global_load_dword v8, v[6:7], off
	v_lshl_add_u64 v[6:7], v[4:5], 3, s[8:9]
	global_load_dwordx2 v[6:7], v[6:7], off
	s_waitcnt vmcnt(1)
	v_subrev_u32_e32 v8, s23, v8
	v_mul_lo_u32 v5, v8, s25
	v_and_b32_e32 v5, 0x1ff, v5
	v_lshl_add_u32 v9, v5, 2, 0
	ds_read_b32 v10, v9
	s_waitcnt lgkmcnt(0)
	v_cmp_ne_u32_e32 vcc, v10, v8
	s_and_saveexec_b64 s[12:13], vcc
	s_cbranch_execz .LBB25_29
; %bb.31:                               ;   in Loop: Header=BB25_30 Depth=1
	s_mov_b64 s[14:15], 0
	s_branch .LBB25_33
.LBB25_32:                              ;   in Loop: Header=BB25_33 Depth=2
	s_or_b64 exec, exec, s[20:21]
	s_and_b64 s[16:17], exec, s[18:19]
	s_or_b64 s[14:15], s[16:17], s[14:15]
	s_andn2_b64 exec, exec, s[14:15]
	s_cbranch_execz .LBB25_28
.LBB25_33:                              ;   Parent Loop BB25_30 Depth=1
                                        ; =>  This Inner Loop Header: Depth=2
	v_cmp_ne_u32_e32 vcc, s33, v10
	s_mov_b64 s[16:17], 0
	s_and_saveexec_b64 s[18:19], vcc
	s_xor_b64 s[18:19], exec, s[18:19]
	s_cbranch_execz .LBB25_35
; %bb.34:                               ;   in Loop: Header=BB25_33 Depth=2
	v_add_u32_e32 v5, 1, v5
	s_mov_b64 s[16:17], exec
	v_and_b32_e32 v5, 0x1ff, v5
                                        ; implicit-def: $vgpr9
	s_andn2_saveexec_b64 s[18:19], s[18:19]
	s_cbranch_execz .LBB25_37
	s_branch .LBB25_36
.LBB25_35:                              ;   in Loop: Header=BB25_33 Depth=2
	s_andn2_saveexec_b64 s[18:19], s[18:19]
	s_cbranch_execz .LBB25_37
.LBB25_36:                              ;   in Loop: Header=BB25_33 Depth=2
	v_mov_b32_e32 v10, s33
	ds_cmpst_rtn_b32 v9, v9, v10, v8
	s_andn2_b64 s[16:17], s[16:17], exec
	s_waitcnt lgkmcnt(0)
	v_cmp_ne_u32_e32 vcc, s33, v9
	s_and_b64 s[20:21], vcc, exec
	s_or_b64 s[16:17], s[16:17], s[20:21]
.LBB25_37:                              ;   in Loop: Header=BB25_33 Depth=2
	s_or_b64 exec, exec, s[18:19]
	s_mov_b64 s[18:19], -1
                                        ; implicit-def: $vgpr9
                                        ; implicit-def: $vgpr10
	s_and_saveexec_b64 s[20:21], s[16:17]
	s_cbranch_execz .LBB25_32
; %bb.38:                               ;   in Loop: Header=BB25_33 Depth=2
	v_lshl_add_u32 v9, v5, 2, 0
	ds_read_b32 v10, v9
	s_waitcnt lgkmcnt(0)
	v_cmp_eq_u32_e32 vcc, v10, v8
	s_orn2_b64 s[18:19], vcc, exec
	s_branch .LBB25_32
.LBB25_39:
	s_or_b64 exec, exec, s[2:3]
.LBB25_40:
	s_waitcnt lgkmcnt(0)
	s_barrier
	s_and_saveexec_b64 s[8:9], s[0:1]
	s_cbranch_execz .LBB25_53
; %bb.41:
	s_waitcnt vmcnt(0)
	v_mbcnt_lo_u32_b32 v2, -1, 0
	v_mbcnt_hi_u32_b32 v2, -1, v2
	v_lshrrev_b32_e32 v4, 4, v0
	v_sub_u32_e32 v2, 63, v2
	v_and_b32_e32 v4, 12, v4
	s_movk_i32 s0, 0xff
	s_movk_i32 s4, 0x7f
	s_movk_i32 s6, 0xbf
	v_mov_b32_e32 v6, 0
	v_lshrrev_b64 v[2:3], v2, -1
	v_add_u32_e32 v7, 0, v4
	v_cmp_eq_u32_e64 s[0:1], s0, v0
	v_cmp_lt_u32_e64 s[2:3], 63, v0
	v_cmp_lt_u32_e64 s[4:5], s4, v0
	;; [unrolled: 1-line block ×3, first 2 shown]
	v_add_u32_e32 v8, 0x800, v14
	v_or_b32_e32 v9, 0xffffff00, v0
	s_mov_b64 s[12:13], 0
	v_mov_b32_e32 v10, 0
	s_branch .LBB25_43
.LBB25_42:                              ;   in Loop: Header=BB25_43 Depth=1
	s_or_b64 exec, exec, s[14:15]
	s_waitcnt lgkmcnt(0)
	s_barrier
	ds_read_b32 v4, v6 offset:6156
	v_add_co_u32_e32 v9, vcc, 0x100, v9
	s_xor_b64 s[14:15], vcc, -1
	s_and_b64 s[14:15], exec, s[14:15]
	v_add_u32_e32 v8, 0x800, v8
	s_waitcnt lgkmcnt(0)
	v_add_u32_e32 v10, v4, v10
	s_or_b64 s[12:13], s[14:15], s[12:13]
	v_add_u32_e32 v1, 0x400, v1
	s_andn2_b64 exec, exec, s[12:13]
	s_cbranch_execz .LBB25_53
.LBB25_43:                              ; =>This Inner Loop Header: Depth=1
	ds_read_b32 v11, v1
	ds_read_b64 v[4:5], v8
	s_waitcnt lgkmcnt(0)
	s_barrier
	v_cmp_gt_i32_e32 vcc, s33, v11
	s_bcnt1_i32_b64 s14, vcc
	s_nop 0
	v_and_b32_e32 v13, vcc_lo, v2
	v_and_b32_e32 v12, vcc_hi, v3
	v_bcnt_u32_b32 v13, v13, 0
	v_bcnt_u32_b32 v12, v12, v13
	v_mov_b32_e32 v13, s14
	ds_write_b32 v7, v13 offset:6144
	s_waitcnt lgkmcnt(0)
	s_barrier
	s_and_saveexec_b64 s[14:15], s[2:3]
	s_cbranch_execz .LBB25_48
; %bb.44:                               ;   in Loop: Header=BB25_43 Depth=1
	ds_read_b32 v13, v6 offset:6144
	s_waitcnt lgkmcnt(0)
	v_add_u32_e32 v12, v13, v12
	s_or_b64 exec, exec, s[14:15]
	s_and_saveexec_b64 s[14:15], s[4:5]
	s_cbranch_execnz .LBB25_49
.LBB25_45:                              ;   in Loop: Header=BB25_43 Depth=1
	s_or_b64 exec, exec, s[14:15]
	s_and_saveexec_b64 s[14:15], s[6:7]
	s_cbranch_execz .LBB25_50
.LBB25_46:                              ;   in Loop: Header=BB25_43 Depth=1
	ds_read_b32 v13, v6 offset:6152
	s_waitcnt lgkmcnt(0)
	v_add_u32_e32 v12, v13, v12
	s_or_b64 exec, exec, s[14:15]
	s_and_saveexec_b64 s[14:15], vcc
	s_cbranch_execnz .LBB25_51
.LBB25_47:                              ;   in Loop: Header=BB25_43 Depth=1
	s_or_b64 exec, exec, s[14:15]
	s_and_saveexec_b64 s[14:15], s[0:1]
	s_cbranch_execz .LBB25_42
	s_branch .LBB25_52
.LBB25_48:                              ;   in Loop: Header=BB25_43 Depth=1
	s_or_b64 exec, exec, s[14:15]
	s_and_saveexec_b64 s[14:15], s[4:5]
	s_cbranch_execz .LBB25_45
.LBB25_49:                              ;   in Loop: Header=BB25_43 Depth=1
	ds_read_b32 v13, v6 offset:6148
	s_waitcnt lgkmcnt(0)
	v_add_u32_e32 v12, v13, v12
	s_or_b64 exec, exec, s[14:15]
	s_and_saveexec_b64 s[14:15], s[6:7]
	s_cbranch_execnz .LBB25_46
.LBB25_50:                              ;   in Loop: Header=BB25_43 Depth=1
	s_or_b64 exec, exec, s[14:15]
	s_and_saveexec_b64 s[14:15], vcc
	s_cbranch_execz .LBB25_47
.LBB25_51:                              ;   in Loop: Header=BB25_43 Depth=1
	v_add3_u32 v13, v10, -1, v12
	v_lshl_add_u32 v13, v13, 2, 0
	v_add_u32_e32 v14, v10, v12
	v_lshl_add_u32 v14, v14, 3, 0
	ds_write_b32 v13, v11
	ds_write_b64 v14, v[4:5] offset:2040
	s_or_b64 exec, exec, s[14:15]
	s_and_saveexec_b64 s[14:15], s[0:1]
	s_cbranch_execz .LBB25_42
.LBB25_52:                              ;   in Loop: Header=BB25_43 Depth=1
	ds_write_b32 v6, v12 offset:6156
	s_branch .LBB25_42
.LBB25_53:
	s_or_b64 exec, exec, s[8:9]
	s_ashr_i32 s29, s28, 31
	s_lshl_b64 s[0:1], s[28:29], 2
	s_add_u32 s2, s10, s0
	s_addc_u32 s3, s11, s1
	s_load_dwordx2 s[0:1], s[2:3], 0x0
	s_waitcnt lgkmcnt(0)
	s_sub_i32 s14, s1, s0
	v_cmp_gt_i32_e32 vcc, s14, v0
	s_and_saveexec_b64 s[2:3], vcc
	s_cbranch_execz .LBB25_67
; %bb.54:
	s_sub_i32 s8, s0, s22
	v_sub_co_u32_e64 v1, s[0:1], s14, 2
	s_nop 0
	v_readfirstlane_b32 s2, v1
	s_lshr_b32 s2, s2, 1
	s_add_i32 s2, s2, 1
	s_xor_b64 s[0:1], s[0:1], -1
	s_and_b32 s15, s14, -2
	s_and_b32 s3, s2, 7
	s_and_b32 s16, s2, -8
	s_cmp_lg_u32 s3, 0
	v_cmp_lt_u32_e32 vcc, 13, v1
	s_cselect_b64 s[4:5], -1, 0
	s_cmp_lg_u32 s14, s15
	v_cndmask_b32_e64 v1, 0, 1, vcc
	s_cselect_b64 s[10:11], -1, 0
	s_lshl_b32 s17, s3, 3
	s_waitcnt vmcnt(0)
	v_cndmask_b32_e64 v2, 0, 1, s[0:1]
	v_cmp_ne_u32_e64 s[2:3], 1, v1
	v_cndmask_b32_e64 v1, 0, 1, s[4:5]
	s_mov_b32 s9, 0
	s_mov_b64 s[12:13], 0
	v_cmp_ne_u32_e64 s[0:1], 1, v2
	v_cmp_ne_u32_e64 s[4:5], 1, v1
	s_branch .LBB25_56
.LBB25_55:                              ;   in Loop: Header=BB25_56 Depth=1
	v_add_u32_e32 v0, 0x100, v0
	v_ashrrev_i32_e32 v5, 31, v4
	v_cmp_le_i32_e32 vcc, s14, v0
	v_lshl_add_u64 v[4:5], v[4:5], 3, s[34:35]
	s_or_b64 s[12:13], vcc, s[12:13]
	s_waitcnt lgkmcnt(0)
	global_store_dwordx2 v[4:5], v[2:3], off
	s_andn2_b64 exec, exec, s[12:13]
	s_cbranch_execz .LBB25_67
.LBB25_56:                              ; =>This Loop Header: Depth=1
                                        ;     Child Loop BB25_59 Depth 2
                                        ;     Child Loop BB25_62 Depth 2
	;; [unrolled: 1-line block ×3, first 2 shown]
	v_lshlrev_b32_e32 v1, 2, v0
	v_add_u32_e32 v2, 0, v1
	v_add_u32_e32 v3, v2, v1
	ds_read_b32 v1, v2
	ds_read_b64 v[2:3], v3 offset:2048
	s_and_b64 vcc, exec, s[0:1]
	v_mov_b32_e32 v4, s8
	s_mov_b32 s18, 0
	s_mov_b64 s[6:7], -1
	s_cbranch_vccnz .LBB25_64
; %bb.57:                               ;   in Loop: Header=BB25_56 Depth=1
	s_and_b64 vcc, exec, s[2:3]
	v_mov_b64_e32 v[4:5], s[8:9]
	s_cbranch_vccnz .LBB25_60
; %bb.58:                               ;   in Loop: Header=BB25_56 Depth=1
	s_mov_b32 s19, 0
	v_mov_b32_e32 v4, s8
	v_mov_b32_e32 v5, 0
	s_mov_b32 s20, s16
.LBB25_59:                              ;   Parent Loop BB25_56 Depth=1
                                        ; =>  This Inner Loop Header: Depth=2
	v_mov_b32_e32 v20, s19
	ds_read2_b32 v[6:7], v20 offset1:1
	ds_read2_b32 v[8:9], v20 offset0:2 offset1:3
	ds_read2_b32 v[10:11], v20 offset0:4 offset1:5
	;; [unrolled: 1-line block ×7, first 2 shown]
	s_waitcnt lgkmcnt(7)
	v_cmp_gt_i32_e32 vcc, v1, v7
	s_waitcnt lgkmcnt(5)
	v_cmp_gt_i32_e64 s[6:7], v1, v10
	s_add_i32 s18, s18, 16
	v_cndmask_b32_e64 v7, 0, 1, vcc
	v_cmp_gt_i32_e32 vcc, v1, v6
	s_add_i32 s19, s19, 64
	s_add_i32 s20, s20, -8
	v_cndmask_b32_e64 v6, 0, 1, vcc
	v_cmp_gt_i32_e32 vcc, v1, v9
	v_cndmask_b32_e64 v9, 0, 1, s[6:7]
	v_cmp_gt_i32_e64 s[6:7], v1, v11
	v_addc_co_u32_e32 v5, vcc, v5, v7, vcc
	s_nop 0
	v_cndmask_b32_e64 v10, 0, 1, s[6:7]
	s_waitcnt lgkmcnt(3)
	v_cmp_gt_i32_e64 s[6:7], v1, v15
	v_cmp_gt_i32_e32 vcc, v1, v12
	s_cmp_lg_u32 s20, 0
	v_cndmask_b32_e64 v11, 0, 1, s[6:7]
	v_cmp_gt_i32_e64 s[6:7], v1, v14
	s_nop 1
	v_cndmask_b32_e64 v14, 0, 1, s[6:7]
	s_waitcnt lgkmcnt(1)
	v_cmp_gt_i32_e64 s[6:7], v1, v18
	s_nop 1
	v_cndmask_b32_e64 v15, 0, 1, s[6:7]
	v_cmp_gt_i32_e64 s[6:7], v1, v19
	s_nop 1
	v_cndmask_b32_e64 v18, 0, 1, s[6:7]
	v_cmp_gt_i32_e64 s[6:7], v1, v8
	s_nop 1
	v_addc_co_u32_e64 v4, s[6:7], v4, v6, s[6:7]
	v_cmp_gt_i32_e64 s[6:7], v1, v13
	v_addc_co_u32_e32 v4, vcc, v4, v9, vcc
	s_nop 0
	v_addc_co_u32_e64 v5, s[6:7], v5, v10, s[6:7]
	v_cmp_gt_i32_e32 vcc, v1, v17
	v_cmp_gt_i32_e64 s[6:7], v1, v16
	s_nop 0
	v_addc_co_u32_e32 v5, vcc, v5, v11, vcc
	v_addc_co_u32_e64 v4, s[6:7], v4, v14, s[6:7]
	s_waitcnt lgkmcnt(0)
	v_cmp_gt_i32_e32 vcc, v1, v20
	v_cmp_gt_i32_e64 s[6:7], v1, v21
	s_nop 0
	v_addc_co_u32_e32 v4, vcc, v4, v15, vcc
	v_addc_co_u32_e64 v5, s[6:7], v5, v18, s[6:7]
	s_cbranch_scc1 .LBB25_59
.LBB25_60:                              ;   in Loop: Header=BB25_56 Depth=1
	s_and_b64 vcc, exec, s[4:5]
	s_cbranch_vccnz .LBB25_63
; %bb.61:                               ;   in Loop: Header=BB25_56 Depth=1
	s_lshl_b32 s6, s18, 2
	s_add_i32 s6, s6, 0
	s_mov_b32 s7, s17
.LBB25_62:                              ;   Parent Loop BB25_56 Depth=1
                                        ; =>  This Inner Loop Header: Depth=2
	v_mov_b32_e32 v6, s6
	ds_read2_b32 v[6:7], v6 offset1:1
	s_add_i32 s6, s6, 8
	s_add_i32 s7, s7, -8
	s_cmp_lg_u32 s7, 0
	s_waitcnt lgkmcnt(0)
	v_cmp_gt_i32_e32 vcc, v1, v7
	s_nop 1
	v_addc_co_u32_e32 v5, vcc, 0, v5, vcc
	v_cmp_gt_i32_e32 vcc, v1, v6
	s_nop 1
	v_addc_co_u32_e32 v4, vcc, 0, v4, vcc
	s_cbranch_scc1 .LBB25_62
.LBB25_63:                              ;   in Loop: Header=BB25_56 Depth=1
	v_add_u32_e32 v4, v4, v5
	s_mov_b32 s18, s15
	s_mov_b64 s[6:7], s[10:11]
.LBB25_64:                              ;   in Loop: Header=BB25_56 Depth=1
	s_and_b64 vcc, exec, s[6:7]
	s_cbranch_vccz .LBB25_55
; %bb.65:                               ;   in Loop: Header=BB25_56 Depth=1
	s_lshl_b32 s6, s18, 2
	s_add_i32 s6, s6, 0
.LBB25_66:                              ;   Parent Loop BB25_56 Depth=1
                                        ; =>  This Inner Loop Header: Depth=2
	v_mov_b32_e32 v5, s6
	ds_read_b32 v5, v5
	s_add_i32 s18, s18, 1
	s_add_i32 s6, s6, 4
	s_cmp_ge_i32 s18, s14
	s_waitcnt lgkmcnt(0)
	v_cmp_gt_i32_e32 vcc, v1, v5
	s_nop 1
	v_addc_co_u32_e32 v4, vcc, 0, v4, vcc
	s_cbranch_scc0 .LBB25_66
	s_branch .LBB25_55
.LBB25_67:
	s_endpgm
	.section	.rodata,"a",@progbits
	.p2align	6, 0x0
	.amdhsa_kernel _ZN9rocsparseL41csrgemm_numeric_fill_block_per_row_kernelILj256ELj32ELj512ELj137ELj64EiidEEvT5_PKS1_S3_NS_24const_host_device_scalarIT6_EEPKT4_S3_PKS5_S9_S3_SB_S6_S9_S3_SB_S9_S3_PS5_21rocsparse_index_base_SD_SD_SD_bbb
		.amdhsa_group_segment_fixed_size 0
		.amdhsa_private_segment_fixed_size 0
		.amdhsa_kernarg_size 156
		.amdhsa_user_sgpr_count 2
		.amdhsa_user_sgpr_dispatch_ptr 0
		.amdhsa_user_sgpr_queue_ptr 0
		.amdhsa_user_sgpr_kernarg_segment_ptr 1
		.amdhsa_user_sgpr_dispatch_id 0
		.amdhsa_user_sgpr_kernarg_preload_length 0
		.amdhsa_user_sgpr_kernarg_preload_offset 0
		.amdhsa_user_sgpr_private_segment_size 0
		.amdhsa_uses_dynamic_stack 0
		.amdhsa_enable_private_segment 0
		.amdhsa_system_sgpr_workgroup_id_x 1
		.amdhsa_system_sgpr_workgroup_id_y 0
		.amdhsa_system_sgpr_workgroup_id_z 0
		.amdhsa_system_sgpr_workgroup_info 0
		.amdhsa_system_vgpr_workitem_id 0
		.amdhsa_next_free_vgpr 22
		.amdhsa_next_free_sgpr 51
		.amdhsa_accum_offset 24
		.amdhsa_reserve_vcc 1
		.amdhsa_float_round_mode_32 0
		.amdhsa_float_round_mode_16_64 0
		.amdhsa_float_denorm_mode_32 3
		.amdhsa_float_denorm_mode_16_64 3
		.amdhsa_dx10_clamp 1
		.amdhsa_ieee_mode 1
		.amdhsa_fp16_overflow 0
		.amdhsa_tg_split 0
		.amdhsa_exception_fp_ieee_invalid_op 0
		.amdhsa_exception_fp_denorm_src 0
		.amdhsa_exception_fp_ieee_div_zero 0
		.amdhsa_exception_fp_ieee_overflow 0
		.amdhsa_exception_fp_ieee_underflow 0
		.amdhsa_exception_fp_ieee_inexact 0
		.amdhsa_exception_int_div_zero 0
	.end_amdhsa_kernel
	.section	.text._ZN9rocsparseL41csrgemm_numeric_fill_block_per_row_kernelILj256ELj32ELj512ELj137ELj64EiidEEvT5_PKS1_S3_NS_24const_host_device_scalarIT6_EEPKT4_S3_PKS5_S9_S3_SB_S6_S9_S3_SB_S9_S3_PS5_21rocsparse_index_base_SD_SD_SD_bbb,"axG",@progbits,_ZN9rocsparseL41csrgemm_numeric_fill_block_per_row_kernelILj256ELj32ELj512ELj137ELj64EiidEEvT5_PKS1_S3_NS_24const_host_device_scalarIT6_EEPKT4_S3_PKS5_S9_S3_SB_S6_S9_S3_SB_S9_S3_PS5_21rocsparse_index_base_SD_SD_SD_bbb,comdat
.Lfunc_end25:
	.size	_ZN9rocsparseL41csrgemm_numeric_fill_block_per_row_kernelILj256ELj32ELj512ELj137ELj64EiidEEvT5_PKS1_S3_NS_24const_host_device_scalarIT6_EEPKT4_S3_PKS5_S9_S3_SB_S6_S9_S3_SB_S9_S3_PS5_21rocsparse_index_base_SD_SD_SD_bbb, .Lfunc_end25-_ZN9rocsparseL41csrgemm_numeric_fill_block_per_row_kernelILj256ELj32ELj512ELj137ELj64EiidEEvT5_PKS1_S3_NS_24const_host_device_scalarIT6_EEPKT4_S3_PKS5_S9_S3_SB_S6_S9_S3_SB_S9_S3_PS5_21rocsparse_index_base_SD_SD_SD_bbb
                                        ; -- End function
	.set _ZN9rocsparseL41csrgemm_numeric_fill_block_per_row_kernelILj256ELj32ELj512ELj137ELj64EiidEEvT5_PKS1_S3_NS_24const_host_device_scalarIT6_EEPKT4_S3_PKS5_S9_S3_SB_S6_S9_S3_SB_S9_S3_PS5_21rocsparse_index_base_SD_SD_SD_bbb.num_vgpr, 22
	.set _ZN9rocsparseL41csrgemm_numeric_fill_block_per_row_kernelILj256ELj32ELj512ELj137ELj64EiidEEvT5_PKS1_S3_NS_24const_host_device_scalarIT6_EEPKT4_S3_PKS5_S9_S3_SB_S6_S9_S3_SB_S9_S3_PS5_21rocsparse_index_base_SD_SD_SD_bbb.num_agpr, 0
	.set _ZN9rocsparseL41csrgemm_numeric_fill_block_per_row_kernelILj256ELj32ELj512ELj137ELj64EiidEEvT5_PKS1_S3_NS_24const_host_device_scalarIT6_EEPKT4_S3_PKS5_S9_S3_SB_S6_S9_S3_SB_S9_S3_PS5_21rocsparse_index_base_SD_SD_SD_bbb.numbered_sgpr, 51
	.set _ZN9rocsparseL41csrgemm_numeric_fill_block_per_row_kernelILj256ELj32ELj512ELj137ELj64EiidEEvT5_PKS1_S3_NS_24const_host_device_scalarIT6_EEPKT4_S3_PKS5_S9_S3_SB_S6_S9_S3_SB_S9_S3_PS5_21rocsparse_index_base_SD_SD_SD_bbb.num_named_barrier, 0
	.set _ZN9rocsparseL41csrgemm_numeric_fill_block_per_row_kernelILj256ELj32ELj512ELj137ELj64EiidEEvT5_PKS1_S3_NS_24const_host_device_scalarIT6_EEPKT4_S3_PKS5_S9_S3_SB_S6_S9_S3_SB_S9_S3_PS5_21rocsparse_index_base_SD_SD_SD_bbb.private_seg_size, 0
	.set _ZN9rocsparseL41csrgemm_numeric_fill_block_per_row_kernelILj256ELj32ELj512ELj137ELj64EiidEEvT5_PKS1_S3_NS_24const_host_device_scalarIT6_EEPKT4_S3_PKS5_S9_S3_SB_S6_S9_S3_SB_S9_S3_PS5_21rocsparse_index_base_SD_SD_SD_bbb.uses_vcc, 1
	.set _ZN9rocsparseL41csrgemm_numeric_fill_block_per_row_kernelILj256ELj32ELj512ELj137ELj64EiidEEvT5_PKS1_S3_NS_24const_host_device_scalarIT6_EEPKT4_S3_PKS5_S9_S3_SB_S6_S9_S3_SB_S9_S3_PS5_21rocsparse_index_base_SD_SD_SD_bbb.uses_flat_scratch, 0
	.set _ZN9rocsparseL41csrgemm_numeric_fill_block_per_row_kernelILj256ELj32ELj512ELj137ELj64EiidEEvT5_PKS1_S3_NS_24const_host_device_scalarIT6_EEPKT4_S3_PKS5_S9_S3_SB_S6_S9_S3_SB_S9_S3_PS5_21rocsparse_index_base_SD_SD_SD_bbb.has_dyn_sized_stack, 0
	.set _ZN9rocsparseL41csrgemm_numeric_fill_block_per_row_kernelILj256ELj32ELj512ELj137ELj64EiidEEvT5_PKS1_S3_NS_24const_host_device_scalarIT6_EEPKT4_S3_PKS5_S9_S3_SB_S6_S9_S3_SB_S9_S3_PS5_21rocsparse_index_base_SD_SD_SD_bbb.has_recursion, 0
	.set _ZN9rocsparseL41csrgemm_numeric_fill_block_per_row_kernelILj256ELj32ELj512ELj137ELj64EiidEEvT5_PKS1_S3_NS_24const_host_device_scalarIT6_EEPKT4_S3_PKS5_S9_S3_SB_S6_S9_S3_SB_S9_S3_PS5_21rocsparse_index_base_SD_SD_SD_bbb.has_indirect_call, 0
	.section	.AMDGPU.csdata,"",@progbits
; Kernel info:
; codeLenInByte = 2640
; TotalNumSgprs: 57
; NumVgprs: 22
; NumAgprs: 0
; TotalNumVgprs: 22
; ScratchSize: 0
; MemoryBound: 0
; FloatMode: 240
; IeeeMode: 1
; LDSByteSize: 0 bytes/workgroup (compile time only)
; SGPRBlocks: 7
; VGPRBlocks: 2
; NumSGPRsForWavesPerEU: 57
; NumVGPRsForWavesPerEU: 22
; AccumOffset: 24
; Occupancy: 8
; WaveLimiterHint : 1
; COMPUTE_PGM_RSRC2:SCRATCH_EN: 0
; COMPUTE_PGM_RSRC2:USER_SGPR: 2
; COMPUTE_PGM_RSRC2:TRAP_HANDLER: 0
; COMPUTE_PGM_RSRC2:TGID_X_EN: 1
; COMPUTE_PGM_RSRC2:TGID_Y_EN: 0
; COMPUTE_PGM_RSRC2:TGID_Z_EN: 0
; COMPUTE_PGM_RSRC2:TIDIG_COMP_CNT: 0
; COMPUTE_PGM_RSRC3_GFX90A:ACCUM_OFFSET: 5
; COMPUTE_PGM_RSRC3_GFX90A:TG_SPLIT: 0
	.section	.text._ZN9rocsparseL41csrgemm_numeric_fill_block_per_row_kernelILj512ELj32ELj1024ELj137ELj32EiidEEvT5_PKS1_S3_NS_24const_host_device_scalarIT6_EEPKT4_S3_PKS5_S9_S3_SB_S6_S9_S3_SB_S9_S3_PS5_21rocsparse_index_base_SD_SD_SD_bbb,"axG",@progbits,_ZN9rocsparseL41csrgemm_numeric_fill_block_per_row_kernelILj512ELj32ELj1024ELj137ELj32EiidEEvT5_PKS1_S3_NS_24const_host_device_scalarIT6_EEPKT4_S3_PKS5_S9_S3_SB_S6_S9_S3_SB_S9_S3_PS5_21rocsparse_index_base_SD_SD_SD_bbb,comdat
	.globl	_ZN9rocsparseL41csrgemm_numeric_fill_block_per_row_kernelILj512ELj32ELj1024ELj137ELj32EiidEEvT5_PKS1_S3_NS_24const_host_device_scalarIT6_EEPKT4_S3_PKS5_S9_S3_SB_S6_S9_S3_SB_S9_S3_PS5_21rocsparse_index_base_SD_SD_SD_bbb ; -- Begin function _ZN9rocsparseL41csrgemm_numeric_fill_block_per_row_kernelILj512ELj32ELj1024ELj137ELj32EiidEEvT5_PKS1_S3_NS_24const_host_device_scalarIT6_EEPKT4_S3_PKS5_S9_S3_SB_S6_S9_S3_SB_S9_S3_PS5_21rocsparse_index_base_SD_SD_SD_bbb
	.p2align	8
	.type	_ZN9rocsparseL41csrgemm_numeric_fill_block_per_row_kernelILj512ELj32ELj1024ELj137ELj32EiidEEvT5_PKS1_S3_NS_24const_host_device_scalarIT6_EEPKT4_S3_PKS5_S9_S3_SB_S6_S9_S3_SB_S9_S3_PS5_21rocsparse_index_base_SD_SD_SD_bbb,@function
_ZN9rocsparseL41csrgemm_numeric_fill_block_per_row_kernelILj512ELj32ELj1024ELj137ELj32EiidEEvT5_PKS1_S3_NS_24const_host_device_scalarIT6_EEPKT4_S3_PKS5_S9_S3_SB_S6_S9_S3_SB_S9_S3_PS5_21rocsparse_index_base_SD_SD_SD_bbb: ; @_ZN9rocsparseL41csrgemm_numeric_fill_block_per_row_kernelILj512ELj32ELj1024ELj137ELj32EiidEEvT5_PKS1_S3_NS_24const_host_device_scalarIT6_EEPKT4_S3_PKS5_S9_S3_SB_S6_S9_S3_SB_S9_S3_PS5_21rocsparse_index_base_SD_SD_SD_bbb
; %bb.0:
	s_load_dword s3, s[0:1], 0x98
	s_load_dwordx4 s[44:47], s[0:1], 0x88
	s_load_dwordx2 s[4:5], s[0:1], 0x18
	s_load_dwordx2 s[24:25], s[0:1], 0x50
	s_waitcnt lgkmcnt(0)
	s_bitcmp1_b32 s3, 0
	s_cselect_b64 s[22:23], -1, 0
	s_bitcmp1_b32 s3, 16
	s_cselect_b64 s[26:27], -1, 0
	s_xor_b64 s[6:7], s[22:23], -1
	s_or_b64 s[6:7], s[26:27], s[6:7]
	s_and_b64 s[8:9], s[22:23], exec
	s_cselect_b32 s9, s5, 0
	s_cselect_b32 s8, s4, 0
	s_and_b64 vcc, exec, s[6:7]
	v_mov_b64_e32 v[4:5], s[8:9]
	s_cbranch_vccnz .LBB26_2
; %bb.1:
	v_mov_b64_e32 v[2:3], s[4:5]
	flat_load_dwordx2 v[4:5], v[2:3]
.LBB26_2:
	s_load_dwordx2 s[34:35], s[0:1], 0x80
	s_load_dwordx8 s[36:43], s[0:1], 0x58
	s_load_dwordx4 s[12:15], s[0:1], 0x40
	s_load_dwordx4 s[16:19], s[0:1], 0x8
	s_load_dwordx8 s[4:11], s[0:1], 0x20
	s_bitcmp1_b32 s3, 8
	s_cselect_b64 s[20:21], -1, 0
	s_xor_b64 s[28:29], s[20:21], -1
	s_or_b64 s[26:27], s[26:27], s[28:29]
	s_and_b64 s[28:29], s[20:21], exec
	s_cselect_b32 s29, s25, 0
	s_cselect_b32 s28, s24, 0
	s_and_b64 vcc, exec, s[26:27]
	v_mov_b64_e32 v[2:3], s[28:29]
	s_cbranch_vccnz .LBB26_4
; %bb.3:
	v_mov_b64_e32 v[2:3], s[24:25]
	flat_load_dwordx2 v[2:3], v[2:3]
.LBB26_4:
	s_load_dword s33, s[0:1], 0x0
	v_lshl_add_u32 v1, v0, 3, 0
	v_mov_b32_e32 v6, 0
	v_add_u32_e32 v1, 0x1000, v1
	v_or_b32_e32 v14, 0xfffffe00, v0
	v_lshl_add_u32 v15, v0, 2, 0
	s_mov_b64 s[0:1], 0
	s_waitcnt lgkmcnt(0)
	v_mov_b32_e32 v11, s33
	v_mov_b32_e32 v7, v6
	;; [unrolled: 1-line block ×5, first 2 shown]
.LBB26_5:                               ; =>This Inner Loop Header: Depth=1
	v_add_co_u32_e32 v9, vcc, 0x200, v9
	s_xor_b64 s[24:25], vcc, -1
	s_and_b64 s[24:25], exec, s[24:25]
	ds_write_b32 v8, v11
	ds_write_b64 v10, v[6:7]
	v_add_u32_e32 v10, 0x1000, v10
	s_or_b64 s[0:1], s[24:25], s[0:1]
	v_add_u32_e32 v8, 0x800, v8
	s_andn2_b64 exec, exec, s[0:1]
	s_cbranch_execnz .LBB26_5
; %bb.6:
	s_or_b64 exec, exec, s[0:1]
	s_waitcnt lgkmcnt(0)
	s_barrier
	s_load_dword s0, s[16:17], 0x0
	s_mov_b32 s1, 0
	v_lshrrev_b32_e32 v16, 5, v0
	s_waitcnt lgkmcnt(0)
	s_add_i32 s0, s0, s2
	s_lshl_b64 s[0:1], s[0:1], 2
	s_add_u32 s0, s18, s0
	s_addc_u32 s1, s19, s1
	s_load_dword s48, s[0:1], 0x0
	s_and_b64 vcc, exec, s[22:23]
	s_cbranch_vccz .LBB26_24
; %bb.7:
	s_waitcnt lgkmcnt(0)
	s_ashr_i32 s49, s48, 31
	s_lshl_b64 s[0:1], s[48:49], 2
	s_add_u32 s0, s4, s0
	s_addc_u32 s1, s5, s1
	s_load_dwordx2 s[2:3], s[0:1], 0x0
	v_subrev_u32_e32 v6, s44, v16
	s_waitcnt lgkmcnt(0)
	s_sub_i32 s30, s3, s44
	v_add_u32_e32 v6, s2, v6
	v_cmp_gt_i32_e32 vcc, s30, v6
	s_and_saveexec_b64 s[0:1], vcc
	s_cbranch_execz .LBB26_23
; %bb.8:
	v_and_b32_e32 v7, 31, v0
	v_subrev_u32_e32 v17, s45, v7
	s_mov_b64 s[2:3], 0
	s_movk_i32 s31, 0x89
	s_branch .LBB26_10
.LBB26_9:                               ;   in Loop: Header=BB26_10 Depth=1
	s_or_b64 exec, exec, s[4:5]
	v_add_u32_e32 v6, 16, v6
	v_cmp_le_i32_e32 vcc, s30, v6
	s_or_b64 s[2:3], vcc, s[2:3]
	s_andn2_b64 exec, exec, s[2:3]
	s_cbranch_execz .LBB26_23
.LBB26_10:                              ; =>This Loop Header: Depth=1
                                        ;     Child Loop BB26_14 Depth 2
                                        ;       Child Loop BB26_17 Depth 3
	v_ashrrev_i32_e32 v7, 31, v6
	v_lshl_add_u64 v[8:9], v[6:7], 2, s[6:7]
	global_load_dword v8, v[8:9], off
	s_waitcnt vmcnt(0)
	v_subrev_u32_e32 v8, s44, v8
	v_ashrrev_i32_e32 v9, 31, v8
	v_lshl_add_u64 v[8:9], v[8:9], 2, s[10:11]
	global_load_dwordx2 v[8:9], v[8:9], off
	s_waitcnt vmcnt(0)
	v_subrev_u32_e32 v18, s45, v9
	v_add_u32_e32 v8, v8, v17
	v_cmp_lt_i32_e32 vcc, v8, v18
	s_and_saveexec_b64 s[4:5], vcc
	s_cbranch_execz .LBB26_9
; %bb.11:                               ;   in Loop: Header=BB26_10 Depth=1
	v_lshl_add_u64 v[10:11], v[6:7], 3, s[8:9]
	global_load_dwordx2 v[10:11], v[10:11], off
	s_mov_b64 s[16:17], 0
	s_waitcnt vmcnt(0)
	v_mul_f64 v[10:11], v[4:5], v[10:11]
	s_branch .LBB26_14
.LBB26_12:                              ;   in Loop: Header=BB26_14 Depth=2
	s_or_b64 exec, exec, s[22:23]
.LBB26_13:                              ;   in Loop: Header=BB26_14 Depth=2
	s_or_b64 exec, exec, s[18:19]
	s_waitcnt vmcnt(0)
	v_mul_f64 v[12:13], v[10:11], v[12:13]
	v_lshl_add_u32 v7, v7, 3, 0
	ds_add_f64 v7, v[12:13] offset:4096
	v_add_u32_e32 v8, 32, v8
	v_cmp_ge_i32_e32 vcc, v8, v18
	s_or_b64 s[16:17], vcc, s[16:17]
	s_andn2_b64 exec, exec, s[16:17]
	s_cbranch_execz .LBB26_9
.LBB26_14:                              ;   Parent Loop BB26_10 Depth=1
                                        ; =>  This Loop Header: Depth=2
                                        ;       Child Loop BB26_17 Depth 3
	v_ashrrev_i32_e32 v9, 31, v8
	v_lshl_add_u64 v[12:13], v[8:9], 2, s[12:13]
	global_load_dword v7, v[12:13], off
	v_lshl_add_u64 v[12:13], v[8:9], 3, s[14:15]
	global_load_dwordx2 v[12:13], v[12:13], off
	s_waitcnt vmcnt(1)
	v_subrev_u32_e32 v9, s45, v7
	v_mul_lo_u32 v7, v9, s31
	v_and_b32_e32 v7, 0x3ff, v7
	v_lshl_add_u32 v19, v7, 2, 0
	ds_read_b32 v20, v19
	s_waitcnt lgkmcnt(0)
	v_cmp_ne_u32_e32 vcc, v20, v9
	s_and_saveexec_b64 s[18:19], vcc
	s_cbranch_execz .LBB26_13
; %bb.15:                               ;   in Loop: Header=BB26_14 Depth=2
	s_mov_b64 s[22:23], 0
	s_branch .LBB26_17
.LBB26_16:                              ;   in Loop: Header=BB26_17 Depth=3
	s_or_b64 exec, exec, s[28:29]
	s_and_b64 s[24:25], exec, s[26:27]
	s_or_b64 s[22:23], s[24:25], s[22:23]
	s_andn2_b64 exec, exec, s[22:23]
	s_cbranch_execz .LBB26_12
.LBB26_17:                              ;   Parent Loop BB26_10 Depth=1
                                        ;     Parent Loop BB26_14 Depth=2
                                        ; =>    This Inner Loop Header: Depth=3
	v_cmp_ne_u32_e32 vcc, s33, v20
	s_mov_b64 s[24:25], 0
	s_and_saveexec_b64 s[26:27], vcc
	s_xor_b64 s[26:27], exec, s[26:27]
	s_cbranch_execz .LBB26_19
; %bb.18:                               ;   in Loop: Header=BB26_17 Depth=3
	v_add_u32_e32 v7, 1, v7
	s_mov_b64 s[24:25], exec
	v_and_b32_e32 v7, 0x3ff, v7
                                        ; implicit-def: $vgpr19
	s_andn2_saveexec_b64 s[26:27], s[26:27]
	s_cbranch_execz .LBB26_21
	s_branch .LBB26_20
.LBB26_19:                              ;   in Loop: Header=BB26_17 Depth=3
	s_andn2_saveexec_b64 s[26:27], s[26:27]
	s_cbranch_execz .LBB26_21
.LBB26_20:                              ;   in Loop: Header=BB26_17 Depth=3
	v_mov_b32_e32 v20, s33
	ds_cmpst_rtn_b32 v19, v19, v20, v9
	s_andn2_b64 s[24:25], s[24:25], exec
	s_waitcnt lgkmcnt(0)
	v_cmp_ne_u32_e32 vcc, s33, v19
	s_and_b64 s[28:29], vcc, exec
	s_or_b64 s[24:25], s[24:25], s[28:29]
.LBB26_21:                              ;   in Loop: Header=BB26_17 Depth=3
	s_or_b64 exec, exec, s[26:27]
	s_mov_b64 s[26:27], -1
                                        ; implicit-def: $vgpr19
                                        ; implicit-def: $vgpr20
	s_and_saveexec_b64 s[28:29], s[24:25]
	s_cbranch_execz .LBB26_16
; %bb.22:                               ;   in Loop: Header=BB26_17 Depth=3
	v_lshl_add_u32 v19, v7, 2, 0
	ds_read_b32 v20, v19
	s_waitcnt lgkmcnt(0)
	v_cmp_eq_u32_e32 vcc, v20, v9
	s_orn2_b64 s[26:27], vcc, exec
	s_branch .LBB26_16
.LBB26_23:
	s_or_b64 exec, exec, s[0:1]
.LBB26_24:
	s_andn2_b64 vcc, exec, s[20:21]
	s_cbranch_vccnz .LBB26_39
; %bb.25:
	s_waitcnt lgkmcnt(0)
	s_ashr_i32 s49, s48, 31
	s_lshl_b64 s[0:1], s[48:49], 2
	s_add_u32 s0, s36, s0
	s_addc_u32 s1, s37, s1
	s_load_dwordx2 s[2:3], s[0:1], 0x0
	s_waitcnt vmcnt(0)
	v_subrev_u32_e32 v4, s47, v0
	s_waitcnt lgkmcnt(0)
	s_sub_i32 s14, s3, s47
	v_add_u32_e32 v4, s2, v4
	v_cmp_gt_i32_e32 vcc, s14, v4
	s_and_saveexec_b64 s[0:1], vcc
	s_cbranch_execz .LBB26_38
; %bb.26:
	s_mov_b64 s[2:3], 0
	s_movk_i32 s15, 0x89
	s_branch .LBB26_29
.LBB26_27:                              ;   in Loop: Header=BB26_29 Depth=1
	s_or_b64 exec, exec, s[6:7]
.LBB26_28:                              ;   in Loop: Header=BB26_29 Depth=1
	s_or_b64 exec, exec, s[4:5]
	s_waitcnt vmcnt(0)
	v_mul_f64 v[6:7], v[2:3], v[6:7]
	v_lshl_add_u32 v5, v5, 3, 0
	ds_add_f64 v5, v[6:7] offset:4096
	v_add_u32_e32 v4, 0x200, v4
	v_cmp_le_i32_e32 vcc, s14, v4
	s_or_b64 s[2:3], vcc, s[2:3]
	s_andn2_b64 exec, exec, s[2:3]
	s_cbranch_execz .LBB26_38
.LBB26_29:                              ; =>This Loop Header: Depth=1
                                        ;     Child Loop BB26_32 Depth 2
	v_ashrrev_i32_e32 v5, 31, v4
	v_lshl_add_u64 v[6:7], v[4:5], 2, s[38:39]
	global_load_dword v8, v[6:7], off
	v_lshl_add_u64 v[6:7], v[4:5], 3, s[40:41]
	global_load_dwordx2 v[6:7], v[6:7], off
	s_waitcnt vmcnt(1)
	v_subrev_u32_e32 v8, s47, v8
	v_mul_lo_u32 v5, v8, s15
	v_and_b32_e32 v5, 0x3ff, v5
	v_lshl_add_u32 v9, v5, 2, 0
	ds_read_b32 v10, v9
	s_waitcnt lgkmcnt(0)
	v_cmp_ne_u32_e32 vcc, v10, v8
	s_and_saveexec_b64 s[4:5], vcc
	s_cbranch_execz .LBB26_28
; %bb.30:                               ;   in Loop: Header=BB26_29 Depth=1
	s_mov_b64 s[6:7], 0
	s_branch .LBB26_32
.LBB26_31:                              ;   in Loop: Header=BB26_32 Depth=2
	s_or_b64 exec, exec, s[12:13]
	s_and_b64 s[8:9], exec, s[10:11]
	s_or_b64 s[6:7], s[8:9], s[6:7]
	s_andn2_b64 exec, exec, s[6:7]
	s_cbranch_execz .LBB26_27
.LBB26_32:                              ;   Parent Loop BB26_29 Depth=1
                                        ; =>  This Inner Loop Header: Depth=2
	v_cmp_ne_u32_e32 vcc, s33, v10
	s_mov_b64 s[8:9], 0
	s_and_saveexec_b64 s[10:11], vcc
	s_xor_b64 s[10:11], exec, s[10:11]
	s_cbranch_execz .LBB26_34
; %bb.33:                               ;   in Loop: Header=BB26_32 Depth=2
	v_add_u32_e32 v5, 1, v5
	s_mov_b64 s[8:9], exec
	v_and_b32_e32 v5, 0x3ff, v5
                                        ; implicit-def: $vgpr9
	s_andn2_saveexec_b64 s[10:11], s[10:11]
	s_cbranch_execz .LBB26_36
	s_branch .LBB26_35
.LBB26_34:                              ;   in Loop: Header=BB26_32 Depth=2
	s_andn2_saveexec_b64 s[10:11], s[10:11]
	s_cbranch_execz .LBB26_36
.LBB26_35:                              ;   in Loop: Header=BB26_32 Depth=2
	v_mov_b32_e32 v10, s33
	ds_cmpst_rtn_b32 v9, v9, v10, v8
	s_andn2_b64 s[8:9], s[8:9], exec
	s_waitcnt lgkmcnt(0)
	v_cmp_ne_u32_e32 vcc, s33, v9
	s_and_b64 s[12:13], vcc, exec
	s_or_b64 s[8:9], s[8:9], s[12:13]
.LBB26_36:                              ;   in Loop: Header=BB26_32 Depth=2
	s_or_b64 exec, exec, s[10:11]
	s_mov_b64 s[10:11], -1
                                        ; implicit-def: $vgpr9
                                        ; implicit-def: $vgpr10
	s_and_saveexec_b64 s[12:13], s[8:9]
	s_cbranch_execz .LBB26_31
; %bb.37:                               ;   in Loop: Header=BB26_32 Depth=2
	v_lshl_add_u32 v9, v5, 2, 0
	ds_read_b32 v10, v9
	s_waitcnt lgkmcnt(0)
	v_cmp_eq_u32_e32 vcc, v10, v8
	s_orn2_b64 s[10:11], vcc, exec
	s_branch .LBB26_31
.LBB26_38:
	s_or_b64 exec, exec, s[0:1]
.LBB26_39:
	s_waitcnt vmcnt(0)
	v_mbcnt_lo_u32_b32 v2, -1, 0
	v_mbcnt_hi_u32_b32 v2, -1, v2
	v_sub_u32_e32 v2, 63, v2
	s_movk_i32 s0, 0x1ff
	s_movk_i32 s6, 0x5f
	;; [unrolled: 1-line block ×14, first 2 shown]
	v_mov_b32_e32 v6, 0
	v_lshrrev_b64 v[2:3], v2, -1
	v_lshl_add_u32 v7, v16, 2, 0
	v_cmp_eq_u32_e64 s[0:1], s0, v0
	v_cmp_lt_u32_e64 s[2:3], 31, v0
	v_cmp_lt_u32_e64 s[4:5], 63, v0
	;; [unrolled: 1-line block ×15, first 2 shown]
	s_mov_b64 s[36:37], 0
	v_mov_b32_e32 v8, 0
	s_waitcnt lgkmcnt(0)
	s_barrier
	s_branch .LBB26_41
.LBB26_40:                              ;   in Loop: Header=BB26_41 Depth=1
	s_or_b64 exec, exec, s[38:39]
	s_waitcnt lgkmcnt(0)
	s_barrier
	ds_read_b32 v4, v6 offset:12348
	v_add_co_u32_e32 v14, vcc, 0x200, v14
	s_xor_b64 s[38:39], vcc, -1
	s_and_b64 s[38:39], exec, s[38:39]
	v_add_u32_e32 v1, 0x1000, v1
	s_waitcnt lgkmcnt(0)
	v_add_u32_e32 v8, v4, v8
	s_or_b64 s[36:37], s[38:39], s[36:37]
	v_add_u32_e32 v15, 0x800, v15
	s_andn2_b64 exec, exec, s[36:37]
	s_cbranch_execz .LBB26_75
.LBB26_41:                              ; =>This Inner Loop Header: Depth=1
	ds_read_b32 v9, v15
	ds_read_b64 v[4:5], v1
	s_waitcnt lgkmcnt(0)
	s_barrier
	v_cmp_gt_i32_e32 vcc, s33, v9
	s_bcnt1_i32_b64 s38, vcc
	s_nop 0
	v_and_b32_e32 v11, vcc_lo, v2
	v_and_b32_e32 v10, vcc_hi, v3
	v_bcnt_u32_b32 v11, v11, 0
	v_bcnt_u32_b32 v10, v10, v11
	v_mov_b32_e32 v11, s38
	ds_write_b32 v7, v11 offset:12288
	s_waitcnt lgkmcnt(0)
	s_barrier
	s_and_saveexec_b64 s[38:39], s[2:3]
	s_cbranch_execz .LBB26_58
; %bb.42:                               ;   in Loop: Header=BB26_41 Depth=1
	ds_read_b32 v11, v6 offset:12288
	s_waitcnt lgkmcnt(0)
	v_add_u32_e32 v10, v11, v10
	s_or_b64 exec, exec, s[38:39]
	s_and_saveexec_b64 s[38:39], s[4:5]
	s_cbranch_execnz .LBB26_59
.LBB26_43:                              ;   in Loop: Header=BB26_41 Depth=1
	s_or_b64 exec, exec, s[38:39]
	s_and_saveexec_b64 s[38:39], s[6:7]
	s_cbranch_execz .LBB26_60
.LBB26_44:                              ;   in Loop: Header=BB26_41 Depth=1
	ds_read_b32 v11, v6 offset:12296
	s_waitcnt lgkmcnt(0)
	v_add_u32_e32 v10, v11, v10
	s_or_b64 exec, exec, s[38:39]
	s_and_saveexec_b64 s[38:39], s[8:9]
	s_cbranch_execnz .LBB26_61
.LBB26_45:                              ;   in Loop: Header=BB26_41 Depth=1
	s_or_b64 exec, exec, s[38:39]
	s_and_saveexec_b64 s[38:39], s[10:11]
	s_cbranch_execz .LBB26_62
.LBB26_46:                              ;   in Loop: Header=BB26_41 Depth=1
	ds_read_b32 v11, v6 offset:12304
	s_waitcnt lgkmcnt(0)
	v_add_u32_e32 v10, v11, v10
	s_or_b64 exec, exec, s[38:39]
	s_and_saveexec_b64 s[38:39], s[12:13]
	s_cbranch_execnz .LBB26_63
.LBB26_47:                              ;   in Loop: Header=BB26_41 Depth=1
	s_or_b64 exec, exec, s[38:39]
	s_and_saveexec_b64 s[38:39], s[14:15]
	s_cbranch_execz .LBB26_64
.LBB26_48:                              ;   in Loop: Header=BB26_41 Depth=1
	ds_read_b32 v11, v6 offset:12312
	s_waitcnt lgkmcnt(0)
	v_add_u32_e32 v10, v11, v10
	s_or_b64 exec, exec, s[38:39]
	s_and_saveexec_b64 s[38:39], s[16:17]
	s_cbranch_execnz .LBB26_65
.LBB26_49:                              ;   in Loop: Header=BB26_41 Depth=1
	s_or_b64 exec, exec, s[38:39]
	s_and_saveexec_b64 s[38:39], s[18:19]
	s_cbranch_execz .LBB26_66
.LBB26_50:                              ;   in Loop: Header=BB26_41 Depth=1
	ds_read_b32 v11, v6 offset:12320
	s_waitcnt lgkmcnt(0)
	v_add_u32_e32 v10, v11, v10
	s_or_b64 exec, exec, s[38:39]
	s_and_saveexec_b64 s[38:39], s[20:21]
	s_cbranch_execnz .LBB26_67
.LBB26_51:                              ;   in Loop: Header=BB26_41 Depth=1
	s_or_b64 exec, exec, s[38:39]
	s_and_saveexec_b64 s[38:39], s[22:23]
	s_cbranch_execz .LBB26_68
.LBB26_52:                              ;   in Loop: Header=BB26_41 Depth=1
	ds_read_b32 v11, v6 offset:12328
	s_waitcnt lgkmcnt(0)
	v_add_u32_e32 v10, v11, v10
	s_or_b64 exec, exec, s[38:39]
	s_and_saveexec_b64 s[38:39], s[24:25]
	s_cbranch_execnz .LBB26_69
.LBB26_53:                              ;   in Loop: Header=BB26_41 Depth=1
	s_or_b64 exec, exec, s[38:39]
	s_and_saveexec_b64 s[38:39], s[26:27]
	s_cbranch_execz .LBB26_70
.LBB26_54:                              ;   in Loop: Header=BB26_41 Depth=1
	ds_read_b32 v11, v6 offset:12336
	s_waitcnt lgkmcnt(0)
	v_add_u32_e32 v10, v11, v10
	s_or_b64 exec, exec, s[38:39]
	s_and_saveexec_b64 s[38:39], s[28:29]
	s_cbranch_execnz .LBB26_71
.LBB26_55:                              ;   in Loop: Header=BB26_41 Depth=1
	s_or_b64 exec, exec, s[38:39]
	s_and_saveexec_b64 s[38:39], s[30:31]
	s_cbranch_execz .LBB26_72
.LBB26_56:                              ;   in Loop: Header=BB26_41 Depth=1
	ds_read_b32 v11, v6 offset:12344
	s_waitcnt lgkmcnt(0)
	v_add_u32_e32 v10, v11, v10
	s_or_b64 exec, exec, s[38:39]
	s_and_saveexec_b64 s[38:39], vcc
	s_cbranch_execnz .LBB26_73
.LBB26_57:                              ;   in Loop: Header=BB26_41 Depth=1
	s_or_b64 exec, exec, s[38:39]
	s_and_saveexec_b64 s[38:39], s[0:1]
	s_cbranch_execz .LBB26_40
	s_branch .LBB26_74
.LBB26_58:                              ;   in Loop: Header=BB26_41 Depth=1
	s_or_b64 exec, exec, s[38:39]
	s_and_saveexec_b64 s[38:39], s[4:5]
	s_cbranch_execz .LBB26_43
.LBB26_59:                              ;   in Loop: Header=BB26_41 Depth=1
	ds_read_b32 v11, v6 offset:12292
	s_waitcnt lgkmcnt(0)
	v_add_u32_e32 v10, v11, v10
	s_or_b64 exec, exec, s[38:39]
	s_and_saveexec_b64 s[38:39], s[6:7]
	s_cbranch_execnz .LBB26_44
.LBB26_60:                              ;   in Loop: Header=BB26_41 Depth=1
	s_or_b64 exec, exec, s[38:39]
	s_and_saveexec_b64 s[38:39], s[8:9]
	s_cbranch_execz .LBB26_45
.LBB26_61:                              ;   in Loop: Header=BB26_41 Depth=1
	ds_read_b32 v11, v6 offset:12300
	s_waitcnt lgkmcnt(0)
	v_add_u32_e32 v10, v11, v10
	s_or_b64 exec, exec, s[38:39]
	s_and_saveexec_b64 s[38:39], s[10:11]
	s_cbranch_execnz .LBB26_46
.LBB26_62:                              ;   in Loop: Header=BB26_41 Depth=1
	s_or_b64 exec, exec, s[38:39]
	s_and_saveexec_b64 s[38:39], s[12:13]
	s_cbranch_execz .LBB26_47
.LBB26_63:                              ;   in Loop: Header=BB26_41 Depth=1
	ds_read_b32 v11, v6 offset:12308
	s_waitcnt lgkmcnt(0)
	v_add_u32_e32 v10, v11, v10
	s_or_b64 exec, exec, s[38:39]
	s_and_saveexec_b64 s[38:39], s[14:15]
	s_cbranch_execnz .LBB26_48
.LBB26_64:                              ;   in Loop: Header=BB26_41 Depth=1
	s_or_b64 exec, exec, s[38:39]
	s_and_saveexec_b64 s[38:39], s[16:17]
	s_cbranch_execz .LBB26_49
.LBB26_65:                              ;   in Loop: Header=BB26_41 Depth=1
	ds_read_b32 v11, v6 offset:12316
	s_waitcnt lgkmcnt(0)
	v_add_u32_e32 v10, v11, v10
	s_or_b64 exec, exec, s[38:39]
	s_and_saveexec_b64 s[38:39], s[18:19]
	s_cbranch_execnz .LBB26_50
.LBB26_66:                              ;   in Loop: Header=BB26_41 Depth=1
	s_or_b64 exec, exec, s[38:39]
	s_and_saveexec_b64 s[38:39], s[20:21]
	s_cbranch_execz .LBB26_51
.LBB26_67:                              ;   in Loop: Header=BB26_41 Depth=1
	ds_read_b32 v11, v6 offset:12324
	s_waitcnt lgkmcnt(0)
	v_add_u32_e32 v10, v11, v10
	s_or_b64 exec, exec, s[38:39]
	s_and_saveexec_b64 s[38:39], s[22:23]
	s_cbranch_execnz .LBB26_52
.LBB26_68:                              ;   in Loop: Header=BB26_41 Depth=1
	s_or_b64 exec, exec, s[38:39]
	s_and_saveexec_b64 s[38:39], s[24:25]
	s_cbranch_execz .LBB26_53
.LBB26_69:                              ;   in Loop: Header=BB26_41 Depth=1
	ds_read_b32 v11, v6 offset:12332
	s_waitcnt lgkmcnt(0)
	v_add_u32_e32 v10, v11, v10
	s_or_b64 exec, exec, s[38:39]
	s_and_saveexec_b64 s[38:39], s[26:27]
	s_cbranch_execnz .LBB26_54
.LBB26_70:                              ;   in Loop: Header=BB26_41 Depth=1
	s_or_b64 exec, exec, s[38:39]
	s_and_saveexec_b64 s[38:39], s[28:29]
	s_cbranch_execz .LBB26_55
.LBB26_71:                              ;   in Loop: Header=BB26_41 Depth=1
	ds_read_b32 v11, v6 offset:12340
	s_waitcnt lgkmcnt(0)
	v_add_u32_e32 v10, v11, v10
	s_or_b64 exec, exec, s[38:39]
	s_and_saveexec_b64 s[38:39], s[30:31]
	s_cbranch_execnz .LBB26_56
.LBB26_72:                              ;   in Loop: Header=BB26_41 Depth=1
	s_or_b64 exec, exec, s[38:39]
	s_and_saveexec_b64 s[38:39], vcc
	s_cbranch_execz .LBB26_57
.LBB26_73:                              ;   in Loop: Header=BB26_41 Depth=1
	v_add3_u32 v11, v8, -1, v10
	v_lshl_add_u32 v11, v11, 2, 0
	v_add_u32_e32 v12, v8, v10
	v_lshl_add_u32 v12, v12, 3, 0
	ds_write_b32 v11, v9
	ds_write_b64 v12, v[4:5] offset:4088
	s_or_b64 exec, exec, s[38:39]
	s_and_saveexec_b64 s[38:39], s[0:1]
	s_cbranch_execz .LBB26_40
.LBB26_74:                              ;   in Loop: Header=BB26_41 Depth=1
	ds_write_b32 v6, v10 offset:12348
	s_branch .LBB26_40
.LBB26_75:
	s_or_b64 exec, exec, s[36:37]
	s_ashr_i32 s49, s48, 31
	s_lshl_b64 s[0:1], s[48:49], 2
	s_add_u32 s2, s42, s0
	s_addc_u32 s3, s43, s1
	s_load_dwordx2 s[0:1], s[2:3], 0x0
	s_waitcnt lgkmcnt(0)
	s_sub_i32 s14, s1, s0
	v_cmp_gt_i32_e32 vcc, s14, v0
	s_and_saveexec_b64 s[2:3], vcc
	s_cbranch_execz .LBB26_89
; %bb.76:
	s_sub_i32 s8, s0, s46
	v_sub_co_u32_e64 v1, s[0:1], s14, 2
	s_nop 0
	v_readfirstlane_b32 s2, v1
	s_lshr_b32 s2, s2, 1
	s_add_i32 s2, s2, 1
	s_xor_b64 s[0:1], s[0:1], -1
	s_and_b32 s15, s14, -2
	s_and_b32 s3, s2, 7
	s_and_b32 s16, s2, -8
	s_cmp_lg_u32 s3, 0
	v_cmp_lt_u32_e32 vcc, 13, v1
	s_cselect_b64 s[4:5], -1, 0
	s_cmp_lg_u32 s14, s15
	v_cndmask_b32_e64 v1, 0, 1, vcc
	s_cselect_b64 s[10:11], -1, 0
	s_lshl_b32 s17, s3, 3
	v_cndmask_b32_e64 v2, 0, 1, s[0:1]
	v_cmp_ne_u32_e64 s[2:3], 1, v1
	v_cndmask_b32_e64 v1, 0, 1, s[4:5]
	s_mov_b32 s9, 0
	s_mov_b64 s[12:13], 0
	v_cmp_ne_u32_e64 s[0:1], 1, v2
	v_cmp_ne_u32_e64 s[4:5], 1, v1
	s_branch .LBB26_78
.LBB26_77:                              ;   in Loop: Header=BB26_78 Depth=1
	v_add_u32_e32 v0, 0x200, v0
	v_ashrrev_i32_e32 v5, 31, v4
	v_cmp_le_i32_e32 vcc, s14, v0
	v_lshl_add_u64 v[4:5], v[4:5], 3, s[34:35]
	s_or_b64 s[12:13], vcc, s[12:13]
	s_waitcnt lgkmcnt(0)
	global_store_dwordx2 v[4:5], v[2:3], off
	s_andn2_b64 exec, exec, s[12:13]
	s_cbranch_execz .LBB26_89
.LBB26_78:                              ; =>This Loop Header: Depth=1
                                        ;     Child Loop BB26_81 Depth 2
                                        ;     Child Loop BB26_84 Depth 2
	;; [unrolled: 1-line block ×3, first 2 shown]
	v_lshlrev_b32_e32 v1, 2, v0
	v_add_u32_e32 v2, 0, v1
	v_add_u32_e32 v3, v2, v1
	ds_read_b32 v1, v2
	ds_read_b64 v[2:3], v3 offset:4096
	s_and_b64 vcc, exec, s[0:1]
	v_mov_b32_e32 v4, s8
	s_mov_b32 s18, 0
	s_mov_b64 s[6:7], -1
	s_cbranch_vccnz .LBB26_86
; %bb.79:                               ;   in Loop: Header=BB26_78 Depth=1
	s_and_b64 vcc, exec, s[2:3]
	v_mov_b64_e32 v[4:5], s[8:9]
	s_cbranch_vccnz .LBB26_82
; %bb.80:                               ;   in Loop: Header=BB26_78 Depth=1
	s_mov_b32 s19, 0
	v_mov_b32_e32 v4, s8
	v_mov_b32_e32 v5, 0
	s_mov_b32 s20, s16
.LBB26_81:                              ;   Parent Loop BB26_78 Depth=1
                                        ; =>  This Inner Loop Header: Depth=2
	v_mov_b32_e32 v20, s19
	ds_read2_b32 v[6:7], v20 offset1:1
	ds_read2_b32 v[8:9], v20 offset0:2 offset1:3
	ds_read2_b32 v[10:11], v20 offset0:4 offset1:5
	;; [unrolled: 1-line block ×7, first 2 shown]
	s_waitcnt lgkmcnt(7)
	v_cmp_gt_i32_e32 vcc, v1, v7
	s_waitcnt lgkmcnt(5)
	v_cmp_gt_i32_e64 s[6:7], v1, v10
	s_add_i32 s18, s18, 16
	v_cndmask_b32_e64 v7, 0, 1, vcc
	v_cmp_gt_i32_e32 vcc, v1, v6
	s_add_i32 s19, s19, 64
	s_add_i32 s20, s20, -8
	v_cndmask_b32_e64 v6, 0, 1, vcc
	v_cmp_gt_i32_e32 vcc, v1, v9
	v_cndmask_b32_e64 v9, 0, 1, s[6:7]
	v_cmp_gt_i32_e64 s[6:7], v1, v11
	v_addc_co_u32_e32 v5, vcc, v5, v7, vcc
	s_nop 0
	v_cndmask_b32_e64 v10, 0, 1, s[6:7]
	s_waitcnt lgkmcnt(3)
	v_cmp_gt_i32_e64 s[6:7], v1, v15
	v_cmp_gt_i32_e32 vcc, v1, v12
	s_cmp_lg_u32 s20, 0
	v_cndmask_b32_e64 v11, 0, 1, s[6:7]
	v_cmp_gt_i32_e64 s[6:7], v1, v14
	s_nop 1
	v_cndmask_b32_e64 v14, 0, 1, s[6:7]
	s_waitcnt lgkmcnt(1)
	v_cmp_gt_i32_e64 s[6:7], v1, v18
	s_nop 1
	v_cndmask_b32_e64 v15, 0, 1, s[6:7]
	v_cmp_gt_i32_e64 s[6:7], v1, v19
	s_nop 1
	v_cndmask_b32_e64 v18, 0, 1, s[6:7]
	v_cmp_gt_i32_e64 s[6:7], v1, v8
	s_nop 1
	v_addc_co_u32_e64 v4, s[6:7], v4, v6, s[6:7]
	v_cmp_gt_i32_e64 s[6:7], v1, v13
	v_addc_co_u32_e32 v4, vcc, v4, v9, vcc
	s_nop 0
	v_addc_co_u32_e64 v5, s[6:7], v5, v10, s[6:7]
	v_cmp_gt_i32_e32 vcc, v1, v17
	v_cmp_gt_i32_e64 s[6:7], v1, v16
	s_nop 0
	v_addc_co_u32_e32 v5, vcc, v5, v11, vcc
	v_addc_co_u32_e64 v4, s[6:7], v4, v14, s[6:7]
	s_waitcnt lgkmcnt(0)
	v_cmp_gt_i32_e32 vcc, v1, v20
	v_cmp_gt_i32_e64 s[6:7], v1, v21
	s_nop 0
	v_addc_co_u32_e32 v4, vcc, v4, v15, vcc
	v_addc_co_u32_e64 v5, s[6:7], v5, v18, s[6:7]
	s_cbranch_scc1 .LBB26_81
.LBB26_82:                              ;   in Loop: Header=BB26_78 Depth=1
	s_and_b64 vcc, exec, s[4:5]
	s_cbranch_vccnz .LBB26_85
; %bb.83:                               ;   in Loop: Header=BB26_78 Depth=1
	s_lshl_b32 s6, s18, 2
	s_add_i32 s6, s6, 0
	s_mov_b32 s7, s17
.LBB26_84:                              ;   Parent Loop BB26_78 Depth=1
                                        ; =>  This Inner Loop Header: Depth=2
	v_mov_b32_e32 v6, s6
	ds_read2_b32 v[6:7], v6 offset1:1
	s_add_i32 s6, s6, 8
	s_add_i32 s7, s7, -8
	s_cmp_lg_u32 s7, 0
	s_waitcnt lgkmcnt(0)
	v_cmp_gt_i32_e32 vcc, v1, v7
	s_nop 1
	v_addc_co_u32_e32 v5, vcc, 0, v5, vcc
	v_cmp_gt_i32_e32 vcc, v1, v6
	s_nop 1
	v_addc_co_u32_e32 v4, vcc, 0, v4, vcc
	s_cbranch_scc1 .LBB26_84
.LBB26_85:                              ;   in Loop: Header=BB26_78 Depth=1
	v_add_u32_e32 v4, v4, v5
	s_mov_b32 s18, s15
	s_mov_b64 s[6:7], s[10:11]
.LBB26_86:                              ;   in Loop: Header=BB26_78 Depth=1
	s_and_b64 vcc, exec, s[6:7]
	s_cbranch_vccz .LBB26_77
; %bb.87:                               ;   in Loop: Header=BB26_78 Depth=1
	s_lshl_b32 s6, s18, 2
	s_add_i32 s6, s6, 0
.LBB26_88:                              ;   Parent Loop BB26_78 Depth=1
                                        ; =>  This Inner Loop Header: Depth=2
	v_mov_b32_e32 v5, s6
	ds_read_b32 v5, v5
	s_add_i32 s18, s18, 1
	s_add_i32 s6, s6, 4
	s_cmp_ge_i32 s18, s14
	s_waitcnt lgkmcnt(0)
	v_cmp_gt_i32_e32 vcc, v1, v5
	s_nop 1
	v_addc_co_u32_e32 v4, vcc, 0, v4, vcc
	s_cbranch_scc0 .LBB26_88
	s_branch .LBB26_77
.LBB26_89:
	s_endpgm
	.section	.rodata,"a",@progbits
	.p2align	6, 0x0
	.amdhsa_kernel _ZN9rocsparseL41csrgemm_numeric_fill_block_per_row_kernelILj512ELj32ELj1024ELj137ELj32EiidEEvT5_PKS1_S3_NS_24const_host_device_scalarIT6_EEPKT4_S3_PKS5_S9_S3_SB_S6_S9_S3_SB_S9_S3_PS5_21rocsparse_index_base_SD_SD_SD_bbb
		.amdhsa_group_segment_fixed_size 0
		.amdhsa_private_segment_fixed_size 0
		.amdhsa_kernarg_size 156
		.amdhsa_user_sgpr_count 2
		.amdhsa_user_sgpr_dispatch_ptr 0
		.amdhsa_user_sgpr_queue_ptr 0
		.amdhsa_user_sgpr_kernarg_segment_ptr 1
		.amdhsa_user_sgpr_dispatch_id 0
		.amdhsa_user_sgpr_kernarg_preload_length 0
		.amdhsa_user_sgpr_kernarg_preload_offset 0
		.amdhsa_user_sgpr_private_segment_size 0
		.amdhsa_uses_dynamic_stack 0
		.amdhsa_enable_private_segment 0
		.amdhsa_system_sgpr_workgroup_id_x 1
		.amdhsa_system_sgpr_workgroup_id_y 0
		.amdhsa_system_sgpr_workgroup_id_z 0
		.amdhsa_system_sgpr_workgroup_info 0
		.amdhsa_system_vgpr_workitem_id 0
		.amdhsa_next_free_vgpr 22
		.amdhsa_next_free_sgpr 50
		.amdhsa_accum_offset 24
		.amdhsa_reserve_vcc 1
		.amdhsa_float_round_mode_32 0
		.amdhsa_float_round_mode_16_64 0
		.amdhsa_float_denorm_mode_32 3
		.amdhsa_float_denorm_mode_16_64 3
		.amdhsa_dx10_clamp 1
		.amdhsa_ieee_mode 1
		.amdhsa_fp16_overflow 0
		.amdhsa_tg_split 0
		.amdhsa_exception_fp_ieee_invalid_op 0
		.amdhsa_exception_fp_denorm_src 0
		.amdhsa_exception_fp_ieee_div_zero 0
		.amdhsa_exception_fp_ieee_overflow 0
		.amdhsa_exception_fp_ieee_underflow 0
		.amdhsa_exception_fp_ieee_inexact 0
		.amdhsa_exception_int_div_zero 0
	.end_amdhsa_kernel
	.section	.text._ZN9rocsparseL41csrgemm_numeric_fill_block_per_row_kernelILj512ELj32ELj1024ELj137ELj32EiidEEvT5_PKS1_S3_NS_24const_host_device_scalarIT6_EEPKT4_S3_PKS5_S9_S3_SB_S6_S9_S3_SB_S9_S3_PS5_21rocsparse_index_base_SD_SD_SD_bbb,"axG",@progbits,_ZN9rocsparseL41csrgemm_numeric_fill_block_per_row_kernelILj512ELj32ELj1024ELj137ELj32EiidEEvT5_PKS1_S3_NS_24const_host_device_scalarIT6_EEPKT4_S3_PKS5_S9_S3_SB_S6_S9_S3_SB_S9_S3_PS5_21rocsparse_index_base_SD_SD_SD_bbb,comdat
.Lfunc_end26:
	.size	_ZN9rocsparseL41csrgemm_numeric_fill_block_per_row_kernelILj512ELj32ELj1024ELj137ELj32EiidEEvT5_PKS1_S3_NS_24const_host_device_scalarIT6_EEPKT4_S3_PKS5_S9_S3_SB_S6_S9_S3_SB_S9_S3_PS5_21rocsparse_index_base_SD_SD_SD_bbb, .Lfunc_end26-_ZN9rocsparseL41csrgemm_numeric_fill_block_per_row_kernelILj512ELj32ELj1024ELj137ELj32EiidEEvT5_PKS1_S3_NS_24const_host_device_scalarIT6_EEPKT4_S3_PKS5_S9_S3_SB_S6_S9_S3_SB_S9_S3_PS5_21rocsparse_index_base_SD_SD_SD_bbb
                                        ; -- End function
	.set _ZN9rocsparseL41csrgemm_numeric_fill_block_per_row_kernelILj512ELj32ELj1024ELj137ELj32EiidEEvT5_PKS1_S3_NS_24const_host_device_scalarIT6_EEPKT4_S3_PKS5_S9_S3_SB_S6_S9_S3_SB_S9_S3_PS5_21rocsparse_index_base_SD_SD_SD_bbb.num_vgpr, 22
	.set _ZN9rocsparseL41csrgemm_numeric_fill_block_per_row_kernelILj512ELj32ELj1024ELj137ELj32EiidEEvT5_PKS1_S3_NS_24const_host_device_scalarIT6_EEPKT4_S3_PKS5_S9_S3_SB_S6_S9_S3_SB_S9_S3_PS5_21rocsparse_index_base_SD_SD_SD_bbb.num_agpr, 0
	.set _ZN9rocsparseL41csrgemm_numeric_fill_block_per_row_kernelILj512ELj32ELj1024ELj137ELj32EiidEEvT5_PKS1_S3_NS_24const_host_device_scalarIT6_EEPKT4_S3_PKS5_S9_S3_SB_S6_S9_S3_SB_S9_S3_PS5_21rocsparse_index_base_SD_SD_SD_bbb.numbered_sgpr, 50
	.set _ZN9rocsparseL41csrgemm_numeric_fill_block_per_row_kernelILj512ELj32ELj1024ELj137ELj32EiidEEvT5_PKS1_S3_NS_24const_host_device_scalarIT6_EEPKT4_S3_PKS5_S9_S3_SB_S6_S9_S3_SB_S9_S3_PS5_21rocsparse_index_base_SD_SD_SD_bbb.num_named_barrier, 0
	.set _ZN9rocsparseL41csrgemm_numeric_fill_block_per_row_kernelILj512ELj32ELj1024ELj137ELj32EiidEEvT5_PKS1_S3_NS_24const_host_device_scalarIT6_EEPKT4_S3_PKS5_S9_S3_SB_S6_S9_S3_SB_S9_S3_PS5_21rocsparse_index_base_SD_SD_SD_bbb.private_seg_size, 0
	.set _ZN9rocsparseL41csrgemm_numeric_fill_block_per_row_kernelILj512ELj32ELj1024ELj137ELj32EiidEEvT5_PKS1_S3_NS_24const_host_device_scalarIT6_EEPKT4_S3_PKS5_S9_S3_SB_S6_S9_S3_SB_S9_S3_PS5_21rocsparse_index_base_SD_SD_SD_bbb.uses_vcc, 1
	.set _ZN9rocsparseL41csrgemm_numeric_fill_block_per_row_kernelILj512ELj32ELj1024ELj137ELj32EiidEEvT5_PKS1_S3_NS_24const_host_device_scalarIT6_EEPKT4_S3_PKS5_S9_S3_SB_S6_S9_S3_SB_S9_S3_PS5_21rocsparse_index_base_SD_SD_SD_bbb.uses_flat_scratch, 0
	.set _ZN9rocsparseL41csrgemm_numeric_fill_block_per_row_kernelILj512ELj32ELj1024ELj137ELj32EiidEEvT5_PKS1_S3_NS_24const_host_device_scalarIT6_EEPKT4_S3_PKS5_S9_S3_SB_S6_S9_S3_SB_S9_S3_PS5_21rocsparse_index_base_SD_SD_SD_bbb.has_dyn_sized_stack, 0
	.set _ZN9rocsparseL41csrgemm_numeric_fill_block_per_row_kernelILj512ELj32ELj1024ELj137ELj32EiidEEvT5_PKS1_S3_NS_24const_host_device_scalarIT6_EEPKT4_S3_PKS5_S9_S3_SB_S6_S9_S3_SB_S9_S3_PS5_21rocsparse_index_base_SD_SD_SD_bbb.has_recursion, 0
	.set _ZN9rocsparseL41csrgemm_numeric_fill_block_per_row_kernelILj512ELj32ELj1024ELj137ELj32EiidEEvT5_PKS1_S3_NS_24const_host_device_scalarIT6_EEPKT4_S3_PKS5_S9_S3_SB_S6_S9_S3_SB_S9_S3_PS5_21rocsparse_index_base_SD_SD_SD_bbb.has_indirect_call, 0
	.section	.AMDGPU.csdata,"",@progbits
; Kernel info:
; codeLenInByte = 3212
; TotalNumSgprs: 56
; NumVgprs: 22
; NumAgprs: 0
; TotalNumVgprs: 22
; ScratchSize: 0
; MemoryBound: 0
; FloatMode: 240
; IeeeMode: 1
; LDSByteSize: 0 bytes/workgroup (compile time only)
; SGPRBlocks: 6
; VGPRBlocks: 2
; NumSGPRsForWavesPerEU: 56
; NumVGPRsForWavesPerEU: 22
; AccumOffset: 24
; Occupancy: 8
; WaveLimiterHint : 1
; COMPUTE_PGM_RSRC2:SCRATCH_EN: 0
; COMPUTE_PGM_RSRC2:USER_SGPR: 2
; COMPUTE_PGM_RSRC2:TRAP_HANDLER: 0
; COMPUTE_PGM_RSRC2:TGID_X_EN: 1
; COMPUTE_PGM_RSRC2:TGID_Y_EN: 0
; COMPUTE_PGM_RSRC2:TGID_Z_EN: 0
; COMPUTE_PGM_RSRC2:TIDIG_COMP_CNT: 0
; COMPUTE_PGM_RSRC3_GFX90A:ACCUM_OFFSET: 5
; COMPUTE_PGM_RSRC3_GFX90A:TG_SPLIT: 0
	.section	.text._ZN9rocsparseL41csrgemm_numeric_fill_block_per_row_kernelILj512ELj32ELj1024ELj137ELj64EiidEEvT5_PKS1_S3_NS_24const_host_device_scalarIT6_EEPKT4_S3_PKS5_S9_S3_SB_S6_S9_S3_SB_S9_S3_PS5_21rocsparse_index_base_SD_SD_SD_bbb,"axG",@progbits,_ZN9rocsparseL41csrgemm_numeric_fill_block_per_row_kernelILj512ELj32ELj1024ELj137ELj64EiidEEvT5_PKS1_S3_NS_24const_host_device_scalarIT6_EEPKT4_S3_PKS5_S9_S3_SB_S6_S9_S3_SB_S9_S3_PS5_21rocsparse_index_base_SD_SD_SD_bbb,comdat
	.globl	_ZN9rocsparseL41csrgemm_numeric_fill_block_per_row_kernelILj512ELj32ELj1024ELj137ELj64EiidEEvT5_PKS1_S3_NS_24const_host_device_scalarIT6_EEPKT4_S3_PKS5_S9_S3_SB_S6_S9_S3_SB_S9_S3_PS5_21rocsparse_index_base_SD_SD_SD_bbb ; -- Begin function _ZN9rocsparseL41csrgemm_numeric_fill_block_per_row_kernelILj512ELj32ELj1024ELj137ELj64EiidEEvT5_PKS1_S3_NS_24const_host_device_scalarIT6_EEPKT4_S3_PKS5_S9_S3_SB_S6_S9_S3_SB_S9_S3_PS5_21rocsparse_index_base_SD_SD_SD_bbb
	.p2align	8
	.type	_ZN9rocsparseL41csrgemm_numeric_fill_block_per_row_kernelILj512ELj32ELj1024ELj137ELj64EiidEEvT5_PKS1_S3_NS_24const_host_device_scalarIT6_EEPKT4_S3_PKS5_S9_S3_SB_S6_S9_S3_SB_S9_S3_PS5_21rocsparse_index_base_SD_SD_SD_bbb,@function
_ZN9rocsparseL41csrgemm_numeric_fill_block_per_row_kernelILj512ELj32ELj1024ELj137ELj64EiidEEvT5_PKS1_S3_NS_24const_host_device_scalarIT6_EEPKT4_S3_PKS5_S9_S3_SB_S6_S9_S3_SB_S9_S3_PS5_21rocsparse_index_base_SD_SD_SD_bbb: ; @_ZN9rocsparseL41csrgemm_numeric_fill_block_per_row_kernelILj512ELj32ELj1024ELj137ELj64EiidEEvT5_PKS1_S3_NS_24const_host_device_scalarIT6_EEPKT4_S3_PKS5_S9_S3_SB_S6_S9_S3_SB_S9_S3_PS5_21rocsparse_index_base_SD_SD_SD_bbb
; %bb.0:
	s_load_dword s3, s[0:1], 0x98
	s_load_dwordx4 s[20:23], s[0:1], 0x88
	s_load_dwordx2 s[4:5], s[0:1], 0x18
	s_load_dwordx2 s[40:41], s[0:1], 0x50
	s_waitcnt lgkmcnt(0)
	s_bitcmp1_b32 s3, 0
	s_cselect_b64 s[38:39], -1, 0
	s_bitcmp1_b32 s3, 16
	s_cselect_b64 s[42:43], -1, 0
	s_xor_b64 s[6:7], s[38:39], -1
	s_or_b64 s[6:7], s[42:43], s[6:7]
	s_and_b64 s[8:9], s[38:39], exec
	s_cselect_b32 s9, s5, 0
	s_cselect_b32 s8, s4, 0
	s_and_b64 vcc, exec, s[6:7]
	v_mov_b64_e32 v[4:5], s[8:9]
	s_cbranch_vccnz .LBB27_2
; %bb.1:
	v_mov_b64_e32 v[2:3], s[4:5]
	flat_load_dwordx2 v[4:5], v[2:3]
.LBB27_2:
	s_load_dwordx2 s[34:35], s[0:1], 0x80
	s_load_dwordx8 s[12:19], s[0:1], 0x58
	s_load_dwordx4 s[24:27], s[0:1], 0x40
	s_load_dwordx4 s[28:31], s[0:1], 0x8
	s_load_dwordx8 s[4:11], s[0:1], 0x20
	s_bitcmp1_b32 s3, 8
	s_cselect_b64 s[36:37], -1, 0
	s_xor_b64 s[44:45], s[36:37], -1
	s_or_b64 s[42:43], s[42:43], s[44:45]
	s_and_b64 s[44:45], s[36:37], exec
	s_cselect_b32 s45, s41, 0
	s_cselect_b32 s44, s40, 0
	s_and_b64 vcc, exec, s[42:43]
	v_mov_b64_e32 v[2:3], s[44:45]
	s_cbranch_vccnz .LBB27_4
; %bb.3:
	v_mov_b64_e32 v[2:3], s[40:41]
	flat_load_dwordx2 v[2:3], v[2:3]
.LBB27_4:
	s_load_dword s33, s[0:1], 0x0
	v_lshl_add_u32 v1, v0, 3, 0
	v_mov_b32_e32 v6, 0
	v_add_u32_e32 v1, 0x1000, v1
	v_or_b32_e32 v14, 0xfffffe00, v0
	v_lshl_add_u32 v15, v0, 2, 0
	s_mov_b64 s[0:1], 0
	s_waitcnt lgkmcnt(0)
	v_mov_b32_e32 v11, s33
	v_mov_b32_e32 v7, v6
	;; [unrolled: 1-line block ×5, first 2 shown]
.LBB27_5:                               ; =>This Inner Loop Header: Depth=1
	v_add_co_u32_e32 v9, vcc, 0x200, v9
	s_xor_b64 s[40:41], vcc, -1
	s_and_b64 s[40:41], exec, s[40:41]
	ds_write_b32 v8, v11
	ds_write_b64 v10, v[6:7]
	v_add_u32_e32 v10, 0x1000, v10
	s_or_b64 s[0:1], s[40:41], s[0:1]
	v_add_u32_e32 v8, 0x800, v8
	s_andn2_b64 exec, exec, s[0:1]
	s_cbranch_execnz .LBB27_5
; %bb.6:
	s_or_b64 exec, exec, s[0:1]
	s_waitcnt lgkmcnt(0)
	s_barrier
	s_load_dword s0, s[28:29], 0x0
	s_mov_b32 s1, 0
	s_waitcnt lgkmcnt(0)
	s_add_i32 s0, s0, s2
	s_lshl_b64 s[0:1], s[0:1], 2
	s_add_u32 s0, s30, s0
	s_addc_u32 s1, s31, s1
	s_load_dword s28, s[0:1], 0x0
	s_and_b64 vcc, exec, s[38:39]
	s_cbranch_vccz .LBB27_24
; %bb.7:
	s_waitcnt lgkmcnt(0)
	s_ashr_i32 s29, s28, 31
	s_lshl_b64 s[0:1], s[28:29], 2
	s_add_u32 s0, s4, s0
	s_addc_u32 s1, s5, s1
	s_load_dwordx2 s[2:3], s[0:1], 0x0
	v_lshrrev_b32_e32 v6, 5, v0
	v_subrev_u32_e32 v6, s20, v6
	s_waitcnt lgkmcnt(0)
	s_sub_i32 s29, s3, s20
	v_add_u32_e32 v6, s2, v6
	v_cmp_gt_i32_e32 vcc, s29, v6
	s_and_saveexec_b64 s[0:1], vcc
	s_cbranch_execz .LBB27_23
; %bb.8:
	v_and_b32_e32 v7, 31, v0
	v_subrev_u32_e32 v16, s21, v7
	s_mov_b64 s[2:3], 0
	s_movk_i32 s48, 0x89
	s_branch .LBB27_10
.LBB27_9:                               ;   in Loop: Header=BB27_10 Depth=1
	s_or_b64 exec, exec, s[4:5]
	v_add_u32_e32 v6, 16, v6
	v_cmp_le_i32_e32 vcc, s29, v6
	s_or_b64 s[2:3], vcc, s[2:3]
	s_andn2_b64 exec, exec, s[2:3]
	s_cbranch_execz .LBB27_23
.LBB27_10:                              ; =>This Loop Header: Depth=1
                                        ;     Child Loop BB27_14 Depth 2
                                        ;       Child Loop BB27_17 Depth 3
	v_ashrrev_i32_e32 v7, 31, v6
	v_lshl_add_u64 v[8:9], v[6:7], 2, s[6:7]
	global_load_dword v8, v[8:9], off
	s_waitcnt vmcnt(0)
	v_subrev_u32_e32 v8, s20, v8
	v_ashrrev_i32_e32 v9, 31, v8
	v_lshl_add_u64 v[8:9], v[8:9], 2, s[10:11]
	global_load_dwordx2 v[8:9], v[8:9], off
	s_waitcnt vmcnt(0)
	v_subrev_u32_e32 v17, s21, v9
	v_add_u32_e32 v8, v8, v16
	v_cmp_lt_i32_e32 vcc, v8, v17
	s_and_saveexec_b64 s[4:5], vcc
	s_cbranch_execz .LBB27_9
; %bb.11:                               ;   in Loop: Header=BB27_10 Depth=1
	v_lshl_add_u64 v[10:11], v[6:7], 3, s[8:9]
	global_load_dwordx2 v[10:11], v[10:11], off
	s_mov_b64 s[30:31], 0
	s_waitcnt vmcnt(0)
	v_mul_f64 v[10:11], v[4:5], v[10:11]
	s_branch .LBB27_14
.LBB27_12:                              ;   in Loop: Header=BB27_14 Depth=2
	s_or_b64 exec, exec, s[40:41]
.LBB27_13:                              ;   in Loop: Header=BB27_14 Depth=2
	s_or_b64 exec, exec, s[38:39]
	s_waitcnt vmcnt(0)
	v_mul_f64 v[12:13], v[10:11], v[12:13]
	v_lshl_add_u32 v7, v7, 3, 0
	ds_add_f64 v7, v[12:13] offset:4096
	v_add_u32_e32 v8, 32, v8
	v_cmp_ge_i32_e32 vcc, v8, v17
	s_or_b64 s[30:31], vcc, s[30:31]
	s_andn2_b64 exec, exec, s[30:31]
	s_cbranch_execz .LBB27_9
.LBB27_14:                              ;   Parent Loop BB27_10 Depth=1
                                        ; =>  This Loop Header: Depth=2
                                        ;       Child Loop BB27_17 Depth 3
	v_ashrrev_i32_e32 v9, 31, v8
	v_lshl_add_u64 v[12:13], v[8:9], 2, s[24:25]
	global_load_dword v7, v[12:13], off
	v_lshl_add_u64 v[12:13], v[8:9], 3, s[26:27]
	global_load_dwordx2 v[12:13], v[12:13], off
	s_waitcnt vmcnt(1)
	v_subrev_u32_e32 v9, s21, v7
	v_mul_lo_u32 v7, v9, s48
	v_and_b32_e32 v7, 0x3ff, v7
	v_lshl_add_u32 v18, v7, 2, 0
	ds_read_b32 v19, v18
	s_waitcnt lgkmcnt(0)
	v_cmp_ne_u32_e32 vcc, v19, v9
	s_and_saveexec_b64 s[38:39], vcc
	s_cbranch_execz .LBB27_13
; %bb.15:                               ;   in Loop: Header=BB27_14 Depth=2
	s_mov_b64 s[40:41], 0
	s_branch .LBB27_17
.LBB27_16:                              ;   in Loop: Header=BB27_17 Depth=3
	s_or_b64 exec, exec, s[46:47]
	s_and_b64 s[42:43], exec, s[44:45]
	s_or_b64 s[40:41], s[42:43], s[40:41]
	s_andn2_b64 exec, exec, s[40:41]
	s_cbranch_execz .LBB27_12
.LBB27_17:                              ;   Parent Loop BB27_10 Depth=1
                                        ;     Parent Loop BB27_14 Depth=2
                                        ; =>    This Inner Loop Header: Depth=3
	v_cmp_ne_u32_e32 vcc, s33, v19
	s_mov_b64 s[42:43], 0
	s_and_saveexec_b64 s[44:45], vcc
	s_xor_b64 s[44:45], exec, s[44:45]
	s_cbranch_execz .LBB27_19
; %bb.18:                               ;   in Loop: Header=BB27_17 Depth=3
	v_add_u32_e32 v7, 1, v7
	s_mov_b64 s[42:43], exec
	v_and_b32_e32 v7, 0x3ff, v7
                                        ; implicit-def: $vgpr18
	s_andn2_saveexec_b64 s[44:45], s[44:45]
	s_cbranch_execz .LBB27_21
	s_branch .LBB27_20
.LBB27_19:                              ;   in Loop: Header=BB27_17 Depth=3
	s_andn2_saveexec_b64 s[44:45], s[44:45]
	s_cbranch_execz .LBB27_21
.LBB27_20:                              ;   in Loop: Header=BB27_17 Depth=3
	v_mov_b32_e32 v19, s33
	ds_cmpst_rtn_b32 v18, v18, v19, v9
	s_andn2_b64 s[42:43], s[42:43], exec
	s_waitcnt lgkmcnt(0)
	v_cmp_ne_u32_e32 vcc, s33, v18
	s_and_b64 s[46:47], vcc, exec
	s_or_b64 s[42:43], s[42:43], s[46:47]
.LBB27_21:                              ;   in Loop: Header=BB27_17 Depth=3
	s_or_b64 exec, exec, s[44:45]
	s_mov_b64 s[44:45], -1
                                        ; implicit-def: $vgpr18
                                        ; implicit-def: $vgpr19
	s_and_saveexec_b64 s[46:47], s[42:43]
	s_cbranch_execz .LBB27_16
; %bb.22:                               ;   in Loop: Header=BB27_17 Depth=3
	v_lshl_add_u32 v18, v7, 2, 0
	ds_read_b32 v19, v18
	s_waitcnt lgkmcnt(0)
	v_cmp_eq_u32_e32 vcc, v19, v9
	s_orn2_b64 s[44:45], vcc, exec
	s_branch .LBB27_16
.LBB27_23:
	s_or_b64 exec, exec, s[0:1]
.LBB27_24:
	s_andn2_b64 vcc, exec, s[36:37]
	s_cbranch_vccnz .LBB27_39
; %bb.25:
	s_waitcnt lgkmcnt(0)
	s_ashr_i32 s29, s28, 31
	s_lshl_b64 s[0:1], s[28:29], 2
	s_add_u32 s0, s12, s0
	s_addc_u32 s1, s13, s1
	s_load_dwordx2 s[2:3], s[0:1], 0x0
	s_waitcnt vmcnt(0)
	v_subrev_u32_e32 v4, s23, v0
	s_waitcnt lgkmcnt(0)
	s_sub_i32 s20, s3, s23
	v_add_u32_e32 v4, s2, v4
	v_cmp_gt_i32_e32 vcc, s20, v4
	s_and_saveexec_b64 s[0:1], vcc
	s_cbranch_execz .LBB27_38
; %bb.26:
	s_mov_b64 s[2:3], 0
	s_movk_i32 s21, 0x89
	s_branch .LBB27_29
.LBB27_27:                              ;   in Loop: Header=BB27_29 Depth=1
	s_or_b64 exec, exec, s[6:7]
.LBB27_28:                              ;   in Loop: Header=BB27_29 Depth=1
	s_or_b64 exec, exec, s[4:5]
	s_waitcnt vmcnt(0)
	v_mul_f64 v[6:7], v[2:3], v[6:7]
	v_lshl_add_u32 v5, v5, 3, 0
	ds_add_f64 v5, v[6:7] offset:4096
	v_add_u32_e32 v4, 0x200, v4
	v_cmp_le_i32_e32 vcc, s20, v4
	s_or_b64 s[2:3], vcc, s[2:3]
	s_andn2_b64 exec, exec, s[2:3]
	s_cbranch_execz .LBB27_38
.LBB27_29:                              ; =>This Loop Header: Depth=1
                                        ;     Child Loop BB27_32 Depth 2
	v_ashrrev_i32_e32 v5, 31, v4
	v_lshl_add_u64 v[6:7], v[4:5], 2, s[14:15]
	global_load_dword v8, v[6:7], off
	v_lshl_add_u64 v[6:7], v[4:5], 3, s[16:17]
	global_load_dwordx2 v[6:7], v[6:7], off
	s_waitcnt vmcnt(1)
	v_subrev_u32_e32 v8, s23, v8
	v_mul_lo_u32 v5, v8, s21
	v_and_b32_e32 v5, 0x3ff, v5
	v_lshl_add_u32 v9, v5, 2, 0
	ds_read_b32 v10, v9
	s_waitcnt lgkmcnt(0)
	v_cmp_ne_u32_e32 vcc, v10, v8
	s_and_saveexec_b64 s[4:5], vcc
	s_cbranch_execz .LBB27_28
; %bb.30:                               ;   in Loop: Header=BB27_29 Depth=1
	s_mov_b64 s[6:7], 0
	s_branch .LBB27_32
.LBB27_31:                              ;   in Loop: Header=BB27_32 Depth=2
	s_or_b64 exec, exec, s[12:13]
	s_and_b64 s[8:9], exec, s[10:11]
	s_or_b64 s[6:7], s[8:9], s[6:7]
	s_andn2_b64 exec, exec, s[6:7]
	s_cbranch_execz .LBB27_27
.LBB27_32:                              ;   Parent Loop BB27_29 Depth=1
                                        ; =>  This Inner Loop Header: Depth=2
	v_cmp_ne_u32_e32 vcc, s33, v10
	s_mov_b64 s[8:9], 0
	s_and_saveexec_b64 s[10:11], vcc
	s_xor_b64 s[10:11], exec, s[10:11]
	s_cbranch_execz .LBB27_34
; %bb.33:                               ;   in Loop: Header=BB27_32 Depth=2
	v_add_u32_e32 v5, 1, v5
	s_mov_b64 s[8:9], exec
	v_and_b32_e32 v5, 0x3ff, v5
                                        ; implicit-def: $vgpr9
	s_andn2_saveexec_b64 s[10:11], s[10:11]
	s_cbranch_execz .LBB27_36
	s_branch .LBB27_35
.LBB27_34:                              ;   in Loop: Header=BB27_32 Depth=2
	s_andn2_saveexec_b64 s[10:11], s[10:11]
	s_cbranch_execz .LBB27_36
.LBB27_35:                              ;   in Loop: Header=BB27_32 Depth=2
	v_mov_b32_e32 v10, s33
	ds_cmpst_rtn_b32 v9, v9, v10, v8
	s_andn2_b64 s[8:9], s[8:9], exec
	s_waitcnt lgkmcnt(0)
	v_cmp_ne_u32_e32 vcc, s33, v9
	s_and_b64 s[12:13], vcc, exec
	s_or_b64 s[8:9], s[8:9], s[12:13]
.LBB27_36:                              ;   in Loop: Header=BB27_32 Depth=2
	s_or_b64 exec, exec, s[10:11]
	s_mov_b64 s[10:11], -1
                                        ; implicit-def: $vgpr9
                                        ; implicit-def: $vgpr10
	s_and_saveexec_b64 s[12:13], s[8:9]
	s_cbranch_execz .LBB27_31
; %bb.37:                               ;   in Loop: Header=BB27_32 Depth=2
	v_lshl_add_u32 v9, v5, 2, 0
	ds_read_b32 v10, v9
	s_waitcnt lgkmcnt(0)
	v_cmp_eq_u32_e32 vcc, v10, v8
	s_orn2_b64 s[10:11], vcc, exec
	s_branch .LBB27_31
.LBB27_38:
	s_or_b64 exec, exec, s[0:1]
.LBB27_39:
	s_waitcnt vmcnt(0)
	v_mbcnt_lo_u32_b32 v2, -1, 0
	v_mbcnt_hi_u32_b32 v2, -1, v2
	v_lshrrev_b32_e32 v4, 4, v0
	v_sub_u32_e32 v2, 63, v2
	v_and_b32_e32 v4, 28, v4
	s_movk_i32 s0, 0x1ff
	s_movk_i32 s4, 0x7f
	;; [unrolled: 1-line block ×7, first 2 shown]
	v_mov_b32_e32 v6, 0
	v_lshrrev_b64 v[2:3], v2, -1
	v_add_u32_e32 v7, 0, v4
	v_cmp_eq_u32_e64 s[0:1], s0, v0
	v_cmp_lt_u32_e64 s[2:3], 63, v0
	v_cmp_lt_u32_e64 s[4:5], s4, v0
	v_cmp_lt_u32_e64 s[6:7], s6, v0
	v_cmp_lt_u32_e64 s[8:9], s8, v0
	v_cmp_lt_u32_e64 s[10:11], s10, v0
	v_cmp_lt_u32_e64 s[12:13], s12, v0
	v_cmp_lt_u32_e64 s[14:15], s14, v0
	s_mov_b64 s[16:17], 0
	v_mov_b32_e32 v8, 0
	s_waitcnt lgkmcnt(0)
	s_barrier
	s_branch .LBB27_41
.LBB27_40:                              ;   in Loop: Header=BB27_41 Depth=1
	s_or_b64 exec, exec, s[20:21]
	s_waitcnt lgkmcnt(0)
	s_barrier
	ds_read_b32 v4, v6 offset:12316
	v_add_co_u32_e32 v14, vcc, 0x200, v14
	s_xor_b64 s[20:21], vcc, -1
	s_and_b64 s[20:21], exec, s[20:21]
	v_add_u32_e32 v1, 0x1000, v1
	s_waitcnt lgkmcnt(0)
	v_add_u32_e32 v8, v4, v8
	s_or_b64 s[16:17], s[20:21], s[16:17]
	v_add_u32_e32 v15, 0x800, v15
	s_andn2_b64 exec, exec, s[16:17]
	s_cbranch_execz .LBB27_59
.LBB27_41:                              ; =>This Inner Loop Header: Depth=1
	ds_read_b32 v9, v15
	ds_read_b64 v[4:5], v1
	s_waitcnt lgkmcnt(0)
	s_barrier
	v_cmp_gt_i32_e32 vcc, s33, v9
	s_bcnt1_i32_b64 s20, vcc
	s_nop 0
	v_and_b32_e32 v11, vcc_lo, v2
	v_and_b32_e32 v10, vcc_hi, v3
	v_bcnt_u32_b32 v11, v11, 0
	v_bcnt_u32_b32 v10, v10, v11
	v_mov_b32_e32 v11, s20
	ds_write_b32 v7, v11 offset:12288
	s_waitcnt lgkmcnt(0)
	s_barrier
	s_and_saveexec_b64 s[20:21], s[2:3]
	s_cbranch_execz .LBB27_50
; %bb.42:                               ;   in Loop: Header=BB27_41 Depth=1
	ds_read_b32 v11, v6 offset:12288
	s_waitcnt lgkmcnt(0)
	v_add_u32_e32 v10, v11, v10
	s_or_b64 exec, exec, s[20:21]
	s_and_saveexec_b64 s[20:21], s[4:5]
	s_cbranch_execnz .LBB27_51
.LBB27_43:                              ;   in Loop: Header=BB27_41 Depth=1
	s_or_b64 exec, exec, s[20:21]
	s_and_saveexec_b64 s[20:21], s[6:7]
	s_cbranch_execz .LBB27_52
.LBB27_44:                              ;   in Loop: Header=BB27_41 Depth=1
	ds_read_b32 v11, v6 offset:12296
	s_waitcnt lgkmcnt(0)
	v_add_u32_e32 v10, v11, v10
	s_or_b64 exec, exec, s[20:21]
	s_and_saveexec_b64 s[20:21], s[8:9]
	s_cbranch_execnz .LBB27_53
.LBB27_45:                              ;   in Loop: Header=BB27_41 Depth=1
	s_or_b64 exec, exec, s[20:21]
	s_and_saveexec_b64 s[20:21], s[10:11]
	s_cbranch_execz .LBB27_54
.LBB27_46:                              ;   in Loop: Header=BB27_41 Depth=1
	ds_read_b32 v11, v6 offset:12304
	s_waitcnt lgkmcnt(0)
	v_add_u32_e32 v10, v11, v10
	s_or_b64 exec, exec, s[20:21]
	s_and_saveexec_b64 s[20:21], s[12:13]
	s_cbranch_execnz .LBB27_55
.LBB27_47:                              ;   in Loop: Header=BB27_41 Depth=1
	s_or_b64 exec, exec, s[20:21]
	s_and_saveexec_b64 s[20:21], s[14:15]
	s_cbranch_execz .LBB27_56
.LBB27_48:                              ;   in Loop: Header=BB27_41 Depth=1
	ds_read_b32 v11, v6 offset:12312
	s_waitcnt lgkmcnt(0)
	v_add_u32_e32 v10, v11, v10
	s_or_b64 exec, exec, s[20:21]
	s_and_saveexec_b64 s[20:21], vcc
	s_cbranch_execnz .LBB27_57
.LBB27_49:                              ;   in Loop: Header=BB27_41 Depth=1
	s_or_b64 exec, exec, s[20:21]
	s_and_saveexec_b64 s[20:21], s[0:1]
	s_cbranch_execz .LBB27_40
	s_branch .LBB27_58
.LBB27_50:                              ;   in Loop: Header=BB27_41 Depth=1
	s_or_b64 exec, exec, s[20:21]
	s_and_saveexec_b64 s[20:21], s[4:5]
	s_cbranch_execz .LBB27_43
.LBB27_51:                              ;   in Loop: Header=BB27_41 Depth=1
	ds_read_b32 v11, v6 offset:12292
	s_waitcnt lgkmcnt(0)
	v_add_u32_e32 v10, v11, v10
	s_or_b64 exec, exec, s[20:21]
	s_and_saveexec_b64 s[20:21], s[6:7]
	s_cbranch_execnz .LBB27_44
.LBB27_52:                              ;   in Loop: Header=BB27_41 Depth=1
	s_or_b64 exec, exec, s[20:21]
	s_and_saveexec_b64 s[20:21], s[8:9]
	s_cbranch_execz .LBB27_45
.LBB27_53:                              ;   in Loop: Header=BB27_41 Depth=1
	ds_read_b32 v11, v6 offset:12300
	s_waitcnt lgkmcnt(0)
	v_add_u32_e32 v10, v11, v10
	s_or_b64 exec, exec, s[20:21]
	s_and_saveexec_b64 s[20:21], s[10:11]
	s_cbranch_execnz .LBB27_46
.LBB27_54:                              ;   in Loop: Header=BB27_41 Depth=1
	s_or_b64 exec, exec, s[20:21]
	s_and_saveexec_b64 s[20:21], s[12:13]
	s_cbranch_execz .LBB27_47
.LBB27_55:                              ;   in Loop: Header=BB27_41 Depth=1
	ds_read_b32 v11, v6 offset:12308
	s_waitcnt lgkmcnt(0)
	v_add_u32_e32 v10, v11, v10
	s_or_b64 exec, exec, s[20:21]
	s_and_saveexec_b64 s[20:21], s[14:15]
	s_cbranch_execnz .LBB27_48
.LBB27_56:                              ;   in Loop: Header=BB27_41 Depth=1
	s_or_b64 exec, exec, s[20:21]
	s_and_saveexec_b64 s[20:21], vcc
	s_cbranch_execz .LBB27_49
.LBB27_57:                              ;   in Loop: Header=BB27_41 Depth=1
	v_add3_u32 v11, v8, -1, v10
	v_lshl_add_u32 v11, v11, 2, 0
	v_add_u32_e32 v12, v8, v10
	v_lshl_add_u32 v12, v12, 3, 0
	ds_write_b32 v11, v9
	ds_write_b64 v12, v[4:5] offset:4088
	s_or_b64 exec, exec, s[20:21]
	s_and_saveexec_b64 s[20:21], s[0:1]
	s_cbranch_execz .LBB27_40
.LBB27_58:                              ;   in Loop: Header=BB27_41 Depth=1
	ds_write_b32 v6, v10 offset:12316
	s_branch .LBB27_40
.LBB27_59:
	s_or_b64 exec, exec, s[16:17]
	s_ashr_i32 s29, s28, 31
	s_lshl_b64 s[0:1], s[28:29], 2
	s_add_u32 s2, s18, s0
	s_addc_u32 s3, s19, s1
	s_load_dwordx2 s[0:1], s[2:3], 0x0
	s_waitcnt lgkmcnt(0)
	s_sub_i32 s14, s1, s0
	v_cmp_gt_i32_e32 vcc, s14, v0
	s_and_saveexec_b64 s[2:3], vcc
	s_cbranch_execz .LBB27_73
; %bb.60:
	s_sub_i32 s8, s0, s22
	v_sub_co_u32_e64 v1, s[0:1], s14, 2
	s_nop 0
	v_readfirstlane_b32 s2, v1
	s_lshr_b32 s2, s2, 1
	s_add_i32 s2, s2, 1
	s_xor_b64 s[0:1], s[0:1], -1
	s_and_b32 s15, s14, -2
	s_and_b32 s3, s2, 7
	s_and_b32 s16, s2, -8
	s_cmp_lg_u32 s3, 0
	v_cmp_lt_u32_e32 vcc, 13, v1
	s_cselect_b64 s[4:5], -1, 0
	s_cmp_lg_u32 s14, s15
	v_cndmask_b32_e64 v1, 0, 1, vcc
	s_cselect_b64 s[10:11], -1, 0
	s_lshl_b32 s17, s3, 3
	v_cndmask_b32_e64 v2, 0, 1, s[0:1]
	v_cmp_ne_u32_e64 s[2:3], 1, v1
	v_cndmask_b32_e64 v1, 0, 1, s[4:5]
	s_mov_b32 s9, 0
	s_mov_b64 s[12:13], 0
	v_cmp_ne_u32_e64 s[0:1], 1, v2
	v_cmp_ne_u32_e64 s[4:5], 1, v1
	s_branch .LBB27_62
.LBB27_61:                              ;   in Loop: Header=BB27_62 Depth=1
	v_add_u32_e32 v0, 0x200, v0
	v_ashrrev_i32_e32 v5, 31, v4
	v_cmp_le_i32_e32 vcc, s14, v0
	v_lshl_add_u64 v[4:5], v[4:5], 3, s[34:35]
	s_or_b64 s[12:13], vcc, s[12:13]
	s_waitcnt lgkmcnt(0)
	global_store_dwordx2 v[4:5], v[2:3], off
	s_andn2_b64 exec, exec, s[12:13]
	s_cbranch_execz .LBB27_73
.LBB27_62:                              ; =>This Loop Header: Depth=1
                                        ;     Child Loop BB27_65 Depth 2
                                        ;     Child Loop BB27_68 Depth 2
                                        ;     Child Loop BB27_72 Depth 2
	v_lshlrev_b32_e32 v1, 2, v0
	v_add_u32_e32 v2, 0, v1
	v_add_u32_e32 v3, v2, v1
	ds_read_b32 v1, v2
	ds_read_b64 v[2:3], v3 offset:4096
	s_and_b64 vcc, exec, s[0:1]
	v_mov_b32_e32 v4, s8
	s_mov_b32 s18, 0
	s_mov_b64 s[6:7], -1
	s_cbranch_vccnz .LBB27_70
; %bb.63:                               ;   in Loop: Header=BB27_62 Depth=1
	s_and_b64 vcc, exec, s[2:3]
	v_mov_b64_e32 v[4:5], s[8:9]
	s_cbranch_vccnz .LBB27_66
; %bb.64:                               ;   in Loop: Header=BB27_62 Depth=1
	s_mov_b32 s19, 0
	v_mov_b32_e32 v4, s8
	v_mov_b32_e32 v5, 0
	s_mov_b32 s20, s16
.LBB27_65:                              ;   Parent Loop BB27_62 Depth=1
                                        ; =>  This Inner Loop Header: Depth=2
	v_mov_b32_e32 v20, s19
	ds_read2_b32 v[6:7], v20 offset1:1
	ds_read2_b32 v[8:9], v20 offset0:2 offset1:3
	ds_read2_b32 v[10:11], v20 offset0:4 offset1:5
	ds_read2_b32 v[12:13], v20 offset0:6 offset1:7
	ds_read2_b32 v[14:15], v20 offset0:8 offset1:9
	ds_read2_b32 v[16:17], v20 offset0:10 offset1:11
	ds_read2_b32 v[18:19], v20 offset0:12 offset1:13
	ds_read2_b32 v[20:21], v20 offset0:14 offset1:15
	s_waitcnt lgkmcnt(7)
	v_cmp_gt_i32_e32 vcc, v1, v7
	s_waitcnt lgkmcnt(5)
	v_cmp_gt_i32_e64 s[6:7], v1, v10
	s_add_i32 s18, s18, 16
	v_cndmask_b32_e64 v7, 0, 1, vcc
	v_cmp_gt_i32_e32 vcc, v1, v6
	s_add_i32 s19, s19, 64
	s_add_i32 s20, s20, -8
	v_cndmask_b32_e64 v6, 0, 1, vcc
	v_cmp_gt_i32_e32 vcc, v1, v9
	v_cndmask_b32_e64 v9, 0, 1, s[6:7]
	v_cmp_gt_i32_e64 s[6:7], v1, v11
	v_addc_co_u32_e32 v5, vcc, v5, v7, vcc
	s_nop 0
	v_cndmask_b32_e64 v10, 0, 1, s[6:7]
	s_waitcnt lgkmcnt(3)
	v_cmp_gt_i32_e64 s[6:7], v1, v15
	v_cmp_gt_i32_e32 vcc, v1, v12
	s_cmp_lg_u32 s20, 0
	v_cndmask_b32_e64 v11, 0, 1, s[6:7]
	v_cmp_gt_i32_e64 s[6:7], v1, v14
	s_nop 1
	v_cndmask_b32_e64 v14, 0, 1, s[6:7]
	s_waitcnt lgkmcnt(1)
	v_cmp_gt_i32_e64 s[6:7], v1, v18
	s_nop 1
	v_cndmask_b32_e64 v15, 0, 1, s[6:7]
	v_cmp_gt_i32_e64 s[6:7], v1, v19
	s_nop 1
	v_cndmask_b32_e64 v18, 0, 1, s[6:7]
	v_cmp_gt_i32_e64 s[6:7], v1, v8
	s_nop 1
	v_addc_co_u32_e64 v4, s[6:7], v4, v6, s[6:7]
	v_cmp_gt_i32_e64 s[6:7], v1, v13
	v_addc_co_u32_e32 v4, vcc, v4, v9, vcc
	s_nop 0
	v_addc_co_u32_e64 v5, s[6:7], v5, v10, s[6:7]
	v_cmp_gt_i32_e32 vcc, v1, v17
	v_cmp_gt_i32_e64 s[6:7], v1, v16
	s_nop 0
	v_addc_co_u32_e32 v5, vcc, v5, v11, vcc
	v_addc_co_u32_e64 v4, s[6:7], v4, v14, s[6:7]
	s_waitcnt lgkmcnt(0)
	v_cmp_gt_i32_e32 vcc, v1, v20
	v_cmp_gt_i32_e64 s[6:7], v1, v21
	s_nop 0
	v_addc_co_u32_e32 v4, vcc, v4, v15, vcc
	v_addc_co_u32_e64 v5, s[6:7], v5, v18, s[6:7]
	s_cbranch_scc1 .LBB27_65
.LBB27_66:                              ;   in Loop: Header=BB27_62 Depth=1
	s_and_b64 vcc, exec, s[4:5]
	s_cbranch_vccnz .LBB27_69
; %bb.67:                               ;   in Loop: Header=BB27_62 Depth=1
	s_lshl_b32 s6, s18, 2
	s_add_i32 s6, s6, 0
	s_mov_b32 s7, s17
.LBB27_68:                              ;   Parent Loop BB27_62 Depth=1
                                        ; =>  This Inner Loop Header: Depth=2
	v_mov_b32_e32 v6, s6
	ds_read2_b32 v[6:7], v6 offset1:1
	s_add_i32 s6, s6, 8
	s_add_i32 s7, s7, -8
	s_cmp_lg_u32 s7, 0
	s_waitcnt lgkmcnt(0)
	v_cmp_gt_i32_e32 vcc, v1, v7
	s_nop 1
	v_addc_co_u32_e32 v5, vcc, 0, v5, vcc
	v_cmp_gt_i32_e32 vcc, v1, v6
	s_nop 1
	v_addc_co_u32_e32 v4, vcc, 0, v4, vcc
	s_cbranch_scc1 .LBB27_68
.LBB27_69:                              ;   in Loop: Header=BB27_62 Depth=1
	v_add_u32_e32 v4, v4, v5
	s_mov_b32 s18, s15
	s_mov_b64 s[6:7], s[10:11]
.LBB27_70:                              ;   in Loop: Header=BB27_62 Depth=1
	s_and_b64 vcc, exec, s[6:7]
	s_cbranch_vccz .LBB27_61
; %bb.71:                               ;   in Loop: Header=BB27_62 Depth=1
	s_lshl_b32 s6, s18, 2
	s_add_i32 s6, s6, 0
.LBB27_72:                              ;   Parent Loop BB27_62 Depth=1
                                        ; =>  This Inner Loop Header: Depth=2
	v_mov_b32_e32 v5, s6
	ds_read_b32 v5, v5
	s_add_i32 s18, s18, 1
	s_add_i32 s6, s6, 4
	s_cmp_ge_i32 s18, s14
	s_waitcnt lgkmcnt(0)
	v_cmp_gt_i32_e32 vcc, v1, v5
	s_nop 1
	v_addc_co_u32_e32 v4, vcc, 0, v4, vcc
	s_cbranch_scc0 .LBB27_72
	s_branch .LBB27_61
.LBB27_73:
	s_endpgm
	.section	.rodata,"a",@progbits
	.p2align	6, 0x0
	.amdhsa_kernel _ZN9rocsparseL41csrgemm_numeric_fill_block_per_row_kernelILj512ELj32ELj1024ELj137ELj64EiidEEvT5_PKS1_S3_NS_24const_host_device_scalarIT6_EEPKT4_S3_PKS5_S9_S3_SB_S6_S9_S3_SB_S9_S3_PS5_21rocsparse_index_base_SD_SD_SD_bbb
		.amdhsa_group_segment_fixed_size 0
		.amdhsa_private_segment_fixed_size 0
		.amdhsa_kernarg_size 156
		.amdhsa_user_sgpr_count 2
		.amdhsa_user_sgpr_dispatch_ptr 0
		.amdhsa_user_sgpr_queue_ptr 0
		.amdhsa_user_sgpr_kernarg_segment_ptr 1
		.amdhsa_user_sgpr_dispatch_id 0
		.amdhsa_user_sgpr_kernarg_preload_length 0
		.amdhsa_user_sgpr_kernarg_preload_offset 0
		.amdhsa_user_sgpr_private_segment_size 0
		.amdhsa_uses_dynamic_stack 0
		.amdhsa_enable_private_segment 0
		.amdhsa_system_sgpr_workgroup_id_x 1
		.amdhsa_system_sgpr_workgroup_id_y 0
		.amdhsa_system_sgpr_workgroup_id_z 0
		.amdhsa_system_sgpr_workgroup_info 0
		.amdhsa_system_vgpr_workitem_id 0
		.amdhsa_next_free_vgpr 22
		.amdhsa_next_free_sgpr 49
		.amdhsa_accum_offset 24
		.amdhsa_reserve_vcc 1
		.amdhsa_float_round_mode_32 0
		.amdhsa_float_round_mode_16_64 0
		.amdhsa_float_denorm_mode_32 3
		.amdhsa_float_denorm_mode_16_64 3
		.amdhsa_dx10_clamp 1
		.amdhsa_ieee_mode 1
		.amdhsa_fp16_overflow 0
		.amdhsa_tg_split 0
		.amdhsa_exception_fp_ieee_invalid_op 0
		.amdhsa_exception_fp_denorm_src 0
		.amdhsa_exception_fp_ieee_div_zero 0
		.amdhsa_exception_fp_ieee_overflow 0
		.amdhsa_exception_fp_ieee_underflow 0
		.amdhsa_exception_fp_ieee_inexact 0
		.amdhsa_exception_int_div_zero 0
	.end_amdhsa_kernel
	.section	.text._ZN9rocsparseL41csrgemm_numeric_fill_block_per_row_kernelILj512ELj32ELj1024ELj137ELj64EiidEEvT5_PKS1_S3_NS_24const_host_device_scalarIT6_EEPKT4_S3_PKS5_S9_S3_SB_S6_S9_S3_SB_S9_S3_PS5_21rocsparse_index_base_SD_SD_SD_bbb,"axG",@progbits,_ZN9rocsparseL41csrgemm_numeric_fill_block_per_row_kernelILj512ELj32ELj1024ELj137ELj64EiidEEvT5_PKS1_S3_NS_24const_host_device_scalarIT6_EEPKT4_S3_PKS5_S9_S3_SB_S6_S9_S3_SB_S9_S3_PS5_21rocsparse_index_base_SD_SD_SD_bbb,comdat
.Lfunc_end27:
	.size	_ZN9rocsparseL41csrgemm_numeric_fill_block_per_row_kernelILj512ELj32ELj1024ELj137ELj64EiidEEvT5_PKS1_S3_NS_24const_host_device_scalarIT6_EEPKT4_S3_PKS5_S9_S3_SB_S6_S9_S3_SB_S9_S3_PS5_21rocsparse_index_base_SD_SD_SD_bbb, .Lfunc_end27-_ZN9rocsparseL41csrgemm_numeric_fill_block_per_row_kernelILj512ELj32ELj1024ELj137ELj64EiidEEvT5_PKS1_S3_NS_24const_host_device_scalarIT6_EEPKT4_S3_PKS5_S9_S3_SB_S6_S9_S3_SB_S9_S3_PS5_21rocsparse_index_base_SD_SD_SD_bbb
                                        ; -- End function
	.set _ZN9rocsparseL41csrgemm_numeric_fill_block_per_row_kernelILj512ELj32ELj1024ELj137ELj64EiidEEvT5_PKS1_S3_NS_24const_host_device_scalarIT6_EEPKT4_S3_PKS5_S9_S3_SB_S6_S9_S3_SB_S9_S3_PS5_21rocsparse_index_base_SD_SD_SD_bbb.num_vgpr, 22
	.set _ZN9rocsparseL41csrgemm_numeric_fill_block_per_row_kernelILj512ELj32ELj1024ELj137ELj64EiidEEvT5_PKS1_S3_NS_24const_host_device_scalarIT6_EEPKT4_S3_PKS5_S9_S3_SB_S6_S9_S3_SB_S9_S3_PS5_21rocsparse_index_base_SD_SD_SD_bbb.num_agpr, 0
	.set _ZN9rocsparseL41csrgemm_numeric_fill_block_per_row_kernelILj512ELj32ELj1024ELj137ELj64EiidEEvT5_PKS1_S3_NS_24const_host_device_scalarIT6_EEPKT4_S3_PKS5_S9_S3_SB_S6_S9_S3_SB_S9_S3_PS5_21rocsparse_index_base_SD_SD_SD_bbb.numbered_sgpr, 49
	.set _ZN9rocsparseL41csrgemm_numeric_fill_block_per_row_kernelILj512ELj32ELj1024ELj137ELj64EiidEEvT5_PKS1_S3_NS_24const_host_device_scalarIT6_EEPKT4_S3_PKS5_S9_S3_SB_S6_S9_S3_SB_S9_S3_PS5_21rocsparse_index_base_SD_SD_SD_bbb.num_named_barrier, 0
	.set _ZN9rocsparseL41csrgemm_numeric_fill_block_per_row_kernelILj512ELj32ELj1024ELj137ELj64EiidEEvT5_PKS1_S3_NS_24const_host_device_scalarIT6_EEPKT4_S3_PKS5_S9_S3_SB_S6_S9_S3_SB_S9_S3_PS5_21rocsparse_index_base_SD_SD_SD_bbb.private_seg_size, 0
	.set _ZN9rocsparseL41csrgemm_numeric_fill_block_per_row_kernelILj512ELj32ELj1024ELj137ELj64EiidEEvT5_PKS1_S3_NS_24const_host_device_scalarIT6_EEPKT4_S3_PKS5_S9_S3_SB_S6_S9_S3_SB_S9_S3_PS5_21rocsparse_index_base_SD_SD_SD_bbb.uses_vcc, 1
	.set _ZN9rocsparseL41csrgemm_numeric_fill_block_per_row_kernelILj512ELj32ELj1024ELj137ELj64EiidEEvT5_PKS1_S3_NS_24const_host_device_scalarIT6_EEPKT4_S3_PKS5_S9_S3_SB_S6_S9_S3_SB_S9_S3_PS5_21rocsparse_index_base_SD_SD_SD_bbb.uses_flat_scratch, 0
	.set _ZN9rocsparseL41csrgemm_numeric_fill_block_per_row_kernelILj512ELj32ELj1024ELj137ELj64EiidEEvT5_PKS1_S3_NS_24const_host_device_scalarIT6_EEPKT4_S3_PKS5_S9_S3_SB_S6_S9_S3_SB_S9_S3_PS5_21rocsparse_index_base_SD_SD_SD_bbb.has_dyn_sized_stack, 0
	.set _ZN9rocsparseL41csrgemm_numeric_fill_block_per_row_kernelILj512ELj32ELj1024ELj137ELj64EiidEEvT5_PKS1_S3_NS_24const_host_device_scalarIT6_EEPKT4_S3_PKS5_S9_S3_SB_S6_S9_S3_SB_S9_S3_PS5_21rocsparse_index_base_SD_SD_SD_bbb.has_recursion, 0
	.set _ZN9rocsparseL41csrgemm_numeric_fill_block_per_row_kernelILj512ELj32ELj1024ELj137ELj64EiidEEvT5_PKS1_S3_NS_24const_host_device_scalarIT6_EEPKT4_S3_PKS5_S9_S3_SB_S6_S9_S3_SB_S9_S3_PS5_21rocsparse_index_base_SD_SD_SD_bbb.has_indirect_call, 0
	.section	.AMDGPU.csdata,"",@progbits
; Kernel info:
; codeLenInByte = 2804
; TotalNumSgprs: 55
; NumVgprs: 22
; NumAgprs: 0
; TotalNumVgprs: 22
; ScratchSize: 0
; MemoryBound: 0
; FloatMode: 240
; IeeeMode: 1
; LDSByteSize: 0 bytes/workgroup (compile time only)
; SGPRBlocks: 6
; VGPRBlocks: 2
; NumSGPRsForWavesPerEU: 55
; NumVGPRsForWavesPerEU: 22
; AccumOffset: 24
; Occupancy: 8
; WaveLimiterHint : 1
; COMPUTE_PGM_RSRC2:SCRATCH_EN: 0
; COMPUTE_PGM_RSRC2:USER_SGPR: 2
; COMPUTE_PGM_RSRC2:TRAP_HANDLER: 0
; COMPUTE_PGM_RSRC2:TGID_X_EN: 1
; COMPUTE_PGM_RSRC2:TGID_Y_EN: 0
; COMPUTE_PGM_RSRC2:TGID_Z_EN: 0
; COMPUTE_PGM_RSRC2:TIDIG_COMP_CNT: 0
; COMPUTE_PGM_RSRC3_GFX90A:ACCUM_OFFSET: 5
; COMPUTE_PGM_RSRC3_GFX90A:TG_SPLIT: 0
	.section	.text._ZN9rocsparseL41csrgemm_numeric_fill_block_per_row_kernelILj1024ELj32ELj2048ELj137ELj32EiidEEvT5_PKS1_S3_NS_24const_host_device_scalarIT6_EEPKT4_S3_PKS5_S9_S3_SB_S6_S9_S3_SB_S9_S3_PS5_21rocsparse_index_base_SD_SD_SD_bbb,"axG",@progbits,_ZN9rocsparseL41csrgemm_numeric_fill_block_per_row_kernelILj1024ELj32ELj2048ELj137ELj32EiidEEvT5_PKS1_S3_NS_24const_host_device_scalarIT6_EEPKT4_S3_PKS5_S9_S3_SB_S6_S9_S3_SB_S9_S3_PS5_21rocsparse_index_base_SD_SD_SD_bbb,comdat
	.globl	_ZN9rocsparseL41csrgemm_numeric_fill_block_per_row_kernelILj1024ELj32ELj2048ELj137ELj32EiidEEvT5_PKS1_S3_NS_24const_host_device_scalarIT6_EEPKT4_S3_PKS5_S9_S3_SB_S6_S9_S3_SB_S9_S3_PS5_21rocsparse_index_base_SD_SD_SD_bbb ; -- Begin function _ZN9rocsparseL41csrgemm_numeric_fill_block_per_row_kernelILj1024ELj32ELj2048ELj137ELj32EiidEEvT5_PKS1_S3_NS_24const_host_device_scalarIT6_EEPKT4_S3_PKS5_S9_S3_SB_S6_S9_S3_SB_S9_S3_PS5_21rocsparse_index_base_SD_SD_SD_bbb
	.p2align	8
	.type	_ZN9rocsparseL41csrgemm_numeric_fill_block_per_row_kernelILj1024ELj32ELj2048ELj137ELj32EiidEEvT5_PKS1_S3_NS_24const_host_device_scalarIT6_EEPKT4_S3_PKS5_S9_S3_SB_S6_S9_S3_SB_S9_S3_PS5_21rocsparse_index_base_SD_SD_SD_bbb,@function
_ZN9rocsparseL41csrgemm_numeric_fill_block_per_row_kernelILj1024ELj32ELj2048ELj137ELj32EiidEEvT5_PKS1_S3_NS_24const_host_device_scalarIT6_EEPKT4_S3_PKS5_S9_S3_SB_S6_S9_S3_SB_S9_S3_PS5_21rocsparse_index_base_SD_SD_SD_bbb: ; @_ZN9rocsparseL41csrgemm_numeric_fill_block_per_row_kernelILj1024ELj32ELj2048ELj137ELj32EiidEEvT5_PKS1_S3_NS_24const_host_device_scalarIT6_EEPKT4_S3_PKS5_S9_S3_SB_S6_S9_S3_SB_S9_S3_PS5_21rocsparse_index_base_SD_SD_SD_bbb
; %bb.0:
	s_load_dword s3, s[0:1], 0x98
	s_load_dwordx4 s[68:71], s[0:1], 0x88
	s_load_dwordx2 s[4:5], s[0:1], 0x18
	s_load_dwordx2 s[24:25], s[0:1], 0x50
	s_waitcnt lgkmcnt(0)
	s_bitcmp1_b32 s3, 0
	s_cselect_b64 s[22:23], -1, 0
	s_bitcmp1_b32 s3, 16
	s_cselect_b64 s[26:27], -1, 0
	s_xor_b64 s[6:7], s[22:23], -1
	s_or_b64 s[6:7], s[26:27], s[6:7]
	s_and_b64 s[8:9], s[22:23], exec
	s_cselect_b32 s9, s5, 0
	s_cselect_b32 s8, s4, 0
	s_and_b64 vcc, exec, s[6:7]
	v_mov_b64_e32 v[4:5], s[8:9]
	s_cbranch_vccnz .LBB28_2
; %bb.1:
	v_mov_b64_e32 v[2:3], s[4:5]
	flat_load_dwordx2 v[4:5], v[2:3]
.LBB28_2:
	s_load_dwordx2 s[72:73], s[0:1], 0x80
	s_load_dwordx8 s[60:67], s[0:1], 0x58
	s_load_dwordx4 s[12:15], s[0:1], 0x40
	s_load_dwordx4 s[16:19], s[0:1], 0x8
	s_load_dwordx8 s[4:11], s[0:1], 0x20
	s_bitcmp1_b32 s3, 8
	s_cselect_b64 s[20:21], -1, 0
	s_xor_b64 s[28:29], s[20:21], -1
	s_or_b64 s[26:27], s[26:27], s[28:29]
	s_and_b64 s[28:29], s[20:21], exec
	s_cselect_b32 s29, s25, 0
	s_cselect_b32 s28, s24, 0
	s_and_b64 vcc, exec, s[26:27]
	v_mov_b64_e32 v[2:3], s[28:29]
	s_cbranch_vccnz .LBB28_4
; %bb.3:
	v_mov_b64_e32 v[2:3], s[24:25]
	flat_load_dwordx2 v[2:3], v[2:3]
.LBB28_4:
	s_load_dword s33, s[0:1], 0x0
	v_lshl_add_u32 v1, v0, 3, 0
	v_mov_b32_e32 v6, 0
	v_add_u32_e32 v1, 0x2000, v1
	v_or_b32_e32 v14, 0xfffffc00, v0
	v_lshl_add_u32 v15, v0, 2, 0
	s_mov_b64 s[0:1], 0
	s_waitcnt lgkmcnt(0)
	v_mov_b32_e32 v11, s33
	v_mov_b32_e32 v7, v6
	;; [unrolled: 1-line block ×5, first 2 shown]
.LBB28_5:                               ; =>This Inner Loop Header: Depth=1
	v_add_co_u32_e32 v9, vcc, 0x400, v9
	s_xor_b64 s[24:25], vcc, -1
	s_and_b64 s[24:25], exec, s[24:25]
	ds_write_b32 v8, v11
	ds_write_b64 v10, v[6:7]
	v_add_u32_e32 v10, 0x2000, v10
	s_or_b64 s[0:1], s[24:25], s[0:1]
	v_add_u32_e32 v8, 0x1000, v8
	s_andn2_b64 exec, exec, s[0:1]
	s_cbranch_execnz .LBB28_5
; %bb.6:
	s_or_b64 exec, exec, s[0:1]
	s_waitcnt lgkmcnt(0)
	s_barrier
	s_load_dword s0, s[16:17], 0x0
	s_mov_b32 s1, 0
	v_lshrrev_b32_e32 v16, 5, v0
	s_waitcnt lgkmcnt(0)
	s_add_i32 s0, s0, s2
	s_lshl_b64 s[0:1], s[0:1], 2
	s_add_u32 s0, s18, s0
	s_addc_u32 s1, s19, s1
	s_load_dword s74, s[0:1], 0x0
	s_and_b64 vcc, exec, s[22:23]
	s_cbranch_vccz .LBB28_24
; %bb.7:
	s_waitcnt lgkmcnt(0)
	s_ashr_i32 s75, s74, 31
	s_lshl_b64 s[0:1], s[74:75], 2
	s_add_u32 s0, s4, s0
	s_addc_u32 s1, s5, s1
	s_load_dwordx2 s[2:3], s[0:1], 0x0
	v_subrev_u32_e32 v6, s68, v16
	s_waitcnt lgkmcnt(0)
	s_sub_i32 s30, s3, s68
	v_add_u32_e32 v6, s2, v6
	v_cmp_gt_i32_e32 vcc, s30, v6
	s_and_saveexec_b64 s[0:1], vcc
	s_cbranch_execz .LBB28_23
; %bb.8:
	v_and_b32_e32 v7, 31, v0
	v_subrev_u32_e32 v17, s69, v7
	s_mov_b64 s[2:3], 0
	s_movk_i32 s31, 0x89
	s_branch .LBB28_10
.LBB28_9:                               ;   in Loop: Header=BB28_10 Depth=1
	s_or_b64 exec, exec, s[4:5]
	v_add_u32_e32 v6, 32, v6
	v_cmp_le_i32_e32 vcc, s30, v6
	s_or_b64 s[2:3], vcc, s[2:3]
	s_andn2_b64 exec, exec, s[2:3]
	s_cbranch_execz .LBB28_23
.LBB28_10:                              ; =>This Loop Header: Depth=1
                                        ;     Child Loop BB28_14 Depth 2
                                        ;       Child Loop BB28_17 Depth 3
	v_ashrrev_i32_e32 v7, 31, v6
	v_lshl_add_u64 v[8:9], v[6:7], 2, s[6:7]
	global_load_dword v8, v[8:9], off
	s_waitcnt vmcnt(0)
	v_subrev_u32_e32 v8, s68, v8
	v_ashrrev_i32_e32 v9, 31, v8
	v_lshl_add_u64 v[8:9], v[8:9], 2, s[10:11]
	global_load_dwordx2 v[8:9], v[8:9], off
	s_waitcnt vmcnt(0)
	v_subrev_u32_e32 v18, s69, v9
	v_add_u32_e32 v8, v8, v17
	v_cmp_lt_i32_e32 vcc, v8, v18
	s_and_saveexec_b64 s[4:5], vcc
	s_cbranch_execz .LBB28_9
; %bb.11:                               ;   in Loop: Header=BB28_10 Depth=1
	v_lshl_add_u64 v[10:11], v[6:7], 3, s[8:9]
	global_load_dwordx2 v[10:11], v[10:11], off
	s_mov_b64 s[16:17], 0
	s_waitcnt vmcnt(0)
	v_mul_f64 v[10:11], v[4:5], v[10:11]
	s_branch .LBB28_14
.LBB28_12:                              ;   in Loop: Header=BB28_14 Depth=2
	s_or_b64 exec, exec, s[22:23]
.LBB28_13:                              ;   in Loop: Header=BB28_14 Depth=2
	s_or_b64 exec, exec, s[18:19]
	s_waitcnt vmcnt(0)
	v_mul_f64 v[12:13], v[10:11], v[12:13]
	v_lshl_add_u32 v7, v7, 3, 0
	ds_add_f64 v7, v[12:13] offset:8192
	v_add_u32_e32 v8, 32, v8
	v_cmp_ge_i32_e32 vcc, v8, v18
	s_or_b64 s[16:17], vcc, s[16:17]
	s_andn2_b64 exec, exec, s[16:17]
	s_cbranch_execz .LBB28_9
.LBB28_14:                              ;   Parent Loop BB28_10 Depth=1
                                        ; =>  This Loop Header: Depth=2
                                        ;       Child Loop BB28_17 Depth 3
	v_ashrrev_i32_e32 v9, 31, v8
	v_lshl_add_u64 v[12:13], v[8:9], 2, s[12:13]
	global_load_dword v7, v[12:13], off
	v_lshl_add_u64 v[12:13], v[8:9], 3, s[14:15]
	global_load_dwordx2 v[12:13], v[12:13], off
	s_waitcnt vmcnt(1)
	v_subrev_u32_e32 v9, s69, v7
	v_mul_lo_u32 v7, v9, s31
	v_and_b32_e32 v7, 0x7ff, v7
	v_lshl_add_u32 v19, v7, 2, 0
	ds_read_b32 v20, v19
	s_waitcnt lgkmcnt(0)
	v_cmp_ne_u32_e32 vcc, v20, v9
	s_and_saveexec_b64 s[18:19], vcc
	s_cbranch_execz .LBB28_13
; %bb.15:                               ;   in Loop: Header=BB28_14 Depth=2
	s_mov_b64 s[22:23], 0
	s_branch .LBB28_17
.LBB28_16:                              ;   in Loop: Header=BB28_17 Depth=3
	s_or_b64 exec, exec, s[28:29]
	s_and_b64 s[24:25], exec, s[26:27]
	s_or_b64 s[22:23], s[24:25], s[22:23]
	s_andn2_b64 exec, exec, s[22:23]
	s_cbranch_execz .LBB28_12
.LBB28_17:                              ;   Parent Loop BB28_10 Depth=1
                                        ;     Parent Loop BB28_14 Depth=2
                                        ; =>    This Inner Loop Header: Depth=3
	v_cmp_ne_u32_e32 vcc, s33, v20
	s_mov_b64 s[24:25], 0
	s_and_saveexec_b64 s[26:27], vcc
	s_xor_b64 s[26:27], exec, s[26:27]
	s_cbranch_execz .LBB28_19
; %bb.18:                               ;   in Loop: Header=BB28_17 Depth=3
	v_add_u32_e32 v7, 1, v7
	s_mov_b64 s[24:25], exec
	v_and_b32_e32 v7, 0x7ff, v7
                                        ; implicit-def: $vgpr19
	s_andn2_saveexec_b64 s[26:27], s[26:27]
	s_cbranch_execz .LBB28_21
	s_branch .LBB28_20
.LBB28_19:                              ;   in Loop: Header=BB28_17 Depth=3
	s_andn2_saveexec_b64 s[26:27], s[26:27]
	s_cbranch_execz .LBB28_21
.LBB28_20:                              ;   in Loop: Header=BB28_17 Depth=3
	v_mov_b32_e32 v20, s33
	ds_cmpst_rtn_b32 v19, v19, v20, v9
	s_andn2_b64 s[24:25], s[24:25], exec
	s_waitcnt lgkmcnt(0)
	v_cmp_ne_u32_e32 vcc, s33, v19
	s_and_b64 s[28:29], vcc, exec
	s_or_b64 s[24:25], s[24:25], s[28:29]
.LBB28_21:                              ;   in Loop: Header=BB28_17 Depth=3
	s_or_b64 exec, exec, s[26:27]
	s_mov_b64 s[26:27], -1
                                        ; implicit-def: $vgpr19
                                        ; implicit-def: $vgpr20
	s_and_saveexec_b64 s[28:29], s[24:25]
	s_cbranch_execz .LBB28_16
; %bb.22:                               ;   in Loop: Header=BB28_17 Depth=3
	v_lshl_add_u32 v19, v7, 2, 0
	ds_read_b32 v20, v19
	s_waitcnt lgkmcnt(0)
	v_cmp_eq_u32_e32 vcc, v20, v9
	s_orn2_b64 s[26:27], vcc, exec
	s_branch .LBB28_16
.LBB28_23:
	s_or_b64 exec, exec, s[0:1]
.LBB28_24:
	s_andn2_b64 vcc, exec, s[20:21]
	s_cbranch_vccnz .LBB28_39
; %bb.25:
	s_waitcnt lgkmcnt(0)
	s_ashr_i32 s75, s74, 31
	s_lshl_b64 s[0:1], s[74:75], 2
	s_add_u32 s0, s60, s0
	s_addc_u32 s1, s61, s1
	s_load_dwordx2 s[2:3], s[0:1], 0x0
	s_waitcnt vmcnt(0)
	v_subrev_u32_e32 v4, s71, v0
	s_waitcnt lgkmcnt(0)
	s_sub_i32 s14, s3, s71
	v_add_u32_e32 v4, s2, v4
	v_cmp_gt_i32_e32 vcc, s14, v4
	s_and_saveexec_b64 s[0:1], vcc
	s_cbranch_execz .LBB28_38
; %bb.26:
	s_mov_b64 s[2:3], 0
	s_movk_i32 s15, 0x89
	s_branch .LBB28_29
.LBB28_27:                              ;   in Loop: Header=BB28_29 Depth=1
	s_or_b64 exec, exec, s[6:7]
.LBB28_28:                              ;   in Loop: Header=BB28_29 Depth=1
	s_or_b64 exec, exec, s[4:5]
	s_waitcnt vmcnt(0)
	v_mul_f64 v[6:7], v[2:3], v[6:7]
	v_lshl_add_u32 v5, v5, 3, 0
	ds_add_f64 v5, v[6:7] offset:8192
	v_add_u32_e32 v4, 0x400, v4
	v_cmp_le_i32_e32 vcc, s14, v4
	s_or_b64 s[2:3], vcc, s[2:3]
	s_andn2_b64 exec, exec, s[2:3]
	s_cbranch_execz .LBB28_38
.LBB28_29:                              ; =>This Loop Header: Depth=1
                                        ;     Child Loop BB28_32 Depth 2
	v_ashrrev_i32_e32 v5, 31, v4
	v_lshl_add_u64 v[6:7], v[4:5], 2, s[62:63]
	global_load_dword v8, v[6:7], off
	v_lshl_add_u64 v[6:7], v[4:5], 3, s[64:65]
	global_load_dwordx2 v[6:7], v[6:7], off
	s_waitcnt vmcnt(1)
	v_subrev_u32_e32 v8, s71, v8
	v_mul_lo_u32 v5, v8, s15
	v_and_b32_e32 v5, 0x7ff, v5
	v_lshl_add_u32 v9, v5, 2, 0
	ds_read_b32 v10, v9
	s_waitcnt lgkmcnt(0)
	v_cmp_ne_u32_e32 vcc, v10, v8
	s_and_saveexec_b64 s[4:5], vcc
	s_cbranch_execz .LBB28_28
; %bb.30:                               ;   in Loop: Header=BB28_29 Depth=1
	s_mov_b64 s[6:7], 0
	s_branch .LBB28_32
.LBB28_31:                              ;   in Loop: Header=BB28_32 Depth=2
	s_or_b64 exec, exec, s[12:13]
	s_and_b64 s[8:9], exec, s[10:11]
	s_or_b64 s[6:7], s[8:9], s[6:7]
	s_andn2_b64 exec, exec, s[6:7]
	s_cbranch_execz .LBB28_27
.LBB28_32:                              ;   Parent Loop BB28_29 Depth=1
                                        ; =>  This Inner Loop Header: Depth=2
	v_cmp_ne_u32_e32 vcc, s33, v10
	s_mov_b64 s[8:9], 0
	s_and_saveexec_b64 s[10:11], vcc
	s_xor_b64 s[10:11], exec, s[10:11]
	s_cbranch_execz .LBB28_34
; %bb.33:                               ;   in Loop: Header=BB28_32 Depth=2
	v_add_u32_e32 v5, 1, v5
	s_mov_b64 s[8:9], exec
	v_and_b32_e32 v5, 0x7ff, v5
                                        ; implicit-def: $vgpr9
	s_andn2_saveexec_b64 s[10:11], s[10:11]
	s_cbranch_execz .LBB28_36
	s_branch .LBB28_35
.LBB28_34:                              ;   in Loop: Header=BB28_32 Depth=2
	s_andn2_saveexec_b64 s[10:11], s[10:11]
	s_cbranch_execz .LBB28_36
.LBB28_35:                              ;   in Loop: Header=BB28_32 Depth=2
	v_mov_b32_e32 v10, s33
	ds_cmpst_rtn_b32 v9, v9, v10, v8
	s_andn2_b64 s[8:9], s[8:9], exec
	s_waitcnt lgkmcnt(0)
	v_cmp_ne_u32_e32 vcc, s33, v9
	s_and_b64 s[12:13], vcc, exec
	s_or_b64 s[8:9], s[8:9], s[12:13]
.LBB28_36:                              ;   in Loop: Header=BB28_32 Depth=2
	s_or_b64 exec, exec, s[10:11]
	s_mov_b64 s[10:11], -1
                                        ; implicit-def: $vgpr9
                                        ; implicit-def: $vgpr10
	s_and_saveexec_b64 s[12:13], s[8:9]
	s_cbranch_execz .LBB28_31
; %bb.37:                               ;   in Loop: Header=BB28_32 Depth=2
	v_lshl_add_u32 v9, v5, 2, 0
	ds_read_b32 v10, v9
	s_waitcnt lgkmcnt(0)
	v_cmp_eq_u32_e32 vcc, v10, v8
	s_orn2_b64 s[10:11], vcc, exec
	s_branch .LBB28_31
.LBB28_38:
	s_or_b64 exec, exec, s[0:1]
.LBB28_39:
	s_waitcnt vmcnt(0)
	v_mbcnt_lo_u32_b32 v2, -1, 0
	v_mbcnt_hi_u32_b32 v2, -1, v2
	v_sub_u32_e32 v2, 63, v2
	s_movk_i32 s0, 0x3ff
	s_movk_i32 s6, 0x5f
	;; [unrolled: 1-line block ×30, first 2 shown]
	v_mov_b32_e32 v6, 0
	v_lshrrev_b64 v[2:3], v2, -1
	v_lshl_add_u32 v7, v16, 2, 0
	v_cmp_eq_u32_e64 s[0:1], s0, v0
	v_cmp_lt_u32_e64 s[2:3], 31, v0
	v_cmp_lt_u32_e64 s[4:5], 63, v0
	;; [unrolled: 1-line block ×31, first 2 shown]
	s_mov_b64 s[68:69], 0
	v_mov_b32_e32 v8, 0
	s_waitcnt lgkmcnt(0)
	s_barrier
	s_branch .LBB28_41
.LBB28_40:                              ;   in Loop: Header=BB28_41 Depth=1
	s_or_b64 exec, exec, s[76:77]
	s_waitcnt lgkmcnt(0)
	s_barrier
	ds_read_b32 v4, v6 offset:24700
	v_add_co_u32_e32 v14, vcc, 0x400, v14
	s_xor_b64 s[76:77], vcc, -1
	s_and_b64 s[76:77], exec, s[76:77]
	v_add_u32_e32 v1, 0x2000, v1
	s_waitcnt lgkmcnt(0)
	v_add_u32_e32 v8, v4, v8
	s_or_b64 s[68:69], s[76:77], s[68:69]
	v_add_u32_e32 v15, 0x1000, v15
	s_andn2_b64 exec, exec, s[68:69]
	s_cbranch_execz .LBB28_107
.LBB28_41:                              ; =>This Inner Loop Header: Depth=1
	ds_read_b32 v9, v15
	ds_read_b64 v[4:5], v1
	s_waitcnt lgkmcnt(0)
	s_barrier
	v_cmp_gt_i32_e32 vcc, s33, v9
	s_bcnt1_i32_b64 s71, vcc
	s_nop 0
	v_and_b32_e32 v11, vcc_lo, v2
	v_and_b32_e32 v10, vcc_hi, v3
	v_bcnt_u32_b32 v11, v11, 0
	v_bcnt_u32_b32 v10, v10, v11
	v_mov_b32_e32 v11, s71
	ds_write_b32 v7, v11 offset:24576
	s_waitcnt lgkmcnt(0)
	s_barrier
	s_and_saveexec_b64 s[76:77], s[2:3]
	s_cbranch_execz .LBB28_74
; %bb.42:                               ;   in Loop: Header=BB28_41 Depth=1
	ds_read_b32 v11, v6 offset:24576
	s_waitcnt lgkmcnt(0)
	v_add_u32_e32 v10, v11, v10
	s_or_b64 exec, exec, s[76:77]
	s_and_saveexec_b64 s[76:77], s[4:5]
	s_cbranch_execnz .LBB28_75
.LBB28_43:                              ;   in Loop: Header=BB28_41 Depth=1
	s_or_b64 exec, exec, s[76:77]
	s_and_saveexec_b64 s[76:77], s[6:7]
	s_cbranch_execz .LBB28_76
.LBB28_44:                              ;   in Loop: Header=BB28_41 Depth=1
	ds_read_b32 v11, v6 offset:24584
	s_waitcnt lgkmcnt(0)
	v_add_u32_e32 v10, v11, v10
	s_or_b64 exec, exec, s[76:77]
	s_and_saveexec_b64 s[76:77], s[8:9]
	s_cbranch_execnz .LBB28_77
.LBB28_45:                              ;   in Loop: Header=BB28_41 Depth=1
	s_or_b64 exec, exec, s[76:77]
	s_and_saveexec_b64 s[76:77], s[10:11]
	s_cbranch_execz .LBB28_78
.LBB28_46:                              ;   in Loop: Header=BB28_41 Depth=1
	ds_read_b32 v11, v6 offset:24592
	s_waitcnt lgkmcnt(0)
	v_add_u32_e32 v10, v11, v10
	s_or_b64 exec, exec, s[76:77]
	s_and_saveexec_b64 s[76:77], s[12:13]
	s_cbranch_execnz .LBB28_79
.LBB28_47:                              ;   in Loop: Header=BB28_41 Depth=1
	s_or_b64 exec, exec, s[76:77]
	s_and_saveexec_b64 s[76:77], s[14:15]
	s_cbranch_execz .LBB28_80
.LBB28_48:                              ;   in Loop: Header=BB28_41 Depth=1
	ds_read_b32 v11, v6 offset:24600
	s_waitcnt lgkmcnt(0)
	v_add_u32_e32 v10, v11, v10
	s_or_b64 exec, exec, s[76:77]
	s_and_saveexec_b64 s[76:77], s[16:17]
	s_cbranch_execnz .LBB28_81
.LBB28_49:                              ;   in Loop: Header=BB28_41 Depth=1
	s_or_b64 exec, exec, s[76:77]
	s_and_saveexec_b64 s[76:77], s[18:19]
	s_cbranch_execz .LBB28_82
.LBB28_50:                              ;   in Loop: Header=BB28_41 Depth=1
	ds_read_b32 v11, v6 offset:24608
	s_waitcnt lgkmcnt(0)
	v_add_u32_e32 v10, v11, v10
	s_or_b64 exec, exec, s[76:77]
	s_and_saveexec_b64 s[76:77], s[20:21]
	s_cbranch_execnz .LBB28_83
.LBB28_51:                              ;   in Loop: Header=BB28_41 Depth=1
	s_or_b64 exec, exec, s[76:77]
	s_and_saveexec_b64 s[76:77], s[22:23]
	s_cbranch_execz .LBB28_84
.LBB28_52:                              ;   in Loop: Header=BB28_41 Depth=1
	ds_read_b32 v11, v6 offset:24616
	s_waitcnt lgkmcnt(0)
	v_add_u32_e32 v10, v11, v10
	s_or_b64 exec, exec, s[76:77]
	s_and_saveexec_b64 s[76:77], s[24:25]
	s_cbranch_execnz .LBB28_85
.LBB28_53:                              ;   in Loop: Header=BB28_41 Depth=1
	s_or_b64 exec, exec, s[76:77]
	s_and_saveexec_b64 s[76:77], s[26:27]
	s_cbranch_execz .LBB28_86
.LBB28_54:                              ;   in Loop: Header=BB28_41 Depth=1
	ds_read_b32 v11, v6 offset:24624
	s_waitcnt lgkmcnt(0)
	v_add_u32_e32 v10, v11, v10
	s_or_b64 exec, exec, s[76:77]
	s_and_saveexec_b64 s[76:77], s[28:29]
	s_cbranch_execnz .LBB28_87
.LBB28_55:                              ;   in Loop: Header=BB28_41 Depth=1
	s_or_b64 exec, exec, s[76:77]
	s_and_saveexec_b64 s[76:77], s[30:31]
	s_cbranch_execz .LBB28_88
.LBB28_56:                              ;   in Loop: Header=BB28_41 Depth=1
	ds_read_b32 v11, v6 offset:24632
	s_waitcnt lgkmcnt(0)
	v_add_u32_e32 v10, v11, v10
	s_or_b64 exec, exec, s[76:77]
	s_and_saveexec_b64 s[76:77], s[34:35]
	s_cbranch_execnz .LBB28_89
.LBB28_57:                              ;   in Loop: Header=BB28_41 Depth=1
	s_or_b64 exec, exec, s[76:77]
	s_and_saveexec_b64 s[76:77], s[36:37]
	s_cbranch_execz .LBB28_90
.LBB28_58:                              ;   in Loop: Header=BB28_41 Depth=1
	ds_read_b32 v11, v6 offset:24640
	s_waitcnt lgkmcnt(0)
	v_add_u32_e32 v10, v11, v10
	s_or_b64 exec, exec, s[76:77]
	s_and_saveexec_b64 s[76:77], s[38:39]
	s_cbranch_execnz .LBB28_91
.LBB28_59:                              ;   in Loop: Header=BB28_41 Depth=1
	s_or_b64 exec, exec, s[76:77]
	s_and_saveexec_b64 s[76:77], s[40:41]
	s_cbranch_execz .LBB28_92
.LBB28_60:                              ;   in Loop: Header=BB28_41 Depth=1
	ds_read_b32 v11, v6 offset:24648
	s_waitcnt lgkmcnt(0)
	v_add_u32_e32 v10, v11, v10
	s_or_b64 exec, exec, s[76:77]
	s_and_saveexec_b64 s[76:77], s[42:43]
	s_cbranch_execnz .LBB28_93
.LBB28_61:                              ;   in Loop: Header=BB28_41 Depth=1
	s_or_b64 exec, exec, s[76:77]
	s_and_saveexec_b64 s[76:77], s[44:45]
	s_cbranch_execz .LBB28_94
.LBB28_62:                              ;   in Loop: Header=BB28_41 Depth=1
	ds_read_b32 v11, v6 offset:24656
	s_waitcnt lgkmcnt(0)
	v_add_u32_e32 v10, v11, v10
	s_or_b64 exec, exec, s[76:77]
	s_and_saveexec_b64 s[76:77], s[46:47]
	s_cbranch_execnz .LBB28_95
.LBB28_63:                              ;   in Loop: Header=BB28_41 Depth=1
	s_or_b64 exec, exec, s[76:77]
	s_and_saveexec_b64 s[76:77], s[48:49]
	s_cbranch_execz .LBB28_96
.LBB28_64:                              ;   in Loop: Header=BB28_41 Depth=1
	ds_read_b32 v11, v6 offset:24664
	s_waitcnt lgkmcnt(0)
	v_add_u32_e32 v10, v11, v10
	s_or_b64 exec, exec, s[76:77]
	s_and_saveexec_b64 s[76:77], s[50:51]
	s_cbranch_execnz .LBB28_97
.LBB28_65:                              ;   in Loop: Header=BB28_41 Depth=1
	s_or_b64 exec, exec, s[76:77]
	s_and_saveexec_b64 s[76:77], s[52:53]
	s_cbranch_execz .LBB28_98
.LBB28_66:                              ;   in Loop: Header=BB28_41 Depth=1
	ds_read_b32 v11, v6 offset:24672
	s_waitcnt lgkmcnt(0)
	v_add_u32_e32 v10, v11, v10
	s_or_b64 exec, exec, s[76:77]
	s_and_saveexec_b64 s[76:77], s[54:55]
	s_cbranch_execnz .LBB28_99
.LBB28_67:                              ;   in Loop: Header=BB28_41 Depth=1
	s_or_b64 exec, exec, s[76:77]
	s_and_saveexec_b64 s[76:77], s[56:57]
	s_cbranch_execz .LBB28_100
.LBB28_68:                              ;   in Loop: Header=BB28_41 Depth=1
	ds_read_b32 v11, v6 offset:24680
	s_waitcnt lgkmcnt(0)
	v_add_u32_e32 v10, v11, v10
	s_or_b64 exec, exec, s[76:77]
	s_and_saveexec_b64 s[76:77], s[58:59]
	s_cbranch_execnz .LBB28_101
.LBB28_69:                              ;   in Loop: Header=BB28_41 Depth=1
	s_or_b64 exec, exec, s[76:77]
	s_and_saveexec_b64 s[76:77], s[60:61]
	s_cbranch_execz .LBB28_102
.LBB28_70:                              ;   in Loop: Header=BB28_41 Depth=1
	ds_read_b32 v11, v6 offset:24688
	s_waitcnt lgkmcnt(0)
	v_add_u32_e32 v10, v11, v10
	s_or_b64 exec, exec, s[76:77]
	s_and_saveexec_b64 s[76:77], s[62:63]
	s_cbranch_execnz .LBB28_103
.LBB28_71:                              ;   in Loop: Header=BB28_41 Depth=1
	s_or_b64 exec, exec, s[76:77]
	s_and_saveexec_b64 s[76:77], s[64:65]
	s_cbranch_execz .LBB28_104
.LBB28_72:                              ;   in Loop: Header=BB28_41 Depth=1
	ds_read_b32 v11, v6 offset:24696
	s_waitcnt lgkmcnt(0)
	v_add_u32_e32 v10, v11, v10
	s_or_b64 exec, exec, s[76:77]
	s_and_saveexec_b64 s[76:77], vcc
	s_cbranch_execnz .LBB28_105
.LBB28_73:                              ;   in Loop: Header=BB28_41 Depth=1
	s_or_b64 exec, exec, s[76:77]
	s_and_saveexec_b64 s[76:77], s[0:1]
	s_cbranch_execz .LBB28_40
	s_branch .LBB28_106
.LBB28_74:                              ;   in Loop: Header=BB28_41 Depth=1
	s_or_b64 exec, exec, s[76:77]
	s_and_saveexec_b64 s[76:77], s[4:5]
	s_cbranch_execz .LBB28_43
.LBB28_75:                              ;   in Loop: Header=BB28_41 Depth=1
	ds_read_b32 v11, v6 offset:24580
	s_waitcnt lgkmcnt(0)
	v_add_u32_e32 v10, v11, v10
	s_or_b64 exec, exec, s[76:77]
	s_and_saveexec_b64 s[76:77], s[6:7]
	s_cbranch_execnz .LBB28_44
.LBB28_76:                              ;   in Loop: Header=BB28_41 Depth=1
	s_or_b64 exec, exec, s[76:77]
	s_and_saveexec_b64 s[76:77], s[8:9]
	s_cbranch_execz .LBB28_45
.LBB28_77:                              ;   in Loop: Header=BB28_41 Depth=1
	ds_read_b32 v11, v6 offset:24588
	s_waitcnt lgkmcnt(0)
	v_add_u32_e32 v10, v11, v10
	s_or_b64 exec, exec, s[76:77]
	s_and_saveexec_b64 s[76:77], s[10:11]
	s_cbranch_execnz .LBB28_46
.LBB28_78:                              ;   in Loop: Header=BB28_41 Depth=1
	s_or_b64 exec, exec, s[76:77]
	s_and_saveexec_b64 s[76:77], s[12:13]
	s_cbranch_execz .LBB28_47
.LBB28_79:                              ;   in Loop: Header=BB28_41 Depth=1
	ds_read_b32 v11, v6 offset:24596
	s_waitcnt lgkmcnt(0)
	v_add_u32_e32 v10, v11, v10
	s_or_b64 exec, exec, s[76:77]
	s_and_saveexec_b64 s[76:77], s[14:15]
	s_cbranch_execnz .LBB28_48
.LBB28_80:                              ;   in Loop: Header=BB28_41 Depth=1
	s_or_b64 exec, exec, s[76:77]
	s_and_saveexec_b64 s[76:77], s[16:17]
	s_cbranch_execz .LBB28_49
.LBB28_81:                              ;   in Loop: Header=BB28_41 Depth=1
	ds_read_b32 v11, v6 offset:24604
	s_waitcnt lgkmcnt(0)
	v_add_u32_e32 v10, v11, v10
	s_or_b64 exec, exec, s[76:77]
	s_and_saveexec_b64 s[76:77], s[18:19]
	s_cbranch_execnz .LBB28_50
.LBB28_82:                              ;   in Loop: Header=BB28_41 Depth=1
	s_or_b64 exec, exec, s[76:77]
	s_and_saveexec_b64 s[76:77], s[20:21]
	s_cbranch_execz .LBB28_51
.LBB28_83:                              ;   in Loop: Header=BB28_41 Depth=1
	ds_read_b32 v11, v6 offset:24612
	s_waitcnt lgkmcnt(0)
	v_add_u32_e32 v10, v11, v10
	s_or_b64 exec, exec, s[76:77]
	s_and_saveexec_b64 s[76:77], s[22:23]
	s_cbranch_execnz .LBB28_52
.LBB28_84:                              ;   in Loop: Header=BB28_41 Depth=1
	s_or_b64 exec, exec, s[76:77]
	s_and_saveexec_b64 s[76:77], s[24:25]
	s_cbranch_execz .LBB28_53
.LBB28_85:                              ;   in Loop: Header=BB28_41 Depth=1
	ds_read_b32 v11, v6 offset:24620
	s_waitcnt lgkmcnt(0)
	v_add_u32_e32 v10, v11, v10
	s_or_b64 exec, exec, s[76:77]
	s_and_saveexec_b64 s[76:77], s[26:27]
	s_cbranch_execnz .LBB28_54
.LBB28_86:                              ;   in Loop: Header=BB28_41 Depth=1
	s_or_b64 exec, exec, s[76:77]
	s_and_saveexec_b64 s[76:77], s[28:29]
	s_cbranch_execz .LBB28_55
.LBB28_87:                              ;   in Loop: Header=BB28_41 Depth=1
	ds_read_b32 v11, v6 offset:24628
	s_waitcnt lgkmcnt(0)
	v_add_u32_e32 v10, v11, v10
	s_or_b64 exec, exec, s[76:77]
	s_and_saveexec_b64 s[76:77], s[30:31]
	s_cbranch_execnz .LBB28_56
.LBB28_88:                              ;   in Loop: Header=BB28_41 Depth=1
	s_or_b64 exec, exec, s[76:77]
	s_and_saveexec_b64 s[76:77], s[34:35]
	s_cbranch_execz .LBB28_57
.LBB28_89:                              ;   in Loop: Header=BB28_41 Depth=1
	ds_read_b32 v11, v6 offset:24636
	s_waitcnt lgkmcnt(0)
	v_add_u32_e32 v10, v11, v10
	s_or_b64 exec, exec, s[76:77]
	s_and_saveexec_b64 s[76:77], s[36:37]
	s_cbranch_execnz .LBB28_58
.LBB28_90:                              ;   in Loop: Header=BB28_41 Depth=1
	s_or_b64 exec, exec, s[76:77]
	s_and_saveexec_b64 s[76:77], s[38:39]
	s_cbranch_execz .LBB28_59
.LBB28_91:                              ;   in Loop: Header=BB28_41 Depth=1
	ds_read_b32 v11, v6 offset:24644
	s_waitcnt lgkmcnt(0)
	v_add_u32_e32 v10, v11, v10
	s_or_b64 exec, exec, s[76:77]
	s_and_saveexec_b64 s[76:77], s[40:41]
	s_cbranch_execnz .LBB28_60
.LBB28_92:                              ;   in Loop: Header=BB28_41 Depth=1
	s_or_b64 exec, exec, s[76:77]
	s_and_saveexec_b64 s[76:77], s[42:43]
	s_cbranch_execz .LBB28_61
.LBB28_93:                              ;   in Loop: Header=BB28_41 Depth=1
	ds_read_b32 v11, v6 offset:24652
	s_waitcnt lgkmcnt(0)
	v_add_u32_e32 v10, v11, v10
	s_or_b64 exec, exec, s[76:77]
	s_and_saveexec_b64 s[76:77], s[44:45]
	s_cbranch_execnz .LBB28_62
.LBB28_94:                              ;   in Loop: Header=BB28_41 Depth=1
	s_or_b64 exec, exec, s[76:77]
	s_and_saveexec_b64 s[76:77], s[46:47]
	s_cbranch_execz .LBB28_63
.LBB28_95:                              ;   in Loop: Header=BB28_41 Depth=1
	ds_read_b32 v11, v6 offset:24660
	s_waitcnt lgkmcnt(0)
	v_add_u32_e32 v10, v11, v10
	s_or_b64 exec, exec, s[76:77]
	s_and_saveexec_b64 s[76:77], s[48:49]
	s_cbranch_execnz .LBB28_64
.LBB28_96:                              ;   in Loop: Header=BB28_41 Depth=1
	s_or_b64 exec, exec, s[76:77]
	s_and_saveexec_b64 s[76:77], s[50:51]
	s_cbranch_execz .LBB28_65
.LBB28_97:                              ;   in Loop: Header=BB28_41 Depth=1
	ds_read_b32 v11, v6 offset:24668
	s_waitcnt lgkmcnt(0)
	v_add_u32_e32 v10, v11, v10
	s_or_b64 exec, exec, s[76:77]
	s_and_saveexec_b64 s[76:77], s[52:53]
	s_cbranch_execnz .LBB28_66
.LBB28_98:                              ;   in Loop: Header=BB28_41 Depth=1
	s_or_b64 exec, exec, s[76:77]
	s_and_saveexec_b64 s[76:77], s[54:55]
	s_cbranch_execz .LBB28_67
.LBB28_99:                              ;   in Loop: Header=BB28_41 Depth=1
	ds_read_b32 v11, v6 offset:24676
	s_waitcnt lgkmcnt(0)
	v_add_u32_e32 v10, v11, v10
	s_or_b64 exec, exec, s[76:77]
	s_and_saveexec_b64 s[76:77], s[56:57]
	s_cbranch_execnz .LBB28_68
.LBB28_100:                             ;   in Loop: Header=BB28_41 Depth=1
	s_or_b64 exec, exec, s[76:77]
	s_and_saveexec_b64 s[76:77], s[58:59]
	s_cbranch_execz .LBB28_69
.LBB28_101:                             ;   in Loop: Header=BB28_41 Depth=1
	ds_read_b32 v11, v6 offset:24684
	s_waitcnt lgkmcnt(0)
	v_add_u32_e32 v10, v11, v10
	s_or_b64 exec, exec, s[76:77]
	s_and_saveexec_b64 s[76:77], s[60:61]
	s_cbranch_execnz .LBB28_70
.LBB28_102:                             ;   in Loop: Header=BB28_41 Depth=1
	s_or_b64 exec, exec, s[76:77]
	s_and_saveexec_b64 s[76:77], s[62:63]
	s_cbranch_execz .LBB28_71
.LBB28_103:                             ;   in Loop: Header=BB28_41 Depth=1
	ds_read_b32 v11, v6 offset:24692
	s_waitcnt lgkmcnt(0)
	v_add_u32_e32 v10, v11, v10
	s_or_b64 exec, exec, s[76:77]
	s_and_saveexec_b64 s[76:77], s[64:65]
	s_cbranch_execnz .LBB28_72
.LBB28_104:                             ;   in Loop: Header=BB28_41 Depth=1
	s_or_b64 exec, exec, s[76:77]
	s_and_saveexec_b64 s[76:77], vcc
	s_cbranch_execz .LBB28_73
.LBB28_105:                             ;   in Loop: Header=BB28_41 Depth=1
	v_add3_u32 v11, v8, -1, v10
	v_lshl_add_u32 v11, v11, 2, 0
	v_add_u32_e32 v12, v8, v10
	v_lshl_add_u32 v12, v12, 3, 0
	ds_write_b32 v11, v9
	ds_write_b64 v12, v[4:5] offset:8184
	s_or_b64 exec, exec, s[76:77]
	s_and_saveexec_b64 s[76:77], s[0:1]
	s_cbranch_execz .LBB28_40
.LBB28_106:                             ;   in Loop: Header=BB28_41 Depth=1
	ds_write_b32 v6, v10 offset:24700
	s_branch .LBB28_40
.LBB28_107:
	s_or_b64 exec, exec, s[68:69]
	s_ashr_i32 s75, s74, 31
	s_lshl_b64 s[0:1], s[74:75], 2
	s_add_u32 s2, s66, s0
	s_addc_u32 s3, s67, s1
	s_load_dwordx2 s[0:1], s[2:3], 0x0
	s_waitcnt lgkmcnt(0)
	s_sub_i32 s14, s1, s0
	v_cmp_gt_i32_e32 vcc, s14, v0
	s_and_saveexec_b64 s[2:3], vcc
	s_cbranch_execz .LBB28_121
; %bb.108:
	s_sub_i32 s8, s0, s70
	v_sub_co_u32_e64 v1, s[0:1], s14, 2
	s_nop 0
	v_readfirstlane_b32 s2, v1
	s_lshr_b32 s2, s2, 1
	s_add_i32 s2, s2, 1
	s_xor_b64 s[0:1], s[0:1], -1
	s_and_b32 s15, s14, -2
	s_and_b32 s3, s2, 7
	s_and_b32 s16, s2, -8
	s_cmp_lg_u32 s3, 0
	v_cmp_lt_u32_e32 vcc, 13, v1
	s_cselect_b64 s[4:5], -1, 0
	s_cmp_lg_u32 s14, s15
	v_cndmask_b32_e64 v1, 0, 1, vcc
	s_cselect_b64 s[10:11], -1, 0
	s_lshl_b32 s17, s3, 3
	v_cndmask_b32_e64 v2, 0, 1, s[0:1]
	v_cmp_ne_u32_e64 s[2:3], 1, v1
	v_cndmask_b32_e64 v1, 0, 1, s[4:5]
	s_mov_b32 s9, 0
	s_mov_b64 s[12:13], 0
	v_cmp_ne_u32_e64 s[0:1], 1, v2
	v_cmp_ne_u32_e64 s[4:5], 1, v1
	s_branch .LBB28_110
.LBB28_109:                             ;   in Loop: Header=BB28_110 Depth=1
	v_add_u32_e32 v0, 0x400, v0
	v_ashrrev_i32_e32 v5, 31, v4
	v_cmp_le_i32_e32 vcc, s14, v0
	v_lshl_add_u64 v[4:5], v[4:5], 3, s[72:73]
	s_or_b64 s[12:13], vcc, s[12:13]
	s_waitcnt lgkmcnt(0)
	global_store_dwordx2 v[4:5], v[2:3], off
	s_andn2_b64 exec, exec, s[12:13]
	s_cbranch_execz .LBB28_121
.LBB28_110:                             ; =>This Loop Header: Depth=1
                                        ;     Child Loop BB28_113 Depth 2
                                        ;     Child Loop BB28_116 Depth 2
	;; [unrolled: 1-line block ×3, first 2 shown]
	v_lshlrev_b32_e32 v1, 2, v0
	v_add_u32_e32 v2, 0, v1
	v_add_u32_e32 v3, v2, v1
	ds_read_b32 v1, v2
	ds_read_b64 v[2:3], v3 offset:8192
	s_and_b64 vcc, exec, s[0:1]
	v_mov_b32_e32 v4, s8
	s_mov_b32 s18, 0
	s_mov_b64 s[6:7], -1
	s_cbranch_vccnz .LBB28_118
; %bb.111:                              ;   in Loop: Header=BB28_110 Depth=1
	s_and_b64 vcc, exec, s[2:3]
	v_mov_b64_e32 v[4:5], s[8:9]
	s_cbranch_vccnz .LBB28_114
; %bb.112:                              ;   in Loop: Header=BB28_110 Depth=1
	s_mov_b32 s19, 0
	v_mov_b32_e32 v4, s8
	v_mov_b32_e32 v5, 0
	s_mov_b32 s20, s16
.LBB28_113:                             ;   Parent Loop BB28_110 Depth=1
                                        ; =>  This Inner Loop Header: Depth=2
	v_mov_b32_e32 v20, s19
	ds_read2_b32 v[6:7], v20 offset1:1
	ds_read2_b32 v[8:9], v20 offset0:2 offset1:3
	ds_read2_b32 v[10:11], v20 offset0:4 offset1:5
	;; [unrolled: 1-line block ×7, first 2 shown]
	s_waitcnt lgkmcnt(7)
	v_cmp_gt_i32_e32 vcc, v1, v7
	s_waitcnt lgkmcnt(5)
	v_cmp_gt_i32_e64 s[6:7], v1, v10
	s_add_i32 s18, s18, 16
	v_cndmask_b32_e64 v7, 0, 1, vcc
	v_cmp_gt_i32_e32 vcc, v1, v6
	s_add_i32 s19, s19, 64
	s_add_i32 s20, s20, -8
	v_cndmask_b32_e64 v6, 0, 1, vcc
	v_cmp_gt_i32_e32 vcc, v1, v9
	v_cndmask_b32_e64 v9, 0, 1, s[6:7]
	v_cmp_gt_i32_e64 s[6:7], v1, v11
	v_addc_co_u32_e32 v5, vcc, v5, v7, vcc
	s_nop 0
	v_cndmask_b32_e64 v10, 0, 1, s[6:7]
	s_waitcnt lgkmcnt(3)
	v_cmp_gt_i32_e64 s[6:7], v1, v15
	v_cmp_gt_i32_e32 vcc, v1, v12
	s_cmp_lg_u32 s20, 0
	v_cndmask_b32_e64 v11, 0, 1, s[6:7]
	v_cmp_gt_i32_e64 s[6:7], v1, v14
	s_nop 1
	v_cndmask_b32_e64 v14, 0, 1, s[6:7]
	s_waitcnt lgkmcnt(1)
	v_cmp_gt_i32_e64 s[6:7], v1, v18
	s_nop 1
	v_cndmask_b32_e64 v15, 0, 1, s[6:7]
	v_cmp_gt_i32_e64 s[6:7], v1, v19
	s_nop 1
	v_cndmask_b32_e64 v18, 0, 1, s[6:7]
	v_cmp_gt_i32_e64 s[6:7], v1, v8
	s_nop 1
	v_addc_co_u32_e64 v4, s[6:7], v4, v6, s[6:7]
	v_cmp_gt_i32_e64 s[6:7], v1, v13
	v_addc_co_u32_e32 v4, vcc, v4, v9, vcc
	s_nop 0
	v_addc_co_u32_e64 v5, s[6:7], v5, v10, s[6:7]
	v_cmp_gt_i32_e32 vcc, v1, v17
	v_cmp_gt_i32_e64 s[6:7], v1, v16
	s_nop 0
	v_addc_co_u32_e32 v5, vcc, v5, v11, vcc
	v_addc_co_u32_e64 v4, s[6:7], v4, v14, s[6:7]
	s_waitcnt lgkmcnt(0)
	v_cmp_gt_i32_e32 vcc, v1, v20
	v_cmp_gt_i32_e64 s[6:7], v1, v21
	s_nop 0
	v_addc_co_u32_e32 v4, vcc, v4, v15, vcc
	v_addc_co_u32_e64 v5, s[6:7], v5, v18, s[6:7]
	s_cbranch_scc1 .LBB28_113
.LBB28_114:                             ;   in Loop: Header=BB28_110 Depth=1
	s_and_b64 vcc, exec, s[4:5]
	s_cbranch_vccnz .LBB28_117
; %bb.115:                              ;   in Loop: Header=BB28_110 Depth=1
	s_lshl_b32 s6, s18, 2
	s_add_i32 s6, s6, 0
	s_mov_b32 s7, s17
.LBB28_116:                             ;   Parent Loop BB28_110 Depth=1
                                        ; =>  This Inner Loop Header: Depth=2
	v_mov_b32_e32 v6, s6
	ds_read2_b32 v[6:7], v6 offset1:1
	s_add_i32 s6, s6, 8
	s_add_i32 s7, s7, -8
	s_cmp_lg_u32 s7, 0
	s_waitcnt lgkmcnt(0)
	v_cmp_gt_i32_e32 vcc, v1, v7
	s_nop 1
	v_addc_co_u32_e32 v5, vcc, 0, v5, vcc
	v_cmp_gt_i32_e32 vcc, v1, v6
	s_nop 1
	v_addc_co_u32_e32 v4, vcc, 0, v4, vcc
	s_cbranch_scc1 .LBB28_116
.LBB28_117:                             ;   in Loop: Header=BB28_110 Depth=1
	v_add_u32_e32 v4, v4, v5
	s_mov_b32 s18, s15
	s_mov_b64 s[6:7], s[10:11]
.LBB28_118:                             ;   in Loop: Header=BB28_110 Depth=1
	s_and_b64 vcc, exec, s[6:7]
	s_cbranch_vccz .LBB28_109
; %bb.119:                              ;   in Loop: Header=BB28_110 Depth=1
	s_lshl_b32 s6, s18, 2
	s_add_i32 s6, s6, 0
.LBB28_120:                             ;   Parent Loop BB28_110 Depth=1
                                        ; =>  This Inner Loop Header: Depth=2
	v_mov_b32_e32 v5, s6
	ds_read_b32 v5, v5
	s_add_i32 s18, s18, 1
	s_add_i32 s6, s6, 4
	s_cmp_ge_i32 s18, s14
	s_waitcnt lgkmcnt(0)
	v_cmp_gt_i32_e32 vcc, v1, v5
	s_nop 1
	v_addc_co_u32_e32 v4, vcc, 0, v4, vcc
	s_cbranch_scc0 .LBB28_120
	s_branch .LBB28_109
.LBB28_121:
	s_endpgm
	.section	.rodata,"a",@progbits
	.p2align	6, 0x0
	.amdhsa_kernel _ZN9rocsparseL41csrgemm_numeric_fill_block_per_row_kernelILj1024ELj32ELj2048ELj137ELj32EiidEEvT5_PKS1_S3_NS_24const_host_device_scalarIT6_EEPKT4_S3_PKS5_S9_S3_SB_S6_S9_S3_SB_S9_S3_PS5_21rocsparse_index_base_SD_SD_SD_bbb
		.amdhsa_group_segment_fixed_size 0
		.amdhsa_private_segment_fixed_size 0
		.amdhsa_kernarg_size 156
		.amdhsa_user_sgpr_count 2
		.amdhsa_user_sgpr_dispatch_ptr 0
		.amdhsa_user_sgpr_queue_ptr 0
		.amdhsa_user_sgpr_kernarg_segment_ptr 1
		.amdhsa_user_sgpr_dispatch_id 0
		.amdhsa_user_sgpr_kernarg_preload_length 0
		.amdhsa_user_sgpr_kernarg_preload_offset 0
		.amdhsa_user_sgpr_private_segment_size 0
		.amdhsa_uses_dynamic_stack 0
		.amdhsa_enable_private_segment 0
		.amdhsa_system_sgpr_workgroup_id_x 1
		.amdhsa_system_sgpr_workgroup_id_y 0
		.amdhsa_system_sgpr_workgroup_id_z 0
		.amdhsa_system_sgpr_workgroup_info 0
		.amdhsa_system_vgpr_workitem_id 0
		.amdhsa_next_free_vgpr 22
		.amdhsa_next_free_sgpr 78
		.amdhsa_accum_offset 24
		.amdhsa_reserve_vcc 1
		.amdhsa_float_round_mode_32 0
		.amdhsa_float_round_mode_16_64 0
		.amdhsa_float_denorm_mode_32 3
		.amdhsa_float_denorm_mode_16_64 3
		.amdhsa_dx10_clamp 1
		.amdhsa_ieee_mode 1
		.amdhsa_fp16_overflow 0
		.amdhsa_tg_split 0
		.amdhsa_exception_fp_ieee_invalid_op 0
		.amdhsa_exception_fp_denorm_src 0
		.amdhsa_exception_fp_ieee_div_zero 0
		.amdhsa_exception_fp_ieee_overflow 0
		.amdhsa_exception_fp_ieee_underflow 0
		.amdhsa_exception_fp_ieee_inexact 0
		.amdhsa_exception_int_div_zero 0
	.end_amdhsa_kernel
	.section	.text._ZN9rocsparseL41csrgemm_numeric_fill_block_per_row_kernelILj1024ELj32ELj2048ELj137ELj32EiidEEvT5_PKS1_S3_NS_24const_host_device_scalarIT6_EEPKT4_S3_PKS5_S9_S3_SB_S6_S9_S3_SB_S9_S3_PS5_21rocsparse_index_base_SD_SD_SD_bbb,"axG",@progbits,_ZN9rocsparseL41csrgemm_numeric_fill_block_per_row_kernelILj1024ELj32ELj2048ELj137ELj32EiidEEvT5_PKS1_S3_NS_24const_host_device_scalarIT6_EEPKT4_S3_PKS5_S9_S3_SB_S6_S9_S3_SB_S9_S3_PS5_21rocsparse_index_base_SD_SD_SD_bbb,comdat
.Lfunc_end28:
	.size	_ZN9rocsparseL41csrgemm_numeric_fill_block_per_row_kernelILj1024ELj32ELj2048ELj137ELj32EiidEEvT5_PKS1_S3_NS_24const_host_device_scalarIT6_EEPKT4_S3_PKS5_S9_S3_SB_S6_S9_S3_SB_S9_S3_PS5_21rocsparse_index_base_SD_SD_SD_bbb, .Lfunc_end28-_ZN9rocsparseL41csrgemm_numeric_fill_block_per_row_kernelILj1024ELj32ELj2048ELj137ELj32EiidEEvT5_PKS1_S3_NS_24const_host_device_scalarIT6_EEPKT4_S3_PKS5_S9_S3_SB_S6_S9_S3_SB_S9_S3_PS5_21rocsparse_index_base_SD_SD_SD_bbb
                                        ; -- End function
	.set _ZN9rocsparseL41csrgemm_numeric_fill_block_per_row_kernelILj1024ELj32ELj2048ELj137ELj32EiidEEvT5_PKS1_S3_NS_24const_host_device_scalarIT6_EEPKT4_S3_PKS5_S9_S3_SB_S6_S9_S3_SB_S9_S3_PS5_21rocsparse_index_base_SD_SD_SD_bbb.num_vgpr, 22
	.set _ZN9rocsparseL41csrgemm_numeric_fill_block_per_row_kernelILj1024ELj32ELj2048ELj137ELj32EiidEEvT5_PKS1_S3_NS_24const_host_device_scalarIT6_EEPKT4_S3_PKS5_S9_S3_SB_S6_S9_S3_SB_S9_S3_PS5_21rocsparse_index_base_SD_SD_SD_bbb.num_agpr, 0
	.set _ZN9rocsparseL41csrgemm_numeric_fill_block_per_row_kernelILj1024ELj32ELj2048ELj137ELj32EiidEEvT5_PKS1_S3_NS_24const_host_device_scalarIT6_EEPKT4_S3_PKS5_S9_S3_SB_S6_S9_S3_SB_S9_S3_PS5_21rocsparse_index_base_SD_SD_SD_bbb.numbered_sgpr, 78
	.set _ZN9rocsparseL41csrgemm_numeric_fill_block_per_row_kernelILj1024ELj32ELj2048ELj137ELj32EiidEEvT5_PKS1_S3_NS_24const_host_device_scalarIT6_EEPKT4_S3_PKS5_S9_S3_SB_S6_S9_S3_SB_S9_S3_PS5_21rocsparse_index_base_SD_SD_SD_bbb.num_named_barrier, 0
	.set _ZN9rocsparseL41csrgemm_numeric_fill_block_per_row_kernelILj1024ELj32ELj2048ELj137ELj32EiidEEvT5_PKS1_S3_NS_24const_host_device_scalarIT6_EEPKT4_S3_PKS5_S9_S3_SB_S6_S9_S3_SB_S9_S3_PS5_21rocsparse_index_base_SD_SD_SD_bbb.private_seg_size, 0
	.set _ZN9rocsparseL41csrgemm_numeric_fill_block_per_row_kernelILj1024ELj32ELj2048ELj137ELj32EiidEEvT5_PKS1_S3_NS_24const_host_device_scalarIT6_EEPKT4_S3_PKS5_S9_S3_SB_S6_S9_S3_SB_S9_S3_PS5_21rocsparse_index_base_SD_SD_SD_bbb.uses_vcc, 1
	.set _ZN9rocsparseL41csrgemm_numeric_fill_block_per_row_kernelILj1024ELj32ELj2048ELj137ELj32EiidEEvT5_PKS1_S3_NS_24const_host_device_scalarIT6_EEPKT4_S3_PKS5_S9_S3_SB_S6_S9_S3_SB_S9_S3_PS5_21rocsparse_index_base_SD_SD_SD_bbb.uses_flat_scratch, 0
	.set _ZN9rocsparseL41csrgemm_numeric_fill_block_per_row_kernelILj1024ELj32ELj2048ELj137ELj32EiidEEvT5_PKS1_S3_NS_24const_host_device_scalarIT6_EEPKT4_S3_PKS5_S9_S3_SB_S6_S9_S3_SB_S9_S3_PS5_21rocsparse_index_base_SD_SD_SD_bbb.has_dyn_sized_stack, 0
	.set _ZN9rocsparseL41csrgemm_numeric_fill_block_per_row_kernelILj1024ELj32ELj2048ELj137ELj32EiidEEvT5_PKS1_S3_NS_24const_host_device_scalarIT6_EEPKT4_S3_PKS5_S9_S3_SB_S6_S9_S3_SB_S9_S3_PS5_21rocsparse_index_base_SD_SD_SD_bbb.has_recursion, 0
	.set _ZN9rocsparseL41csrgemm_numeric_fill_block_per_row_kernelILj1024ELj32ELj2048ELj137ELj32EiidEEvT5_PKS1_S3_NS_24const_host_device_scalarIT6_EEPKT4_S3_PKS5_S9_S3_SB_S6_S9_S3_SB_S9_S3_PS5_21rocsparse_index_base_SD_SD_SD_bbb.has_indirect_call, 0
	.section	.AMDGPU.csdata,"",@progbits
; Kernel info:
; codeLenInByte = 4044
; TotalNumSgprs: 84
; NumVgprs: 22
; NumAgprs: 0
; TotalNumVgprs: 22
; ScratchSize: 0
; MemoryBound: 0
; FloatMode: 240
; IeeeMode: 1
; LDSByteSize: 0 bytes/workgroup (compile time only)
; SGPRBlocks: 10
; VGPRBlocks: 2
; NumSGPRsForWavesPerEU: 84
; NumVGPRsForWavesPerEU: 22
; AccumOffset: 24
; Occupancy: 8
; WaveLimiterHint : 1
; COMPUTE_PGM_RSRC2:SCRATCH_EN: 0
; COMPUTE_PGM_RSRC2:USER_SGPR: 2
; COMPUTE_PGM_RSRC2:TRAP_HANDLER: 0
; COMPUTE_PGM_RSRC2:TGID_X_EN: 1
; COMPUTE_PGM_RSRC2:TGID_Y_EN: 0
; COMPUTE_PGM_RSRC2:TGID_Z_EN: 0
; COMPUTE_PGM_RSRC2:TIDIG_COMP_CNT: 0
; COMPUTE_PGM_RSRC3_GFX90A:ACCUM_OFFSET: 5
; COMPUTE_PGM_RSRC3_GFX90A:TG_SPLIT: 0
	.section	.text._ZN9rocsparseL41csrgemm_numeric_fill_block_per_row_kernelILj1024ELj32ELj2048ELj137ELj64EiidEEvT5_PKS1_S3_NS_24const_host_device_scalarIT6_EEPKT4_S3_PKS5_S9_S3_SB_S6_S9_S3_SB_S9_S3_PS5_21rocsparse_index_base_SD_SD_SD_bbb,"axG",@progbits,_ZN9rocsparseL41csrgemm_numeric_fill_block_per_row_kernelILj1024ELj32ELj2048ELj137ELj64EiidEEvT5_PKS1_S3_NS_24const_host_device_scalarIT6_EEPKT4_S3_PKS5_S9_S3_SB_S6_S9_S3_SB_S9_S3_PS5_21rocsparse_index_base_SD_SD_SD_bbb,comdat
	.globl	_ZN9rocsparseL41csrgemm_numeric_fill_block_per_row_kernelILj1024ELj32ELj2048ELj137ELj64EiidEEvT5_PKS1_S3_NS_24const_host_device_scalarIT6_EEPKT4_S3_PKS5_S9_S3_SB_S6_S9_S3_SB_S9_S3_PS5_21rocsparse_index_base_SD_SD_SD_bbb ; -- Begin function _ZN9rocsparseL41csrgemm_numeric_fill_block_per_row_kernelILj1024ELj32ELj2048ELj137ELj64EiidEEvT5_PKS1_S3_NS_24const_host_device_scalarIT6_EEPKT4_S3_PKS5_S9_S3_SB_S6_S9_S3_SB_S9_S3_PS5_21rocsparse_index_base_SD_SD_SD_bbb
	.p2align	8
	.type	_ZN9rocsparseL41csrgemm_numeric_fill_block_per_row_kernelILj1024ELj32ELj2048ELj137ELj64EiidEEvT5_PKS1_S3_NS_24const_host_device_scalarIT6_EEPKT4_S3_PKS5_S9_S3_SB_S6_S9_S3_SB_S9_S3_PS5_21rocsparse_index_base_SD_SD_SD_bbb,@function
_ZN9rocsparseL41csrgemm_numeric_fill_block_per_row_kernelILj1024ELj32ELj2048ELj137ELj64EiidEEvT5_PKS1_S3_NS_24const_host_device_scalarIT6_EEPKT4_S3_PKS5_S9_S3_SB_S6_S9_S3_SB_S9_S3_PS5_21rocsparse_index_base_SD_SD_SD_bbb: ; @_ZN9rocsparseL41csrgemm_numeric_fill_block_per_row_kernelILj1024ELj32ELj2048ELj137ELj64EiidEEvT5_PKS1_S3_NS_24const_host_device_scalarIT6_EEPKT4_S3_PKS5_S9_S3_SB_S6_S9_S3_SB_S9_S3_PS5_21rocsparse_index_base_SD_SD_SD_bbb
; %bb.0:
	s_load_dword s3, s[0:1], 0x98
	s_load_dwordx4 s[44:47], s[0:1], 0x88
	s_load_dwordx2 s[4:5], s[0:1], 0x18
	s_load_dwordx2 s[24:25], s[0:1], 0x50
	s_waitcnt lgkmcnt(0)
	s_bitcmp1_b32 s3, 0
	s_cselect_b64 s[22:23], -1, 0
	s_bitcmp1_b32 s3, 16
	s_cselect_b64 s[26:27], -1, 0
	s_xor_b64 s[6:7], s[22:23], -1
	s_or_b64 s[6:7], s[26:27], s[6:7]
	s_and_b64 s[8:9], s[22:23], exec
	s_cselect_b32 s9, s5, 0
	s_cselect_b32 s8, s4, 0
	s_and_b64 vcc, exec, s[6:7]
	v_mov_b64_e32 v[4:5], s[8:9]
	s_cbranch_vccnz .LBB29_2
; %bb.1:
	v_mov_b64_e32 v[2:3], s[4:5]
	flat_load_dwordx2 v[4:5], v[2:3]
.LBB29_2:
	s_load_dwordx2 s[34:35], s[0:1], 0x80
	s_load_dwordx8 s[36:43], s[0:1], 0x58
	s_load_dwordx4 s[12:15], s[0:1], 0x40
	s_load_dwordx4 s[16:19], s[0:1], 0x8
	s_load_dwordx8 s[4:11], s[0:1], 0x20
	s_bitcmp1_b32 s3, 8
	s_cselect_b64 s[20:21], -1, 0
	s_xor_b64 s[28:29], s[20:21], -1
	s_or_b64 s[26:27], s[26:27], s[28:29]
	s_and_b64 s[28:29], s[20:21], exec
	s_cselect_b32 s29, s25, 0
	s_cselect_b32 s28, s24, 0
	s_and_b64 vcc, exec, s[26:27]
	v_mov_b64_e32 v[2:3], s[28:29]
	s_cbranch_vccnz .LBB29_4
; %bb.3:
	v_mov_b64_e32 v[2:3], s[24:25]
	flat_load_dwordx2 v[2:3], v[2:3]
.LBB29_4:
	s_load_dword s33, s[0:1], 0x0
	v_lshl_add_u32 v1, v0, 3, 0
	v_mov_b32_e32 v6, 0
	v_add_u32_e32 v1, 0x2000, v1
	v_or_b32_e32 v14, 0xfffffc00, v0
	v_lshl_add_u32 v15, v0, 2, 0
	s_mov_b64 s[0:1], 0
	s_waitcnt lgkmcnt(0)
	v_mov_b32_e32 v11, s33
	v_mov_b32_e32 v7, v6
	;; [unrolled: 1-line block ×5, first 2 shown]
.LBB29_5:                               ; =>This Inner Loop Header: Depth=1
	v_add_co_u32_e32 v9, vcc, 0x400, v9
	s_xor_b64 s[24:25], vcc, -1
	s_and_b64 s[24:25], exec, s[24:25]
	ds_write_b32 v8, v11
	ds_write_b64 v10, v[6:7]
	v_add_u32_e32 v10, 0x2000, v10
	s_or_b64 s[0:1], s[24:25], s[0:1]
	v_add_u32_e32 v8, 0x1000, v8
	s_andn2_b64 exec, exec, s[0:1]
	s_cbranch_execnz .LBB29_5
; %bb.6:
	s_or_b64 exec, exec, s[0:1]
	s_waitcnt lgkmcnt(0)
	s_barrier
	s_load_dword s0, s[16:17], 0x0
	s_mov_b32 s1, 0
	s_waitcnt lgkmcnt(0)
	s_add_i32 s0, s0, s2
	s_lshl_b64 s[0:1], s[0:1], 2
	s_add_u32 s0, s18, s0
	s_addc_u32 s1, s19, s1
	s_load_dword s48, s[0:1], 0x0
	s_and_b64 vcc, exec, s[22:23]
	s_cbranch_vccz .LBB29_24
; %bb.7:
	s_waitcnt lgkmcnt(0)
	s_ashr_i32 s49, s48, 31
	s_lshl_b64 s[0:1], s[48:49], 2
	s_add_u32 s0, s4, s0
	s_addc_u32 s1, s5, s1
	s_load_dwordx2 s[2:3], s[0:1], 0x0
	v_lshrrev_b32_e32 v6, 5, v0
	v_subrev_u32_e32 v6, s44, v6
	s_waitcnt lgkmcnt(0)
	s_sub_i32 s30, s3, s44
	v_add_u32_e32 v6, s2, v6
	v_cmp_gt_i32_e32 vcc, s30, v6
	s_and_saveexec_b64 s[0:1], vcc
	s_cbranch_execz .LBB29_23
; %bb.8:
	v_and_b32_e32 v7, 31, v0
	v_subrev_u32_e32 v16, s45, v7
	s_mov_b64 s[2:3], 0
	s_movk_i32 s31, 0x89
	s_branch .LBB29_10
.LBB29_9:                               ;   in Loop: Header=BB29_10 Depth=1
	s_or_b64 exec, exec, s[4:5]
	v_add_u32_e32 v6, 32, v6
	v_cmp_le_i32_e32 vcc, s30, v6
	s_or_b64 s[2:3], vcc, s[2:3]
	s_andn2_b64 exec, exec, s[2:3]
	s_cbranch_execz .LBB29_23
.LBB29_10:                              ; =>This Loop Header: Depth=1
                                        ;     Child Loop BB29_14 Depth 2
                                        ;       Child Loop BB29_17 Depth 3
	v_ashrrev_i32_e32 v7, 31, v6
	v_lshl_add_u64 v[8:9], v[6:7], 2, s[6:7]
	global_load_dword v8, v[8:9], off
	s_waitcnt vmcnt(0)
	v_subrev_u32_e32 v8, s44, v8
	v_ashrrev_i32_e32 v9, 31, v8
	v_lshl_add_u64 v[8:9], v[8:9], 2, s[10:11]
	global_load_dwordx2 v[8:9], v[8:9], off
	s_waitcnt vmcnt(0)
	v_subrev_u32_e32 v17, s45, v9
	v_add_u32_e32 v8, v8, v16
	v_cmp_lt_i32_e32 vcc, v8, v17
	s_and_saveexec_b64 s[4:5], vcc
	s_cbranch_execz .LBB29_9
; %bb.11:                               ;   in Loop: Header=BB29_10 Depth=1
	v_lshl_add_u64 v[10:11], v[6:7], 3, s[8:9]
	global_load_dwordx2 v[10:11], v[10:11], off
	s_mov_b64 s[16:17], 0
	s_waitcnt vmcnt(0)
	v_mul_f64 v[10:11], v[4:5], v[10:11]
	s_branch .LBB29_14
.LBB29_12:                              ;   in Loop: Header=BB29_14 Depth=2
	s_or_b64 exec, exec, s[22:23]
.LBB29_13:                              ;   in Loop: Header=BB29_14 Depth=2
	s_or_b64 exec, exec, s[18:19]
	s_waitcnt vmcnt(0)
	v_mul_f64 v[12:13], v[10:11], v[12:13]
	v_lshl_add_u32 v7, v7, 3, 0
	ds_add_f64 v7, v[12:13] offset:8192
	v_add_u32_e32 v8, 32, v8
	v_cmp_ge_i32_e32 vcc, v8, v17
	s_or_b64 s[16:17], vcc, s[16:17]
	s_andn2_b64 exec, exec, s[16:17]
	s_cbranch_execz .LBB29_9
.LBB29_14:                              ;   Parent Loop BB29_10 Depth=1
                                        ; =>  This Loop Header: Depth=2
                                        ;       Child Loop BB29_17 Depth 3
	v_ashrrev_i32_e32 v9, 31, v8
	v_lshl_add_u64 v[12:13], v[8:9], 2, s[12:13]
	global_load_dword v7, v[12:13], off
	v_lshl_add_u64 v[12:13], v[8:9], 3, s[14:15]
	global_load_dwordx2 v[12:13], v[12:13], off
	s_waitcnt vmcnt(1)
	v_subrev_u32_e32 v9, s45, v7
	v_mul_lo_u32 v7, v9, s31
	v_and_b32_e32 v7, 0x7ff, v7
	v_lshl_add_u32 v18, v7, 2, 0
	ds_read_b32 v19, v18
	s_waitcnt lgkmcnt(0)
	v_cmp_ne_u32_e32 vcc, v19, v9
	s_and_saveexec_b64 s[18:19], vcc
	s_cbranch_execz .LBB29_13
; %bb.15:                               ;   in Loop: Header=BB29_14 Depth=2
	s_mov_b64 s[22:23], 0
	s_branch .LBB29_17
.LBB29_16:                              ;   in Loop: Header=BB29_17 Depth=3
	s_or_b64 exec, exec, s[28:29]
	s_and_b64 s[24:25], exec, s[26:27]
	s_or_b64 s[22:23], s[24:25], s[22:23]
	s_andn2_b64 exec, exec, s[22:23]
	s_cbranch_execz .LBB29_12
.LBB29_17:                              ;   Parent Loop BB29_10 Depth=1
                                        ;     Parent Loop BB29_14 Depth=2
                                        ; =>    This Inner Loop Header: Depth=3
	v_cmp_ne_u32_e32 vcc, s33, v19
	s_mov_b64 s[24:25], 0
	s_and_saveexec_b64 s[26:27], vcc
	s_xor_b64 s[26:27], exec, s[26:27]
	s_cbranch_execz .LBB29_19
; %bb.18:                               ;   in Loop: Header=BB29_17 Depth=3
	v_add_u32_e32 v7, 1, v7
	s_mov_b64 s[24:25], exec
	v_and_b32_e32 v7, 0x7ff, v7
                                        ; implicit-def: $vgpr18
	s_andn2_saveexec_b64 s[26:27], s[26:27]
	s_cbranch_execz .LBB29_21
	s_branch .LBB29_20
.LBB29_19:                              ;   in Loop: Header=BB29_17 Depth=3
	s_andn2_saveexec_b64 s[26:27], s[26:27]
	s_cbranch_execz .LBB29_21
.LBB29_20:                              ;   in Loop: Header=BB29_17 Depth=3
	v_mov_b32_e32 v19, s33
	ds_cmpst_rtn_b32 v18, v18, v19, v9
	s_andn2_b64 s[24:25], s[24:25], exec
	s_waitcnt lgkmcnt(0)
	v_cmp_ne_u32_e32 vcc, s33, v18
	s_and_b64 s[28:29], vcc, exec
	s_or_b64 s[24:25], s[24:25], s[28:29]
.LBB29_21:                              ;   in Loop: Header=BB29_17 Depth=3
	s_or_b64 exec, exec, s[26:27]
	s_mov_b64 s[26:27], -1
                                        ; implicit-def: $vgpr18
                                        ; implicit-def: $vgpr19
	s_and_saveexec_b64 s[28:29], s[24:25]
	s_cbranch_execz .LBB29_16
; %bb.22:                               ;   in Loop: Header=BB29_17 Depth=3
	v_lshl_add_u32 v18, v7, 2, 0
	ds_read_b32 v19, v18
	s_waitcnt lgkmcnt(0)
	v_cmp_eq_u32_e32 vcc, v19, v9
	s_orn2_b64 s[26:27], vcc, exec
	s_branch .LBB29_16
.LBB29_23:
	s_or_b64 exec, exec, s[0:1]
.LBB29_24:
	s_andn2_b64 vcc, exec, s[20:21]
	s_cbranch_vccnz .LBB29_39
; %bb.25:
	s_waitcnt lgkmcnt(0)
	s_ashr_i32 s49, s48, 31
	s_lshl_b64 s[0:1], s[48:49], 2
	s_add_u32 s0, s36, s0
	s_addc_u32 s1, s37, s1
	s_load_dwordx2 s[2:3], s[0:1], 0x0
	s_waitcnt vmcnt(0)
	v_subrev_u32_e32 v4, s47, v0
	s_waitcnt lgkmcnt(0)
	s_sub_i32 s14, s3, s47
	v_add_u32_e32 v4, s2, v4
	v_cmp_gt_i32_e32 vcc, s14, v4
	s_and_saveexec_b64 s[0:1], vcc
	s_cbranch_execz .LBB29_38
; %bb.26:
	s_mov_b64 s[2:3], 0
	s_movk_i32 s15, 0x89
	s_branch .LBB29_29
.LBB29_27:                              ;   in Loop: Header=BB29_29 Depth=1
	s_or_b64 exec, exec, s[6:7]
.LBB29_28:                              ;   in Loop: Header=BB29_29 Depth=1
	s_or_b64 exec, exec, s[4:5]
	s_waitcnt vmcnt(0)
	v_mul_f64 v[6:7], v[2:3], v[6:7]
	v_lshl_add_u32 v5, v5, 3, 0
	ds_add_f64 v5, v[6:7] offset:8192
	v_add_u32_e32 v4, 0x400, v4
	v_cmp_le_i32_e32 vcc, s14, v4
	s_or_b64 s[2:3], vcc, s[2:3]
	s_andn2_b64 exec, exec, s[2:3]
	s_cbranch_execz .LBB29_38
.LBB29_29:                              ; =>This Loop Header: Depth=1
                                        ;     Child Loop BB29_32 Depth 2
	v_ashrrev_i32_e32 v5, 31, v4
	v_lshl_add_u64 v[6:7], v[4:5], 2, s[38:39]
	global_load_dword v8, v[6:7], off
	v_lshl_add_u64 v[6:7], v[4:5], 3, s[40:41]
	global_load_dwordx2 v[6:7], v[6:7], off
	s_waitcnt vmcnt(1)
	v_subrev_u32_e32 v8, s47, v8
	v_mul_lo_u32 v5, v8, s15
	v_and_b32_e32 v5, 0x7ff, v5
	v_lshl_add_u32 v9, v5, 2, 0
	ds_read_b32 v10, v9
	s_waitcnt lgkmcnt(0)
	v_cmp_ne_u32_e32 vcc, v10, v8
	s_and_saveexec_b64 s[4:5], vcc
	s_cbranch_execz .LBB29_28
; %bb.30:                               ;   in Loop: Header=BB29_29 Depth=1
	s_mov_b64 s[6:7], 0
	s_branch .LBB29_32
.LBB29_31:                              ;   in Loop: Header=BB29_32 Depth=2
	s_or_b64 exec, exec, s[12:13]
	s_and_b64 s[8:9], exec, s[10:11]
	s_or_b64 s[6:7], s[8:9], s[6:7]
	s_andn2_b64 exec, exec, s[6:7]
	s_cbranch_execz .LBB29_27
.LBB29_32:                              ;   Parent Loop BB29_29 Depth=1
                                        ; =>  This Inner Loop Header: Depth=2
	v_cmp_ne_u32_e32 vcc, s33, v10
	s_mov_b64 s[8:9], 0
	s_and_saveexec_b64 s[10:11], vcc
	s_xor_b64 s[10:11], exec, s[10:11]
	s_cbranch_execz .LBB29_34
; %bb.33:                               ;   in Loop: Header=BB29_32 Depth=2
	v_add_u32_e32 v5, 1, v5
	s_mov_b64 s[8:9], exec
	v_and_b32_e32 v5, 0x7ff, v5
                                        ; implicit-def: $vgpr9
	s_andn2_saveexec_b64 s[10:11], s[10:11]
	s_cbranch_execz .LBB29_36
	s_branch .LBB29_35
.LBB29_34:                              ;   in Loop: Header=BB29_32 Depth=2
	s_andn2_saveexec_b64 s[10:11], s[10:11]
	s_cbranch_execz .LBB29_36
.LBB29_35:                              ;   in Loop: Header=BB29_32 Depth=2
	v_mov_b32_e32 v10, s33
	ds_cmpst_rtn_b32 v9, v9, v10, v8
	s_andn2_b64 s[8:9], s[8:9], exec
	s_waitcnt lgkmcnt(0)
	v_cmp_ne_u32_e32 vcc, s33, v9
	s_and_b64 s[12:13], vcc, exec
	s_or_b64 s[8:9], s[8:9], s[12:13]
.LBB29_36:                              ;   in Loop: Header=BB29_32 Depth=2
	s_or_b64 exec, exec, s[10:11]
	s_mov_b64 s[10:11], -1
                                        ; implicit-def: $vgpr9
                                        ; implicit-def: $vgpr10
	s_and_saveexec_b64 s[12:13], s[8:9]
	s_cbranch_execz .LBB29_31
; %bb.37:                               ;   in Loop: Header=BB29_32 Depth=2
	v_lshl_add_u32 v9, v5, 2, 0
	ds_read_b32 v10, v9
	s_waitcnt lgkmcnt(0)
	v_cmp_eq_u32_e32 vcc, v10, v8
	s_orn2_b64 s[10:11], vcc, exec
	s_branch .LBB29_31
.LBB29_38:
	s_or_b64 exec, exec, s[0:1]
.LBB29_39:
	s_waitcnt vmcnt(0)
	v_mbcnt_lo_u32_b32 v2, -1, 0
	v_mbcnt_hi_u32_b32 v2, -1, v2
	v_lshrrev_b32_e32 v4, 4, v0
	v_sub_u32_e32 v2, 63, v2
	v_and_b32_e32 v4, 60, v4
	s_movk_i32 s0, 0x3ff
	s_movk_i32 s4, 0x7f
	;; [unrolled: 1-line block ×15, first 2 shown]
	v_mov_b32_e32 v6, 0
	v_lshrrev_b64 v[2:3], v2, -1
	v_add_u32_e32 v7, 0, v4
	v_cmp_eq_u32_e64 s[0:1], s0, v0
	v_cmp_lt_u32_e64 s[2:3], 63, v0
	v_cmp_lt_u32_e64 s[4:5], s4, v0
	v_cmp_lt_u32_e64 s[6:7], s6, v0
	v_cmp_lt_u32_e64 s[8:9], s8, v0
	v_cmp_lt_u32_e64 s[10:11], s10, v0
	v_cmp_lt_u32_e64 s[12:13], s12, v0
	v_cmp_lt_u32_e64 s[14:15], s14, v0
	v_cmp_lt_u32_e64 s[16:17], s16, v0
	v_cmp_lt_u32_e64 s[18:19], s18, v0
	v_cmp_lt_u32_e64 s[20:21], s20, v0
	v_cmp_lt_u32_e64 s[22:23], s22, v0
	v_cmp_lt_u32_e64 s[24:25], s24, v0
	v_cmp_lt_u32_e64 s[26:27], s26, v0
	v_cmp_lt_u32_e64 s[28:29], s28, v0
	v_cmp_lt_u32_e64 s[30:31], s30, v0
	s_mov_b64 s[36:37], 0
	v_mov_b32_e32 v8, 0
	s_waitcnt lgkmcnt(0)
	s_barrier
	s_branch .LBB29_41
.LBB29_40:                              ;   in Loop: Header=BB29_41 Depth=1
	s_or_b64 exec, exec, s[38:39]
	s_waitcnt lgkmcnt(0)
	s_barrier
	ds_read_b32 v4, v6 offset:24636
	v_add_co_u32_e32 v14, vcc, 0x400, v14
	s_xor_b64 s[38:39], vcc, -1
	s_and_b64 s[38:39], exec, s[38:39]
	v_add_u32_e32 v1, 0x2000, v1
	s_waitcnt lgkmcnt(0)
	v_add_u32_e32 v8, v4, v8
	s_or_b64 s[36:37], s[38:39], s[36:37]
	v_add_u32_e32 v15, 0x1000, v15
	s_andn2_b64 exec, exec, s[36:37]
	s_cbranch_execz .LBB29_75
.LBB29_41:                              ; =>This Inner Loop Header: Depth=1
	ds_read_b32 v9, v15
	ds_read_b64 v[4:5], v1
	s_waitcnt lgkmcnt(0)
	s_barrier
	v_cmp_gt_i32_e32 vcc, s33, v9
	s_bcnt1_i32_b64 s38, vcc
	s_nop 0
	v_and_b32_e32 v11, vcc_lo, v2
	v_and_b32_e32 v10, vcc_hi, v3
	v_bcnt_u32_b32 v11, v11, 0
	v_bcnt_u32_b32 v10, v10, v11
	v_mov_b32_e32 v11, s38
	ds_write_b32 v7, v11 offset:24576
	s_waitcnt lgkmcnt(0)
	s_barrier
	s_and_saveexec_b64 s[38:39], s[2:3]
	s_cbranch_execz .LBB29_58
; %bb.42:                               ;   in Loop: Header=BB29_41 Depth=1
	ds_read_b32 v11, v6 offset:24576
	s_waitcnt lgkmcnt(0)
	v_add_u32_e32 v10, v11, v10
	s_or_b64 exec, exec, s[38:39]
	s_and_saveexec_b64 s[38:39], s[4:5]
	s_cbranch_execnz .LBB29_59
.LBB29_43:                              ;   in Loop: Header=BB29_41 Depth=1
	s_or_b64 exec, exec, s[38:39]
	s_and_saveexec_b64 s[38:39], s[6:7]
	s_cbranch_execz .LBB29_60
.LBB29_44:                              ;   in Loop: Header=BB29_41 Depth=1
	ds_read_b32 v11, v6 offset:24584
	s_waitcnt lgkmcnt(0)
	v_add_u32_e32 v10, v11, v10
	s_or_b64 exec, exec, s[38:39]
	s_and_saveexec_b64 s[38:39], s[8:9]
	s_cbranch_execnz .LBB29_61
.LBB29_45:                              ;   in Loop: Header=BB29_41 Depth=1
	s_or_b64 exec, exec, s[38:39]
	s_and_saveexec_b64 s[38:39], s[10:11]
	s_cbranch_execz .LBB29_62
.LBB29_46:                              ;   in Loop: Header=BB29_41 Depth=1
	ds_read_b32 v11, v6 offset:24592
	s_waitcnt lgkmcnt(0)
	v_add_u32_e32 v10, v11, v10
	s_or_b64 exec, exec, s[38:39]
	s_and_saveexec_b64 s[38:39], s[12:13]
	s_cbranch_execnz .LBB29_63
.LBB29_47:                              ;   in Loop: Header=BB29_41 Depth=1
	s_or_b64 exec, exec, s[38:39]
	s_and_saveexec_b64 s[38:39], s[14:15]
	s_cbranch_execz .LBB29_64
.LBB29_48:                              ;   in Loop: Header=BB29_41 Depth=1
	ds_read_b32 v11, v6 offset:24600
	s_waitcnt lgkmcnt(0)
	v_add_u32_e32 v10, v11, v10
	s_or_b64 exec, exec, s[38:39]
	s_and_saveexec_b64 s[38:39], s[16:17]
	s_cbranch_execnz .LBB29_65
.LBB29_49:                              ;   in Loop: Header=BB29_41 Depth=1
	s_or_b64 exec, exec, s[38:39]
	s_and_saveexec_b64 s[38:39], s[18:19]
	s_cbranch_execz .LBB29_66
.LBB29_50:                              ;   in Loop: Header=BB29_41 Depth=1
	ds_read_b32 v11, v6 offset:24608
	s_waitcnt lgkmcnt(0)
	v_add_u32_e32 v10, v11, v10
	s_or_b64 exec, exec, s[38:39]
	s_and_saveexec_b64 s[38:39], s[20:21]
	s_cbranch_execnz .LBB29_67
.LBB29_51:                              ;   in Loop: Header=BB29_41 Depth=1
	s_or_b64 exec, exec, s[38:39]
	s_and_saveexec_b64 s[38:39], s[22:23]
	s_cbranch_execz .LBB29_68
.LBB29_52:                              ;   in Loop: Header=BB29_41 Depth=1
	ds_read_b32 v11, v6 offset:24616
	s_waitcnt lgkmcnt(0)
	v_add_u32_e32 v10, v11, v10
	s_or_b64 exec, exec, s[38:39]
	s_and_saveexec_b64 s[38:39], s[24:25]
	s_cbranch_execnz .LBB29_69
.LBB29_53:                              ;   in Loop: Header=BB29_41 Depth=1
	s_or_b64 exec, exec, s[38:39]
	s_and_saveexec_b64 s[38:39], s[26:27]
	s_cbranch_execz .LBB29_70
.LBB29_54:                              ;   in Loop: Header=BB29_41 Depth=1
	ds_read_b32 v11, v6 offset:24624
	s_waitcnt lgkmcnt(0)
	v_add_u32_e32 v10, v11, v10
	s_or_b64 exec, exec, s[38:39]
	s_and_saveexec_b64 s[38:39], s[28:29]
	s_cbranch_execnz .LBB29_71
.LBB29_55:                              ;   in Loop: Header=BB29_41 Depth=1
	s_or_b64 exec, exec, s[38:39]
	s_and_saveexec_b64 s[38:39], s[30:31]
	s_cbranch_execz .LBB29_72
.LBB29_56:                              ;   in Loop: Header=BB29_41 Depth=1
	ds_read_b32 v11, v6 offset:24632
	s_waitcnt lgkmcnt(0)
	v_add_u32_e32 v10, v11, v10
	s_or_b64 exec, exec, s[38:39]
	s_and_saveexec_b64 s[38:39], vcc
	s_cbranch_execnz .LBB29_73
.LBB29_57:                              ;   in Loop: Header=BB29_41 Depth=1
	s_or_b64 exec, exec, s[38:39]
	s_and_saveexec_b64 s[38:39], s[0:1]
	s_cbranch_execz .LBB29_40
	s_branch .LBB29_74
.LBB29_58:                              ;   in Loop: Header=BB29_41 Depth=1
	s_or_b64 exec, exec, s[38:39]
	s_and_saveexec_b64 s[38:39], s[4:5]
	s_cbranch_execz .LBB29_43
.LBB29_59:                              ;   in Loop: Header=BB29_41 Depth=1
	ds_read_b32 v11, v6 offset:24580
	s_waitcnt lgkmcnt(0)
	v_add_u32_e32 v10, v11, v10
	s_or_b64 exec, exec, s[38:39]
	s_and_saveexec_b64 s[38:39], s[6:7]
	s_cbranch_execnz .LBB29_44
.LBB29_60:                              ;   in Loop: Header=BB29_41 Depth=1
	s_or_b64 exec, exec, s[38:39]
	s_and_saveexec_b64 s[38:39], s[8:9]
	s_cbranch_execz .LBB29_45
.LBB29_61:                              ;   in Loop: Header=BB29_41 Depth=1
	ds_read_b32 v11, v6 offset:24588
	s_waitcnt lgkmcnt(0)
	v_add_u32_e32 v10, v11, v10
	s_or_b64 exec, exec, s[38:39]
	s_and_saveexec_b64 s[38:39], s[10:11]
	s_cbranch_execnz .LBB29_46
.LBB29_62:                              ;   in Loop: Header=BB29_41 Depth=1
	s_or_b64 exec, exec, s[38:39]
	s_and_saveexec_b64 s[38:39], s[12:13]
	s_cbranch_execz .LBB29_47
.LBB29_63:                              ;   in Loop: Header=BB29_41 Depth=1
	ds_read_b32 v11, v6 offset:24596
	s_waitcnt lgkmcnt(0)
	v_add_u32_e32 v10, v11, v10
	s_or_b64 exec, exec, s[38:39]
	s_and_saveexec_b64 s[38:39], s[14:15]
	s_cbranch_execnz .LBB29_48
.LBB29_64:                              ;   in Loop: Header=BB29_41 Depth=1
	s_or_b64 exec, exec, s[38:39]
	s_and_saveexec_b64 s[38:39], s[16:17]
	s_cbranch_execz .LBB29_49
.LBB29_65:                              ;   in Loop: Header=BB29_41 Depth=1
	ds_read_b32 v11, v6 offset:24604
	s_waitcnt lgkmcnt(0)
	v_add_u32_e32 v10, v11, v10
	s_or_b64 exec, exec, s[38:39]
	s_and_saveexec_b64 s[38:39], s[18:19]
	s_cbranch_execnz .LBB29_50
.LBB29_66:                              ;   in Loop: Header=BB29_41 Depth=1
	s_or_b64 exec, exec, s[38:39]
	s_and_saveexec_b64 s[38:39], s[20:21]
	s_cbranch_execz .LBB29_51
.LBB29_67:                              ;   in Loop: Header=BB29_41 Depth=1
	ds_read_b32 v11, v6 offset:24612
	s_waitcnt lgkmcnt(0)
	v_add_u32_e32 v10, v11, v10
	s_or_b64 exec, exec, s[38:39]
	s_and_saveexec_b64 s[38:39], s[22:23]
	s_cbranch_execnz .LBB29_52
.LBB29_68:                              ;   in Loop: Header=BB29_41 Depth=1
	s_or_b64 exec, exec, s[38:39]
	s_and_saveexec_b64 s[38:39], s[24:25]
	s_cbranch_execz .LBB29_53
.LBB29_69:                              ;   in Loop: Header=BB29_41 Depth=1
	ds_read_b32 v11, v6 offset:24620
	s_waitcnt lgkmcnt(0)
	v_add_u32_e32 v10, v11, v10
	s_or_b64 exec, exec, s[38:39]
	s_and_saveexec_b64 s[38:39], s[26:27]
	s_cbranch_execnz .LBB29_54
.LBB29_70:                              ;   in Loop: Header=BB29_41 Depth=1
	s_or_b64 exec, exec, s[38:39]
	s_and_saveexec_b64 s[38:39], s[28:29]
	s_cbranch_execz .LBB29_55
.LBB29_71:                              ;   in Loop: Header=BB29_41 Depth=1
	ds_read_b32 v11, v6 offset:24628
	s_waitcnt lgkmcnt(0)
	v_add_u32_e32 v10, v11, v10
	s_or_b64 exec, exec, s[38:39]
	s_and_saveexec_b64 s[38:39], s[30:31]
	s_cbranch_execnz .LBB29_56
.LBB29_72:                              ;   in Loop: Header=BB29_41 Depth=1
	s_or_b64 exec, exec, s[38:39]
	s_and_saveexec_b64 s[38:39], vcc
	s_cbranch_execz .LBB29_57
.LBB29_73:                              ;   in Loop: Header=BB29_41 Depth=1
	v_add3_u32 v11, v8, -1, v10
	v_lshl_add_u32 v11, v11, 2, 0
	v_add_u32_e32 v12, v8, v10
	v_lshl_add_u32 v12, v12, 3, 0
	ds_write_b32 v11, v9
	ds_write_b64 v12, v[4:5] offset:8184
	s_or_b64 exec, exec, s[38:39]
	s_and_saveexec_b64 s[38:39], s[0:1]
	s_cbranch_execz .LBB29_40
.LBB29_74:                              ;   in Loop: Header=BB29_41 Depth=1
	ds_write_b32 v6, v10 offset:24636
	s_branch .LBB29_40
.LBB29_75:
	s_or_b64 exec, exec, s[36:37]
	s_ashr_i32 s49, s48, 31
	s_lshl_b64 s[0:1], s[48:49], 2
	s_add_u32 s2, s42, s0
	s_addc_u32 s3, s43, s1
	s_load_dwordx2 s[0:1], s[2:3], 0x0
	s_waitcnt lgkmcnt(0)
	s_sub_i32 s14, s1, s0
	v_cmp_gt_i32_e32 vcc, s14, v0
	s_and_saveexec_b64 s[2:3], vcc
	s_cbranch_execz .LBB29_89
; %bb.76:
	s_sub_i32 s8, s0, s46
	v_sub_co_u32_e64 v1, s[0:1], s14, 2
	s_nop 0
	v_readfirstlane_b32 s2, v1
	s_lshr_b32 s2, s2, 1
	s_add_i32 s2, s2, 1
	s_xor_b64 s[0:1], s[0:1], -1
	s_and_b32 s15, s14, -2
	s_and_b32 s3, s2, 7
	s_and_b32 s16, s2, -8
	s_cmp_lg_u32 s3, 0
	v_cmp_lt_u32_e32 vcc, 13, v1
	s_cselect_b64 s[4:5], -1, 0
	s_cmp_lg_u32 s14, s15
	v_cndmask_b32_e64 v1, 0, 1, vcc
	s_cselect_b64 s[10:11], -1, 0
	s_lshl_b32 s17, s3, 3
	v_cndmask_b32_e64 v2, 0, 1, s[0:1]
	v_cmp_ne_u32_e64 s[2:3], 1, v1
	v_cndmask_b32_e64 v1, 0, 1, s[4:5]
	s_mov_b32 s9, 0
	s_mov_b64 s[12:13], 0
	v_cmp_ne_u32_e64 s[0:1], 1, v2
	v_cmp_ne_u32_e64 s[4:5], 1, v1
	s_branch .LBB29_78
.LBB29_77:                              ;   in Loop: Header=BB29_78 Depth=1
	v_add_u32_e32 v0, 0x400, v0
	v_ashrrev_i32_e32 v5, 31, v4
	v_cmp_le_i32_e32 vcc, s14, v0
	v_lshl_add_u64 v[4:5], v[4:5], 3, s[34:35]
	s_or_b64 s[12:13], vcc, s[12:13]
	s_waitcnt lgkmcnt(0)
	global_store_dwordx2 v[4:5], v[2:3], off
	s_andn2_b64 exec, exec, s[12:13]
	s_cbranch_execz .LBB29_89
.LBB29_78:                              ; =>This Loop Header: Depth=1
                                        ;     Child Loop BB29_81 Depth 2
                                        ;     Child Loop BB29_84 Depth 2
	;; [unrolled: 1-line block ×3, first 2 shown]
	v_lshlrev_b32_e32 v1, 2, v0
	v_add_u32_e32 v2, 0, v1
	v_add_u32_e32 v3, v2, v1
	ds_read_b32 v1, v2
	ds_read_b64 v[2:3], v3 offset:8192
	s_and_b64 vcc, exec, s[0:1]
	v_mov_b32_e32 v4, s8
	s_mov_b32 s18, 0
	s_mov_b64 s[6:7], -1
	s_cbranch_vccnz .LBB29_86
; %bb.79:                               ;   in Loop: Header=BB29_78 Depth=1
	s_and_b64 vcc, exec, s[2:3]
	v_mov_b64_e32 v[4:5], s[8:9]
	s_cbranch_vccnz .LBB29_82
; %bb.80:                               ;   in Loop: Header=BB29_78 Depth=1
	s_mov_b32 s19, 0
	v_mov_b32_e32 v4, s8
	v_mov_b32_e32 v5, 0
	s_mov_b32 s20, s16
.LBB29_81:                              ;   Parent Loop BB29_78 Depth=1
                                        ; =>  This Inner Loop Header: Depth=2
	v_mov_b32_e32 v20, s19
	ds_read2_b32 v[6:7], v20 offset1:1
	ds_read2_b32 v[8:9], v20 offset0:2 offset1:3
	ds_read2_b32 v[10:11], v20 offset0:4 offset1:5
	;; [unrolled: 1-line block ×7, first 2 shown]
	s_waitcnt lgkmcnt(7)
	v_cmp_gt_i32_e32 vcc, v1, v7
	s_waitcnt lgkmcnt(5)
	v_cmp_gt_i32_e64 s[6:7], v1, v10
	s_add_i32 s18, s18, 16
	v_cndmask_b32_e64 v7, 0, 1, vcc
	v_cmp_gt_i32_e32 vcc, v1, v6
	s_add_i32 s19, s19, 64
	s_add_i32 s20, s20, -8
	v_cndmask_b32_e64 v6, 0, 1, vcc
	v_cmp_gt_i32_e32 vcc, v1, v9
	v_cndmask_b32_e64 v9, 0, 1, s[6:7]
	v_cmp_gt_i32_e64 s[6:7], v1, v11
	v_addc_co_u32_e32 v5, vcc, v5, v7, vcc
	s_nop 0
	v_cndmask_b32_e64 v10, 0, 1, s[6:7]
	s_waitcnt lgkmcnt(3)
	v_cmp_gt_i32_e64 s[6:7], v1, v15
	v_cmp_gt_i32_e32 vcc, v1, v12
	s_cmp_lg_u32 s20, 0
	v_cndmask_b32_e64 v11, 0, 1, s[6:7]
	v_cmp_gt_i32_e64 s[6:7], v1, v14
	s_nop 1
	v_cndmask_b32_e64 v14, 0, 1, s[6:7]
	s_waitcnt lgkmcnt(1)
	v_cmp_gt_i32_e64 s[6:7], v1, v18
	s_nop 1
	v_cndmask_b32_e64 v15, 0, 1, s[6:7]
	v_cmp_gt_i32_e64 s[6:7], v1, v19
	s_nop 1
	v_cndmask_b32_e64 v18, 0, 1, s[6:7]
	v_cmp_gt_i32_e64 s[6:7], v1, v8
	s_nop 1
	v_addc_co_u32_e64 v4, s[6:7], v4, v6, s[6:7]
	v_cmp_gt_i32_e64 s[6:7], v1, v13
	v_addc_co_u32_e32 v4, vcc, v4, v9, vcc
	s_nop 0
	v_addc_co_u32_e64 v5, s[6:7], v5, v10, s[6:7]
	v_cmp_gt_i32_e32 vcc, v1, v17
	v_cmp_gt_i32_e64 s[6:7], v1, v16
	s_nop 0
	v_addc_co_u32_e32 v5, vcc, v5, v11, vcc
	v_addc_co_u32_e64 v4, s[6:7], v4, v14, s[6:7]
	s_waitcnt lgkmcnt(0)
	v_cmp_gt_i32_e32 vcc, v1, v20
	v_cmp_gt_i32_e64 s[6:7], v1, v21
	s_nop 0
	v_addc_co_u32_e32 v4, vcc, v4, v15, vcc
	v_addc_co_u32_e64 v5, s[6:7], v5, v18, s[6:7]
	s_cbranch_scc1 .LBB29_81
.LBB29_82:                              ;   in Loop: Header=BB29_78 Depth=1
	s_and_b64 vcc, exec, s[4:5]
	s_cbranch_vccnz .LBB29_85
; %bb.83:                               ;   in Loop: Header=BB29_78 Depth=1
	s_lshl_b32 s6, s18, 2
	s_add_i32 s6, s6, 0
	s_mov_b32 s7, s17
.LBB29_84:                              ;   Parent Loop BB29_78 Depth=1
                                        ; =>  This Inner Loop Header: Depth=2
	v_mov_b32_e32 v6, s6
	ds_read2_b32 v[6:7], v6 offset1:1
	s_add_i32 s6, s6, 8
	s_add_i32 s7, s7, -8
	s_cmp_lg_u32 s7, 0
	s_waitcnt lgkmcnt(0)
	v_cmp_gt_i32_e32 vcc, v1, v7
	s_nop 1
	v_addc_co_u32_e32 v5, vcc, 0, v5, vcc
	v_cmp_gt_i32_e32 vcc, v1, v6
	s_nop 1
	v_addc_co_u32_e32 v4, vcc, 0, v4, vcc
	s_cbranch_scc1 .LBB29_84
.LBB29_85:                              ;   in Loop: Header=BB29_78 Depth=1
	v_add_u32_e32 v4, v4, v5
	s_mov_b32 s18, s15
	s_mov_b64 s[6:7], s[10:11]
.LBB29_86:                              ;   in Loop: Header=BB29_78 Depth=1
	s_and_b64 vcc, exec, s[6:7]
	s_cbranch_vccz .LBB29_77
; %bb.87:                               ;   in Loop: Header=BB29_78 Depth=1
	s_lshl_b32 s6, s18, 2
	s_add_i32 s6, s6, 0
.LBB29_88:                              ;   Parent Loop BB29_78 Depth=1
                                        ; =>  This Inner Loop Header: Depth=2
	v_mov_b32_e32 v5, s6
	ds_read_b32 v5, v5
	s_add_i32 s18, s18, 1
	s_add_i32 s6, s6, 4
	s_cmp_ge_i32 s18, s14
	s_waitcnt lgkmcnt(0)
	v_cmp_gt_i32_e32 vcc, v1, v5
	s_nop 1
	v_addc_co_u32_e32 v4, vcc, 0, v4, vcc
	s_cbranch_scc0 .LBB29_88
	s_branch .LBB29_77
.LBB29_89:
	s_endpgm
	.section	.rodata,"a",@progbits
	.p2align	6, 0x0
	.amdhsa_kernel _ZN9rocsparseL41csrgemm_numeric_fill_block_per_row_kernelILj1024ELj32ELj2048ELj137ELj64EiidEEvT5_PKS1_S3_NS_24const_host_device_scalarIT6_EEPKT4_S3_PKS5_S9_S3_SB_S6_S9_S3_SB_S9_S3_PS5_21rocsparse_index_base_SD_SD_SD_bbb
		.amdhsa_group_segment_fixed_size 0
		.amdhsa_private_segment_fixed_size 0
		.amdhsa_kernarg_size 156
		.amdhsa_user_sgpr_count 2
		.amdhsa_user_sgpr_dispatch_ptr 0
		.amdhsa_user_sgpr_queue_ptr 0
		.amdhsa_user_sgpr_kernarg_segment_ptr 1
		.amdhsa_user_sgpr_dispatch_id 0
		.amdhsa_user_sgpr_kernarg_preload_length 0
		.amdhsa_user_sgpr_kernarg_preload_offset 0
		.amdhsa_user_sgpr_private_segment_size 0
		.amdhsa_uses_dynamic_stack 0
		.amdhsa_enable_private_segment 0
		.amdhsa_system_sgpr_workgroup_id_x 1
		.amdhsa_system_sgpr_workgroup_id_y 0
		.amdhsa_system_sgpr_workgroup_id_z 0
		.amdhsa_system_sgpr_workgroup_info 0
		.amdhsa_system_vgpr_workitem_id 0
		.amdhsa_next_free_vgpr 22
		.amdhsa_next_free_sgpr 50
		.amdhsa_accum_offset 24
		.amdhsa_reserve_vcc 1
		.amdhsa_float_round_mode_32 0
		.amdhsa_float_round_mode_16_64 0
		.amdhsa_float_denorm_mode_32 3
		.amdhsa_float_denorm_mode_16_64 3
		.amdhsa_dx10_clamp 1
		.amdhsa_ieee_mode 1
		.amdhsa_fp16_overflow 0
		.amdhsa_tg_split 0
		.amdhsa_exception_fp_ieee_invalid_op 0
		.amdhsa_exception_fp_denorm_src 0
		.amdhsa_exception_fp_ieee_div_zero 0
		.amdhsa_exception_fp_ieee_overflow 0
		.amdhsa_exception_fp_ieee_underflow 0
		.amdhsa_exception_fp_ieee_inexact 0
		.amdhsa_exception_int_div_zero 0
	.end_amdhsa_kernel
	.section	.text._ZN9rocsparseL41csrgemm_numeric_fill_block_per_row_kernelILj1024ELj32ELj2048ELj137ELj64EiidEEvT5_PKS1_S3_NS_24const_host_device_scalarIT6_EEPKT4_S3_PKS5_S9_S3_SB_S6_S9_S3_SB_S9_S3_PS5_21rocsparse_index_base_SD_SD_SD_bbb,"axG",@progbits,_ZN9rocsparseL41csrgemm_numeric_fill_block_per_row_kernelILj1024ELj32ELj2048ELj137ELj64EiidEEvT5_PKS1_S3_NS_24const_host_device_scalarIT6_EEPKT4_S3_PKS5_S9_S3_SB_S6_S9_S3_SB_S9_S3_PS5_21rocsparse_index_base_SD_SD_SD_bbb,comdat
.Lfunc_end29:
	.size	_ZN9rocsparseL41csrgemm_numeric_fill_block_per_row_kernelILj1024ELj32ELj2048ELj137ELj64EiidEEvT5_PKS1_S3_NS_24const_host_device_scalarIT6_EEPKT4_S3_PKS5_S9_S3_SB_S6_S9_S3_SB_S9_S3_PS5_21rocsparse_index_base_SD_SD_SD_bbb, .Lfunc_end29-_ZN9rocsparseL41csrgemm_numeric_fill_block_per_row_kernelILj1024ELj32ELj2048ELj137ELj64EiidEEvT5_PKS1_S3_NS_24const_host_device_scalarIT6_EEPKT4_S3_PKS5_S9_S3_SB_S6_S9_S3_SB_S9_S3_PS5_21rocsparse_index_base_SD_SD_SD_bbb
                                        ; -- End function
	.set _ZN9rocsparseL41csrgemm_numeric_fill_block_per_row_kernelILj1024ELj32ELj2048ELj137ELj64EiidEEvT5_PKS1_S3_NS_24const_host_device_scalarIT6_EEPKT4_S3_PKS5_S9_S3_SB_S6_S9_S3_SB_S9_S3_PS5_21rocsparse_index_base_SD_SD_SD_bbb.num_vgpr, 22
	.set _ZN9rocsparseL41csrgemm_numeric_fill_block_per_row_kernelILj1024ELj32ELj2048ELj137ELj64EiidEEvT5_PKS1_S3_NS_24const_host_device_scalarIT6_EEPKT4_S3_PKS5_S9_S3_SB_S6_S9_S3_SB_S9_S3_PS5_21rocsparse_index_base_SD_SD_SD_bbb.num_agpr, 0
	.set _ZN9rocsparseL41csrgemm_numeric_fill_block_per_row_kernelILj1024ELj32ELj2048ELj137ELj64EiidEEvT5_PKS1_S3_NS_24const_host_device_scalarIT6_EEPKT4_S3_PKS5_S9_S3_SB_S6_S9_S3_SB_S9_S3_PS5_21rocsparse_index_base_SD_SD_SD_bbb.numbered_sgpr, 50
	.set _ZN9rocsparseL41csrgemm_numeric_fill_block_per_row_kernelILj1024ELj32ELj2048ELj137ELj64EiidEEvT5_PKS1_S3_NS_24const_host_device_scalarIT6_EEPKT4_S3_PKS5_S9_S3_SB_S6_S9_S3_SB_S9_S3_PS5_21rocsparse_index_base_SD_SD_SD_bbb.num_named_barrier, 0
	.set _ZN9rocsparseL41csrgemm_numeric_fill_block_per_row_kernelILj1024ELj32ELj2048ELj137ELj64EiidEEvT5_PKS1_S3_NS_24const_host_device_scalarIT6_EEPKT4_S3_PKS5_S9_S3_SB_S6_S9_S3_SB_S9_S3_PS5_21rocsparse_index_base_SD_SD_SD_bbb.private_seg_size, 0
	.set _ZN9rocsparseL41csrgemm_numeric_fill_block_per_row_kernelILj1024ELj32ELj2048ELj137ELj64EiidEEvT5_PKS1_S3_NS_24const_host_device_scalarIT6_EEPKT4_S3_PKS5_S9_S3_SB_S6_S9_S3_SB_S9_S3_PS5_21rocsparse_index_base_SD_SD_SD_bbb.uses_vcc, 1
	.set _ZN9rocsparseL41csrgemm_numeric_fill_block_per_row_kernelILj1024ELj32ELj2048ELj137ELj64EiidEEvT5_PKS1_S3_NS_24const_host_device_scalarIT6_EEPKT4_S3_PKS5_S9_S3_SB_S6_S9_S3_SB_S9_S3_PS5_21rocsparse_index_base_SD_SD_SD_bbb.uses_flat_scratch, 0
	.set _ZN9rocsparseL41csrgemm_numeric_fill_block_per_row_kernelILj1024ELj32ELj2048ELj137ELj64EiidEEvT5_PKS1_S3_NS_24const_host_device_scalarIT6_EEPKT4_S3_PKS5_S9_S3_SB_S6_S9_S3_SB_S9_S3_PS5_21rocsparse_index_base_SD_SD_SD_bbb.has_dyn_sized_stack, 0
	.set _ZN9rocsparseL41csrgemm_numeric_fill_block_per_row_kernelILj1024ELj32ELj2048ELj137ELj64EiidEEvT5_PKS1_S3_NS_24const_host_device_scalarIT6_EEPKT4_S3_PKS5_S9_S3_SB_S6_S9_S3_SB_S9_S3_PS5_21rocsparse_index_base_SD_SD_SD_bbb.has_recursion, 0
	.set _ZN9rocsparseL41csrgemm_numeric_fill_block_per_row_kernelILj1024ELj32ELj2048ELj137ELj64EiidEEvT5_PKS1_S3_NS_24const_host_device_scalarIT6_EEPKT4_S3_PKS5_S9_S3_SB_S6_S9_S3_SB_S9_S3_PS5_21rocsparse_index_base_SD_SD_SD_bbb.has_indirect_call, 0
	.section	.AMDGPU.csdata,"",@progbits
; Kernel info:
; codeLenInByte = 3220
; TotalNumSgprs: 56
; NumVgprs: 22
; NumAgprs: 0
; TotalNumVgprs: 22
; ScratchSize: 0
; MemoryBound: 0
; FloatMode: 240
; IeeeMode: 1
; LDSByteSize: 0 bytes/workgroup (compile time only)
; SGPRBlocks: 6
; VGPRBlocks: 2
; NumSGPRsForWavesPerEU: 56
; NumVGPRsForWavesPerEU: 22
; AccumOffset: 24
; Occupancy: 8
; WaveLimiterHint : 1
; COMPUTE_PGM_RSRC2:SCRATCH_EN: 0
; COMPUTE_PGM_RSRC2:USER_SGPR: 2
; COMPUTE_PGM_RSRC2:TRAP_HANDLER: 0
; COMPUTE_PGM_RSRC2:TGID_X_EN: 1
; COMPUTE_PGM_RSRC2:TGID_Y_EN: 0
; COMPUTE_PGM_RSRC2:TGID_Z_EN: 0
; COMPUTE_PGM_RSRC2:TIDIG_COMP_CNT: 0
; COMPUTE_PGM_RSRC3_GFX90A:ACCUM_OFFSET: 5
; COMPUTE_PGM_RSRC3_GFX90A:TG_SPLIT: 0
	.section	.text._ZN9rocsparseL41csrgemm_numeric_fill_block_per_row_kernelILj1024ELj64ELj4096ELj137ELj32EiidEEvT5_PKS1_S3_NS_24const_host_device_scalarIT6_EEPKT4_S3_PKS5_S9_S3_SB_S6_S9_S3_SB_S9_S3_PS5_21rocsparse_index_base_SD_SD_SD_bbb,"axG",@progbits,_ZN9rocsparseL41csrgemm_numeric_fill_block_per_row_kernelILj1024ELj64ELj4096ELj137ELj32EiidEEvT5_PKS1_S3_NS_24const_host_device_scalarIT6_EEPKT4_S3_PKS5_S9_S3_SB_S6_S9_S3_SB_S9_S3_PS5_21rocsparse_index_base_SD_SD_SD_bbb,comdat
	.globl	_ZN9rocsparseL41csrgemm_numeric_fill_block_per_row_kernelILj1024ELj64ELj4096ELj137ELj32EiidEEvT5_PKS1_S3_NS_24const_host_device_scalarIT6_EEPKT4_S3_PKS5_S9_S3_SB_S6_S9_S3_SB_S9_S3_PS5_21rocsparse_index_base_SD_SD_SD_bbb ; -- Begin function _ZN9rocsparseL41csrgemm_numeric_fill_block_per_row_kernelILj1024ELj64ELj4096ELj137ELj32EiidEEvT5_PKS1_S3_NS_24const_host_device_scalarIT6_EEPKT4_S3_PKS5_S9_S3_SB_S6_S9_S3_SB_S9_S3_PS5_21rocsparse_index_base_SD_SD_SD_bbb
	.p2align	8
	.type	_ZN9rocsparseL41csrgemm_numeric_fill_block_per_row_kernelILj1024ELj64ELj4096ELj137ELj32EiidEEvT5_PKS1_S3_NS_24const_host_device_scalarIT6_EEPKT4_S3_PKS5_S9_S3_SB_S6_S9_S3_SB_S9_S3_PS5_21rocsparse_index_base_SD_SD_SD_bbb,@function
_ZN9rocsparseL41csrgemm_numeric_fill_block_per_row_kernelILj1024ELj64ELj4096ELj137ELj32EiidEEvT5_PKS1_S3_NS_24const_host_device_scalarIT6_EEPKT4_S3_PKS5_S9_S3_SB_S6_S9_S3_SB_S9_S3_PS5_21rocsparse_index_base_SD_SD_SD_bbb: ; @_ZN9rocsparseL41csrgemm_numeric_fill_block_per_row_kernelILj1024ELj64ELj4096ELj137ELj32EiidEEvT5_PKS1_S3_NS_24const_host_device_scalarIT6_EEPKT4_S3_PKS5_S9_S3_SB_S6_S9_S3_SB_S9_S3_PS5_21rocsparse_index_base_SD_SD_SD_bbb
; %bb.0:
	s_load_dword s3, s[0:1], 0x98
	s_load_dwordx4 s[68:71], s[0:1], 0x88
	s_load_dwordx2 s[4:5], s[0:1], 0x18
	s_load_dwordx2 s[24:25], s[0:1], 0x50
	s_waitcnt lgkmcnt(0)
	s_bitcmp1_b32 s3, 0
	s_cselect_b64 s[22:23], -1, 0
	s_bitcmp1_b32 s3, 16
	s_cselect_b64 s[26:27], -1, 0
	s_xor_b64 s[6:7], s[22:23], -1
	s_or_b64 s[6:7], s[26:27], s[6:7]
	s_and_b64 s[8:9], s[22:23], exec
	s_cselect_b32 s9, s5, 0
	s_cselect_b32 s8, s4, 0
	s_and_b64 vcc, exec, s[6:7]
	v_mov_b64_e32 v[4:5], s[8:9]
	s_cbranch_vccnz .LBB30_2
; %bb.1:
	v_mov_b64_e32 v[2:3], s[4:5]
	flat_load_dwordx2 v[4:5], v[2:3]
.LBB30_2:
	s_load_dwordx2 s[72:73], s[0:1], 0x80
	s_load_dwordx8 s[60:67], s[0:1], 0x58
	s_load_dwordx4 s[12:15], s[0:1], 0x40
	s_load_dwordx4 s[16:19], s[0:1], 0x8
	s_load_dwordx8 s[4:11], s[0:1], 0x20
	s_bitcmp1_b32 s3, 8
	s_cselect_b64 s[20:21], -1, 0
	s_xor_b64 s[28:29], s[20:21], -1
	s_or_b64 s[26:27], s[26:27], s[28:29]
	s_and_b64 s[28:29], s[20:21], exec
	s_cselect_b32 s29, s25, 0
	s_cselect_b32 s28, s24, 0
	s_and_b64 vcc, exec, s[26:27]
	v_mov_b64_e32 v[2:3], s[28:29]
	s_cbranch_vccnz .LBB30_4
; %bb.3:
	v_mov_b64_e32 v[2:3], s[24:25]
	flat_load_dwordx2 v[2:3], v[2:3]
.LBB30_4:
	s_load_dword s33, s[0:1], 0x0
	v_lshl_add_u32 v1, v0, 3, 0
	v_mov_b32_e32 v6, 0
	v_add_u32_e32 v1, 0x4000, v1
	v_or_b32_e32 v14, 0xfffffc00, v0
	v_lshl_add_u32 v15, v0, 2, 0
	s_mov_b64 s[0:1], 0
	s_waitcnt lgkmcnt(0)
	v_mov_b32_e32 v11, s33
	v_mov_b32_e32 v7, v6
	s_movk_i32 s3, 0xbff
	v_mov_b32_e32 v8, v15
	v_mov_b32_e32 v9, v14
	;; [unrolled: 1-line block ×3, first 2 shown]
.LBB30_5:                               ; =>This Inner Loop Header: Depth=1
	v_add_u32_e32 v9, 0x400, v9
	v_cmp_lt_u32_e32 vcc, s3, v9
	ds_write_b32 v8, v11
	ds_write_b64 v10, v[6:7]
	v_add_u32_e32 v10, 0x2000, v10
	s_or_b64 s[0:1], vcc, s[0:1]
	v_add_u32_e32 v8, 0x1000, v8
	s_andn2_b64 exec, exec, s[0:1]
	s_cbranch_execnz .LBB30_5
; %bb.6:
	s_or_b64 exec, exec, s[0:1]
	s_waitcnt lgkmcnt(0)
	s_barrier
	s_load_dword s0, s[16:17], 0x0
	s_mov_b32 s1, 0
	s_waitcnt lgkmcnt(0)
	s_add_i32 s0, s0, s2
	s_lshl_b64 s[0:1], s[0:1], 2
	s_add_u32 s0, s18, s0
	s_addc_u32 s1, s19, s1
	s_load_dword s74, s[0:1], 0x0
	s_and_b64 vcc, exec, s[22:23]
	s_cbranch_vccz .LBB30_24
; %bb.7:
	s_waitcnt lgkmcnt(0)
	s_ashr_i32 s75, s74, 31
	s_lshl_b64 s[0:1], s[74:75], 2
	s_add_u32 s0, s4, s0
	s_addc_u32 s1, s5, s1
	s_load_dwordx2 s[2:3], s[0:1], 0x0
	v_lshrrev_b32_e32 v6, 6, v0
	v_subrev_u32_e32 v6, s68, v6
	s_waitcnt lgkmcnt(0)
	s_sub_i32 s30, s3, s68
	v_add_u32_e32 v6, s2, v6
	v_cmp_gt_i32_e32 vcc, s30, v6
	s_and_saveexec_b64 s[0:1], vcc
	s_cbranch_execz .LBB30_23
; %bb.8:
	v_and_b32_e32 v7, 63, v0
	v_subrev_u32_e32 v16, s69, v7
	s_mov_b64 s[2:3], 0
	s_movk_i32 s31, 0x89
	s_branch .LBB30_10
.LBB30_9:                               ;   in Loop: Header=BB30_10 Depth=1
	s_or_b64 exec, exec, s[4:5]
	v_add_u32_e32 v6, 16, v6
	v_cmp_le_i32_e32 vcc, s30, v6
	s_or_b64 s[2:3], vcc, s[2:3]
	s_andn2_b64 exec, exec, s[2:3]
	s_cbranch_execz .LBB30_23
.LBB30_10:                              ; =>This Loop Header: Depth=1
                                        ;     Child Loop BB30_14 Depth 2
                                        ;       Child Loop BB30_17 Depth 3
	v_ashrrev_i32_e32 v7, 31, v6
	v_lshl_add_u64 v[8:9], v[6:7], 2, s[6:7]
	global_load_dword v8, v[8:9], off
	s_waitcnt vmcnt(0)
	v_subrev_u32_e32 v8, s68, v8
	v_ashrrev_i32_e32 v9, 31, v8
	v_lshl_add_u64 v[8:9], v[8:9], 2, s[10:11]
	global_load_dwordx2 v[8:9], v[8:9], off
	s_waitcnt vmcnt(0)
	v_subrev_u32_e32 v17, s69, v9
	v_add_u32_e32 v8, v8, v16
	v_cmp_lt_i32_e32 vcc, v8, v17
	s_and_saveexec_b64 s[4:5], vcc
	s_cbranch_execz .LBB30_9
; %bb.11:                               ;   in Loop: Header=BB30_10 Depth=1
	v_lshl_add_u64 v[10:11], v[6:7], 3, s[8:9]
	global_load_dwordx2 v[10:11], v[10:11], off
	s_mov_b64 s[16:17], 0
	s_waitcnt vmcnt(0)
	v_mul_f64 v[10:11], v[4:5], v[10:11]
	s_branch .LBB30_14
.LBB30_12:                              ;   in Loop: Header=BB30_14 Depth=2
	s_or_b64 exec, exec, s[22:23]
.LBB30_13:                              ;   in Loop: Header=BB30_14 Depth=2
	s_or_b64 exec, exec, s[18:19]
	s_waitcnt vmcnt(0)
	v_mul_f64 v[12:13], v[10:11], v[12:13]
	v_lshl_add_u32 v7, v7, 3, 0
	ds_add_f64 v7, v[12:13] offset:16384
	v_add_u32_e32 v8, 64, v8
	v_cmp_ge_i32_e32 vcc, v8, v17
	s_or_b64 s[16:17], vcc, s[16:17]
	s_andn2_b64 exec, exec, s[16:17]
	s_cbranch_execz .LBB30_9
.LBB30_14:                              ;   Parent Loop BB30_10 Depth=1
                                        ; =>  This Loop Header: Depth=2
                                        ;       Child Loop BB30_17 Depth 3
	v_ashrrev_i32_e32 v9, 31, v8
	v_lshl_add_u64 v[12:13], v[8:9], 2, s[12:13]
	global_load_dword v7, v[12:13], off
	v_lshl_add_u64 v[12:13], v[8:9], 3, s[14:15]
	global_load_dwordx2 v[12:13], v[12:13], off
	s_waitcnt vmcnt(1)
	v_subrev_u32_e32 v9, s69, v7
	v_mul_lo_u32 v7, v9, s31
	v_and_b32_e32 v7, 0xfff, v7
	v_lshl_add_u32 v18, v7, 2, 0
	ds_read_b32 v19, v18
	s_waitcnt lgkmcnt(0)
	v_cmp_ne_u32_e32 vcc, v19, v9
	s_and_saveexec_b64 s[18:19], vcc
	s_cbranch_execz .LBB30_13
; %bb.15:                               ;   in Loop: Header=BB30_14 Depth=2
	s_mov_b64 s[22:23], 0
	s_branch .LBB30_17
.LBB30_16:                              ;   in Loop: Header=BB30_17 Depth=3
	s_or_b64 exec, exec, s[28:29]
	s_and_b64 s[24:25], exec, s[26:27]
	s_or_b64 s[22:23], s[24:25], s[22:23]
	s_andn2_b64 exec, exec, s[22:23]
	s_cbranch_execz .LBB30_12
.LBB30_17:                              ;   Parent Loop BB30_10 Depth=1
                                        ;     Parent Loop BB30_14 Depth=2
                                        ; =>    This Inner Loop Header: Depth=3
	v_cmp_ne_u32_e32 vcc, s33, v19
	s_mov_b64 s[24:25], 0
	s_and_saveexec_b64 s[26:27], vcc
	s_xor_b64 s[26:27], exec, s[26:27]
	s_cbranch_execz .LBB30_19
; %bb.18:                               ;   in Loop: Header=BB30_17 Depth=3
	v_add_u32_e32 v7, 1, v7
	s_mov_b64 s[24:25], exec
	v_and_b32_e32 v7, 0xfff, v7
                                        ; implicit-def: $vgpr18
	s_andn2_saveexec_b64 s[26:27], s[26:27]
	s_cbranch_execz .LBB30_21
	s_branch .LBB30_20
.LBB30_19:                              ;   in Loop: Header=BB30_17 Depth=3
	s_andn2_saveexec_b64 s[26:27], s[26:27]
	s_cbranch_execz .LBB30_21
.LBB30_20:                              ;   in Loop: Header=BB30_17 Depth=3
	v_mov_b32_e32 v19, s33
	ds_cmpst_rtn_b32 v18, v18, v19, v9
	s_andn2_b64 s[24:25], s[24:25], exec
	s_waitcnt lgkmcnt(0)
	v_cmp_ne_u32_e32 vcc, s33, v18
	s_and_b64 s[28:29], vcc, exec
	s_or_b64 s[24:25], s[24:25], s[28:29]
.LBB30_21:                              ;   in Loop: Header=BB30_17 Depth=3
	s_or_b64 exec, exec, s[26:27]
	s_mov_b64 s[26:27], -1
                                        ; implicit-def: $vgpr18
                                        ; implicit-def: $vgpr19
	s_and_saveexec_b64 s[28:29], s[24:25]
	s_cbranch_execz .LBB30_16
; %bb.22:                               ;   in Loop: Header=BB30_17 Depth=3
	v_lshl_add_u32 v18, v7, 2, 0
	ds_read_b32 v19, v18
	s_waitcnt lgkmcnt(0)
	v_cmp_eq_u32_e32 vcc, v19, v9
	s_orn2_b64 s[26:27], vcc, exec
	s_branch .LBB30_16
.LBB30_23:
	s_or_b64 exec, exec, s[0:1]
.LBB30_24:
	s_andn2_b64 vcc, exec, s[20:21]
	s_cbranch_vccnz .LBB30_39
; %bb.25:
	s_waitcnt lgkmcnt(0)
	s_ashr_i32 s75, s74, 31
	s_lshl_b64 s[0:1], s[74:75], 2
	s_add_u32 s0, s60, s0
	s_addc_u32 s1, s61, s1
	s_load_dwordx2 s[2:3], s[0:1], 0x0
	s_waitcnt vmcnt(0)
	v_subrev_u32_e32 v4, s71, v0
	s_waitcnt lgkmcnt(0)
	s_sub_i32 s14, s3, s71
	v_add_u32_e32 v4, s2, v4
	v_cmp_gt_i32_e32 vcc, s14, v4
	s_and_saveexec_b64 s[0:1], vcc
	s_cbranch_execz .LBB30_38
; %bb.26:
	s_mov_b64 s[2:3], 0
	s_movk_i32 s15, 0x89
	s_branch .LBB30_29
.LBB30_27:                              ;   in Loop: Header=BB30_29 Depth=1
	s_or_b64 exec, exec, s[6:7]
.LBB30_28:                              ;   in Loop: Header=BB30_29 Depth=1
	s_or_b64 exec, exec, s[4:5]
	s_waitcnt vmcnt(0)
	v_mul_f64 v[6:7], v[2:3], v[6:7]
	v_lshl_add_u32 v5, v5, 3, 0
	ds_add_f64 v5, v[6:7] offset:16384
	v_add_u32_e32 v4, 0x400, v4
	v_cmp_le_i32_e32 vcc, s14, v4
	s_or_b64 s[2:3], vcc, s[2:3]
	s_andn2_b64 exec, exec, s[2:3]
	s_cbranch_execz .LBB30_38
.LBB30_29:                              ; =>This Loop Header: Depth=1
                                        ;     Child Loop BB30_32 Depth 2
	v_ashrrev_i32_e32 v5, 31, v4
	v_lshl_add_u64 v[6:7], v[4:5], 2, s[62:63]
	global_load_dword v8, v[6:7], off
	v_lshl_add_u64 v[6:7], v[4:5], 3, s[64:65]
	global_load_dwordx2 v[6:7], v[6:7], off
	s_waitcnt vmcnt(1)
	v_subrev_u32_e32 v8, s71, v8
	v_mul_lo_u32 v5, v8, s15
	v_and_b32_e32 v5, 0xfff, v5
	v_lshl_add_u32 v9, v5, 2, 0
	ds_read_b32 v10, v9
	s_waitcnt lgkmcnt(0)
	v_cmp_ne_u32_e32 vcc, v10, v8
	s_and_saveexec_b64 s[4:5], vcc
	s_cbranch_execz .LBB30_28
; %bb.30:                               ;   in Loop: Header=BB30_29 Depth=1
	s_mov_b64 s[6:7], 0
	s_branch .LBB30_32
.LBB30_31:                              ;   in Loop: Header=BB30_32 Depth=2
	s_or_b64 exec, exec, s[12:13]
	s_and_b64 s[8:9], exec, s[10:11]
	s_or_b64 s[6:7], s[8:9], s[6:7]
	s_andn2_b64 exec, exec, s[6:7]
	s_cbranch_execz .LBB30_27
.LBB30_32:                              ;   Parent Loop BB30_29 Depth=1
                                        ; =>  This Inner Loop Header: Depth=2
	v_cmp_ne_u32_e32 vcc, s33, v10
	s_mov_b64 s[8:9], 0
	s_and_saveexec_b64 s[10:11], vcc
	s_xor_b64 s[10:11], exec, s[10:11]
	s_cbranch_execz .LBB30_34
; %bb.33:                               ;   in Loop: Header=BB30_32 Depth=2
	v_add_u32_e32 v5, 1, v5
	s_mov_b64 s[8:9], exec
	v_and_b32_e32 v5, 0xfff, v5
                                        ; implicit-def: $vgpr9
	s_andn2_saveexec_b64 s[10:11], s[10:11]
	s_cbranch_execz .LBB30_36
	s_branch .LBB30_35
.LBB30_34:                              ;   in Loop: Header=BB30_32 Depth=2
	s_andn2_saveexec_b64 s[10:11], s[10:11]
	s_cbranch_execz .LBB30_36
.LBB30_35:                              ;   in Loop: Header=BB30_32 Depth=2
	v_mov_b32_e32 v10, s33
	ds_cmpst_rtn_b32 v9, v9, v10, v8
	s_andn2_b64 s[8:9], s[8:9], exec
	s_waitcnt lgkmcnt(0)
	v_cmp_ne_u32_e32 vcc, s33, v9
	s_and_b64 s[12:13], vcc, exec
	s_or_b64 s[8:9], s[8:9], s[12:13]
.LBB30_36:                              ;   in Loop: Header=BB30_32 Depth=2
	s_or_b64 exec, exec, s[10:11]
	s_mov_b64 s[10:11], -1
                                        ; implicit-def: $vgpr9
                                        ; implicit-def: $vgpr10
	s_and_saveexec_b64 s[12:13], s[8:9]
	s_cbranch_execz .LBB30_31
; %bb.37:                               ;   in Loop: Header=BB30_32 Depth=2
	v_lshl_add_u32 v9, v5, 2, 0
	ds_read_b32 v10, v9
	s_waitcnt lgkmcnt(0)
	v_cmp_eq_u32_e32 vcc, v10, v8
	s_orn2_b64 s[10:11], vcc, exec
	s_branch .LBB30_31
.LBB30_38:
	s_or_b64 exec, exec, s[0:1]
.LBB30_39:
	s_waitcnt vmcnt(0)
	v_mbcnt_lo_u32_b32 v2, -1, 0
	v_mbcnt_hi_u32_b32 v2, -1, v2
	v_lshrrev_b32_e32 v4, 3, v0
	v_sub_u32_e32 v2, 63, v2
	v_and_b32_e32 v4, 0x7c, v4
	s_movk_i32 s0, 0x3ff
	s_movk_i32 s4, 0x5f
	;; [unrolled: 1-line block ×30, first 2 shown]
	v_mov_b32_e32 v6, 0
	v_lshrrev_b64 v[2:3], v2, -1
	v_add_u32_e32 v7, 0, v4
	v_cmp_eq_u32_e32 vcc, s0, v0
	v_cmp_lt_u32_e64 s[0:1], 31, v0
	v_cmp_lt_u32_e64 s[2:3], 63, v0
	v_cmp_lt_u32_e64 s[4:5], s4, v0
	v_cmp_lt_u32_e64 s[6:7], s6, v0
	v_cmp_lt_u32_e64 s[8:9], s8, v0
	v_cmp_lt_u32_e64 s[10:11], s10, v0
	v_cmp_lt_u32_e64 s[12:13], s12, v0
	v_cmp_lt_u32_e64 s[14:15], s14, v0
	v_cmp_lt_u32_e64 s[16:17], s16, v0
	v_cmp_lt_u32_e64 s[18:19], s18, v0
	v_cmp_lt_u32_e64 s[20:21], s20, v0
	v_cmp_lt_u32_e64 s[22:23], s22, v0
	v_cmp_lt_u32_e64 s[24:25], s24, v0
	v_cmp_lt_u32_e64 s[26:27], s26, v0
	v_cmp_lt_u32_e64 s[28:29], s28, v0
	v_cmp_lt_u32_e64 s[30:31], s30, v0
	v_cmp_lt_u32_e64 s[34:35], s34, v0
	v_cmp_lt_u32_e64 s[36:37], s36, v0
	v_cmp_lt_u32_e64 s[38:39], s38, v0
	v_cmp_lt_u32_e64 s[40:41], s40, v0
	v_cmp_lt_u32_e64 s[42:43], s42, v0
	v_cmp_lt_u32_e64 s[44:45], s44, v0
	v_cmp_lt_u32_e64 s[46:47], s46, v0
	v_cmp_lt_u32_e64 s[48:49], s48, v0
	v_cmp_lt_u32_e64 s[50:51], s50, v0
	v_cmp_lt_u32_e64 s[52:53], s52, v0
	v_cmp_lt_u32_e64 s[54:55], s54, v0
	v_cmp_lt_u32_e64 s[56:57], s56, v0
	v_cmp_lt_u32_e64 s[58:59], s58, v0
	v_cmp_lt_u32_e64 s[60:61], s60, v0
	v_cmp_lt_u32_e64 s[62:63], s62, v0
	s_mov_b64 s[68:69], 0
	s_movk_i32 s71, 0xbff
	v_mov_b32_e32 v8, 0
	s_waitcnt lgkmcnt(0)
	s_barrier
	s_branch .LBB30_41
.LBB30_40:                              ;   in Loop: Header=BB30_41 Depth=1
	s_or_b64 exec, exec, s[64:65]
	s_waitcnt lgkmcnt(0)
	s_barrier
	ds_read_b32 v4, v6 offset:49276
	v_add_u32_e32 v14, 0x400, v14
	v_cmp_lt_u32_e64 s[64:65], s71, v14
	v_add_u32_e32 v1, 0x2000, v1
	s_or_b64 s[68:69], s[64:65], s[68:69]
	s_waitcnt lgkmcnt(0)
	v_add_u32_e32 v8, v4, v8
	v_add_u32_e32 v15, 0x1000, v15
	s_andn2_b64 exec, exec, s[68:69]
	s_cbranch_execz .LBB30_107
.LBB30_41:                              ; =>This Inner Loop Header: Depth=1
	ds_read_b32 v9, v15
	ds_read_b64 v[4:5], v1
	s_waitcnt lgkmcnt(0)
	s_barrier
	v_cmp_gt_i32_e64 s[64:65], s33, v9
	s_bcnt1_i32_b64 s75, s[64:65]
	s_nop 0
	v_and_b32_e32 v11, s64, v2
	v_and_b32_e32 v10, s65, v3
	v_bcnt_u32_b32 v11, v11, 0
	v_bcnt_u32_b32 v10, v10, v11
	v_mov_b32_e32 v11, s75
	ds_write_b32 v7, v11 offset:49152
	s_waitcnt lgkmcnt(0)
	s_barrier
	s_and_saveexec_b64 s[76:77], s[0:1]
	s_cbranch_execz .LBB30_74
; %bb.42:                               ;   in Loop: Header=BB30_41 Depth=1
	ds_read_b32 v11, v6 offset:49152
	s_waitcnt lgkmcnt(0)
	v_add_u32_e32 v10, v11, v10
	s_or_b64 exec, exec, s[76:77]
	s_and_saveexec_b64 s[76:77], s[2:3]
	s_cbranch_execnz .LBB30_75
.LBB30_43:                              ;   in Loop: Header=BB30_41 Depth=1
	s_or_b64 exec, exec, s[76:77]
	s_and_saveexec_b64 s[76:77], s[4:5]
	s_cbranch_execz .LBB30_76
.LBB30_44:                              ;   in Loop: Header=BB30_41 Depth=1
	ds_read_b32 v11, v6 offset:49160
	s_waitcnt lgkmcnt(0)
	v_add_u32_e32 v10, v11, v10
	s_or_b64 exec, exec, s[76:77]
	s_and_saveexec_b64 s[76:77], s[6:7]
	s_cbranch_execnz .LBB30_77
.LBB30_45:                              ;   in Loop: Header=BB30_41 Depth=1
	s_or_b64 exec, exec, s[76:77]
	s_and_saveexec_b64 s[76:77], s[8:9]
	s_cbranch_execz .LBB30_78
.LBB30_46:                              ;   in Loop: Header=BB30_41 Depth=1
	ds_read_b32 v11, v6 offset:49168
	s_waitcnt lgkmcnt(0)
	v_add_u32_e32 v10, v11, v10
	s_or_b64 exec, exec, s[76:77]
	s_and_saveexec_b64 s[76:77], s[10:11]
	s_cbranch_execnz .LBB30_79
.LBB30_47:                              ;   in Loop: Header=BB30_41 Depth=1
	s_or_b64 exec, exec, s[76:77]
	s_and_saveexec_b64 s[76:77], s[12:13]
	s_cbranch_execz .LBB30_80
.LBB30_48:                              ;   in Loop: Header=BB30_41 Depth=1
	ds_read_b32 v11, v6 offset:49176
	s_waitcnt lgkmcnt(0)
	v_add_u32_e32 v10, v11, v10
	s_or_b64 exec, exec, s[76:77]
	s_and_saveexec_b64 s[76:77], s[14:15]
	s_cbranch_execnz .LBB30_81
.LBB30_49:                              ;   in Loop: Header=BB30_41 Depth=1
	s_or_b64 exec, exec, s[76:77]
	s_and_saveexec_b64 s[76:77], s[16:17]
	s_cbranch_execz .LBB30_82
.LBB30_50:                              ;   in Loop: Header=BB30_41 Depth=1
	ds_read_b32 v11, v6 offset:49184
	s_waitcnt lgkmcnt(0)
	v_add_u32_e32 v10, v11, v10
	s_or_b64 exec, exec, s[76:77]
	s_and_saveexec_b64 s[76:77], s[18:19]
	s_cbranch_execnz .LBB30_83
.LBB30_51:                              ;   in Loop: Header=BB30_41 Depth=1
	s_or_b64 exec, exec, s[76:77]
	s_and_saveexec_b64 s[76:77], s[20:21]
	s_cbranch_execz .LBB30_84
.LBB30_52:                              ;   in Loop: Header=BB30_41 Depth=1
	ds_read_b32 v11, v6 offset:49192
	s_waitcnt lgkmcnt(0)
	v_add_u32_e32 v10, v11, v10
	s_or_b64 exec, exec, s[76:77]
	s_and_saveexec_b64 s[76:77], s[22:23]
	s_cbranch_execnz .LBB30_85
.LBB30_53:                              ;   in Loop: Header=BB30_41 Depth=1
	s_or_b64 exec, exec, s[76:77]
	s_and_saveexec_b64 s[76:77], s[24:25]
	s_cbranch_execz .LBB30_86
.LBB30_54:                              ;   in Loop: Header=BB30_41 Depth=1
	ds_read_b32 v11, v6 offset:49200
	s_waitcnt lgkmcnt(0)
	v_add_u32_e32 v10, v11, v10
	s_or_b64 exec, exec, s[76:77]
	s_and_saveexec_b64 s[76:77], s[26:27]
	s_cbranch_execnz .LBB30_87
.LBB30_55:                              ;   in Loop: Header=BB30_41 Depth=1
	s_or_b64 exec, exec, s[76:77]
	s_and_saveexec_b64 s[76:77], s[28:29]
	s_cbranch_execz .LBB30_88
.LBB30_56:                              ;   in Loop: Header=BB30_41 Depth=1
	ds_read_b32 v11, v6 offset:49208
	s_waitcnt lgkmcnt(0)
	v_add_u32_e32 v10, v11, v10
	s_or_b64 exec, exec, s[76:77]
	s_and_saveexec_b64 s[76:77], s[30:31]
	s_cbranch_execnz .LBB30_89
.LBB30_57:                              ;   in Loop: Header=BB30_41 Depth=1
	s_or_b64 exec, exec, s[76:77]
	s_and_saveexec_b64 s[76:77], s[34:35]
	s_cbranch_execz .LBB30_90
.LBB30_58:                              ;   in Loop: Header=BB30_41 Depth=1
	ds_read_b32 v11, v6 offset:49216
	s_waitcnt lgkmcnt(0)
	v_add_u32_e32 v10, v11, v10
	s_or_b64 exec, exec, s[76:77]
	s_and_saveexec_b64 s[76:77], s[36:37]
	s_cbranch_execnz .LBB30_91
.LBB30_59:                              ;   in Loop: Header=BB30_41 Depth=1
	s_or_b64 exec, exec, s[76:77]
	s_and_saveexec_b64 s[76:77], s[38:39]
	s_cbranch_execz .LBB30_92
.LBB30_60:                              ;   in Loop: Header=BB30_41 Depth=1
	ds_read_b32 v11, v6 offset:49224
	s_waitcnt lgkmcnt(0)
	v_add_u32_e32 v10, v11, v10
	s_or_b64 exec, exec, s[76:77]
	s_and_saveexec_b64 s[76:77], s[40:41]
	s_cbranch_execnz .LBB30_93
.LBB30_61:                              ;   in Loop: Header=BB30_41 Depth=1
	s_or_b64 exec, exec, s[76:77]
	s_and_saveexec_b64 s[76:77], s[42:43]
	s_cbranch_execz .LBB30_94
.LBB30_62:                              ;   in Loop: Header=BB30_41 Depth=1
	ds_read_b32 v11, v6 offset:49232
	s_waitcnt lgkmcnt(0)
	v_add_u32_e32 v10, v11, v10
	s_or_b64 exec, exec, s[76:77]
	s_and_saveexec_b64 s[76:77], s[44:45]
	s_cbranch_execnz .LBB30_95
.LBB30_63:                              ;   in Loop: Header=BB30_41 Depth=1
	s_or_b64 exec, exec, s[76:77]
	s_and_saveexec_b64 s[76:77], s[46:47]
	s_cbranch_execz .LBB30_96
.LBB30_64:                              ;   in Loop: Header=BB30_41 Depth=1
	ds_read_b32 v11, v6 offset:49240
	s_waitcnt lgkmcnt(0)
	v_add_u32_e32 v10, v11, v10
	s_or_b64 exec, exec, s[76:77]
	s_and_saveexec_b64 s[76:77], s[48:49]
	s_cbranch_execnz .LBB30_97
.LBB30_65:                              ;   in Loop: Header=BB30_41 Depth=1
	s_or_b64 exec, exec, s[76:77]
	s_and_saveexec_b64 s[76:77], s[50:51]
	s_cbranch_execz .LBB30_98
.LBB30_66:                              ;   in Loop: Header=BB30_41 Depth=1
	ds_read_b32 v11, v6 offset:49248
	s_waitcnt lgkmcnt(0)
	v_add_u32_e32 v10, v11, v10
	s_or_b64 exec, exec, s[76:77]
	s_and_saveexec_b64 s[76:77], s[52:53]
	s_cbranch_execnz .LBB30_99
.LBB30_67:                              ;   in Loop: Header=BB30_41 Depth=1
	s_or_b64 exec, exec, s[76:77]
	s_and_saveexec_b64 s[76:77], s[54:55]
	s_cbranch_execz .LBB30_100
.LBB30_68:                              ;   in Loop: Header=BB30_41 Depth=1
	ds_read_b32 v11, v6 offset:49256
	s_waitcnt lgkmcnt(0)
	v_add_u32_e32 v10, v11, v10
	s_or_b64 exec, exec, s[76:77]
	s_and_saveexec_b64 s[76:77], s[56:57]
	s_cbranch_execnz .LBB30_101
.LBB30_69:                              ;   in Loop: Header=BB30_41 Depth=1
	s_or_b64 exec, exec, s[76:77]
	s_and_saveexec_b64 s[76:77], s[58:59]
	s_cbranch_execz .LBB30_102
.LBB30_70:                              ;   in Loop: Header=BB30_41 Depth=1
	ds_read_b32 v11, v6 offset:49264
	s_waitcnt lgkmcnt(0)
	v_add_u32_e32 v10, v11, v10
	s_or_b64 exec, exec, s[76:77]
	s_and_saveexec_b64 s[76:77], s[60:61]
	s_cbranch_execnz .LBB30_103
.LBB30_71:                              ;   in Loop: Header=BB30_41 Depth=1
	s_or_b64 exec, exec, s[76:77]
	s_and_saveexec_b64 s[76:77], s[62:63]
	s_cbranch_execz .LBB30_104
.LBB30_72:                              ;   in Loop: Header=BB30_41 Depth=1
	ds_read_b32 v11, v6 offset:49272
	s_waitcnt lgkmcnt(0)
	v_add_u32_e32 v10, v11, v10
	s_or_b64 exec, exec, s[76:77]
	s_and_saveexec_b64 s[76:77], s[64:65]
	s_cbranch_execnz .LBB30_105
.LBB30_73:                              ;   in Loop: Header=BB30_41 Depth=1
	s_or_b64 exec, exec, s[76:77]
	s_and_saveexec_b64 s[64:65], vcc
	s_cbranch_execz .LBB30_40
	s_branch .LBB30_106
.LBB30_74:                              ;   in Loop: Header=BB30_41 Depth=1
	s_or_b64 exec, exec, s[76:77]
	s_and_saveexec_b64 s[76:77], s[2:3]
	s_cbranch_execz .LBB30_43
.LBB30_75:                              ;   in Loop: Header=BB30_41 Depth=1
	ds_read_b32 v11, v6 offset:49156
	s_waitcnt lgkmcnt(0)
	v_add_u32_e32 v10, v11, v10
	s_or_b64 exec, exec, s[76:77]
	s_and_saveexec_b64 s[76:77], s[4:5]
	s_cbranch_execnz .LBB30_44
.LBB30_76:                              ;   in Loop: Header=BB30_41 Depth=1
	s_or_b64 exec, exec, s[76:77]
	s_and_saveexec_b64 s[76:77], s[6:7]
	s_cbranch_execz .LBB30_45
.LBB30_77:                              ;   in Loop: Header=BB30_41 Depth=1
	ds_read_b32 v11, v6 offset:49164
	s_waitcnt lgkmcnt(0)
	v_add_u32_e32 v10, v11, v10
	s_or_b64 exec, exec, s[76:77]
	s_and_saveexec_b64 s[76:77], s[8:9]
	s_cbranch_execnz .LBB30_46
.LBB30_78:                              ;   in Loop: Header=BB30_41 Depth=1
	s_or_b64 exec, exec, s[76:77]
	s_and_saveexec_b64 s[76:77], s[10:11]
	s_cbranch_execz .LBB30_47
.LBB30_79:                              ;   in Loop: Header=BB30_41 Depth=1
	ds_read_b32 v11, v6 offset:49172
	s_waitcnt lgkmcnt(0)
	v_add_u32_e32 v10, v11, v10
	s_or_b64 exec, exec, s[76:77]
	s_and_saveexec_b64 s[76:77], s[12:13]
	s_cbranch_execnz .LBB30_48
.LBB30_80:                              ;   in Loop: Header=BB30_41 Depth=1
	s_or_b64 exec, exec, s[76:77]
	s_and_saveexec_b64 s[76:77], s[14:15]
	s_cbranch_execz .LBB30_49
.LBB30_81:                              ;   in Loop: Header=BB30_41 Depth=1
	ds_read_b32 v11, v6 offset:49180
	s_waitcnt lgkmcnt(0)
	v_add_u32_e32 v10, v11, v10
	s_or_b64 exec, exec, s[76:77]
	s_and_saveexec_b64 s[76:77], s[16:17]
	s_cbranch_execnz .LBB30_50
.LBB30_82:                              ;   in Loop: Header=BB30_41 Depth=1
	s_or_b64 exec, exec, s[76:77]
	s_and_saveexec_b64 s[76:77], s[18:19]
	s_cbranch_execz .LBB30_51
.LBB30_83:                              ;   in Loop: Header=BB30_41 Depth=1
	ds_read_b32 v11, v6 offset:49188
	s_waitcnt lgkmcnt(0)
	v_add_u32_e32 v10, v11, v10
	s_or_b64 exec, exec, s[76:77]
	s_and_saveexec_b64 s[76:77], s[20:21]
	s_cbranch_execnz .LBB30_52
.LBB30_84:                              ;   in Loop: Header=BB30_41 Depth=1
	s_or_b64 exec, exec, s[76:77]
	s_and_saveexec_b64 s[76:77], s[22:23]
	s_cbranch_execz .LBB30_53
.LBB30_85:                              ;   in Loop: Header=BB30_41 Depth=1
	ds_read_b32 v11, v6 offset:49196
	s_waitcnt lgkmcnt(0)
	v_add_u32_e32 v10, v11, v10
	s_or_b64 exec, exec, s[76:77]
	s_and_saveexec_b64 s[76:77], s[24:25]
	s_cbranch_execnz .LBB30_54
.LBB30_86:                              ;   in Loop: Header=BB30_41 Depth=1
	s_or_b64 exec, exec, s[76:77]
	s_and_saveexec_b64 s[76:77], s[26:27]
	s_cbranch_execz .LBB30_55
.LBB30_87:                              ;   in Loop: Header=BB30_41 Depth=1
	ds_read_b32 v11, v6 offset:49204
	s_waitcnt lgkmcnt(0)
	v_add_u32_e32 v10, v11, v10
	s_or_b64 exec, exec, s[76:77]
	s_and_saveexec_b64 s[76:77], s[28:29]
	s_cbranch_execnz .LBB30_56
.LBB30_88:                              ;   in Loop: Header=BB30_41 Depth=1
	s_or_b64 exec, exec, s[76:77]
	s_and_saveexec_b64 s[76:77], s[30:31]
	s_cbranch_execz .LBB30_57
.LBB30_89:                              ;   in Loop: Header=BB30_41 Depth=1
	ds_read_b32 v11, v6 offset:49212
	s_waitcnt lgkmcnt(0)
	v_add_u32_e32 v10, v11, v10
	s_or_b64 exec, exec, s[76:77]
	s_and_saveexec_b64 s[76:77], s[34:35]
	s_cbranch_execnz .LBB30_58
.LBB30_90:                              ;   in Loop: Header=BB30_41 Depth=1
	s_or_b64 exec, exec, s[76:77]
	s_and_saveexec_b64 s[76:77], s[36:37]
	s_cbranch_execz .LBB30_59
.LBB30_91:                              ;   in Loop: Header=BB30_41 Depth=1
	ds_read_b32 v11, v6 offset:49220
	s_waitcnt lgkmcnt(0)
	v_add_u32_e32 v10, v11, v10
	s_or_b64 exec, exec, s[76:77]
	s_and_saveexec_b64 s[76:77], s[38:39]
	s_cbranch_execnz .LBB30_60
.LBB30_92:                              ;   in Loop: Header=BB30_41 Depth=1
	s_or_b64 exec, exec, s[76:77]
	s_and_saveexec_b64 s[76:77], s[40:41]
	s_cbranch_execz .LBB30_61
.LBB30_93:                              ;   in Loop: Header=BB30_41 Depth=1
	ds_read_b32 v11, v6 offset:49228
	s_waitcnt lgkmcnt(0)
	v_add_u32_e32 v10, v11, v10
	s_or_b64 exec, exec, s[76:77]
	s_and_saveexec_b64 s[76:77], s[42:43]
	s_cbranch_execnz .LBB30_62
.LBB30_94:                              ;   in Loop: Header=BB30_41 Depth=1
	s_or_b64 exec, exec, s[76:77]
	s_and_saveexec_b64 s[76:77], s[44:45]
	s_cbranch_execz .LBB30_63
.LBB30_95:                              ;   in Loop: Header=BB30_41 Depth=1
	ds_read_b32 v11, v6 offset:49236
	s_waitcnt lgkmcnt(0)
	v_add_u32_e32 v10, v11, v10
	s_or_b64 exec, exec, s[76:77]
	s_and_saveexec_b64 s[76:77], s[46:47]
	s_cbranch_execnz .LBB30_64
.LBB30_96:                              ;   in Loop: Header=BB30_41 Depth=1
	s_or_b64 exec, exec, s[76:77]
	s_and_saveexec_b64 s[76:77], s[48:49]
	s_cbranch_execz .LBB30_65
.LBB30_97:                              ;   in Loop: Header=BB30_41 Depth=1
	ds_read_b32 v11, v6 offset:49244
	s_waitcnt lgkmcnt(0)
	v_add_u32_e32 v10, v11, v10
	s_or_b64 exec, exec, s[76:77]
	s_and_saveexec_b64 s[76:77], s[50:51]
	s_cbranch_execnz .LBB30_66
.LBB30_98:                              ;   in Loop: Header=BB30_41 Depth=1
	s_or_b64 exec, exec, s[76:77]
	s_and_saveexec_b64 s[76:77], s[52:53]
	s_cbranch_execz .LBB30_67
.LBB30_99:                              ;   in Loop: Header=BB30_41 Depth=1
	ds_read_b32 v11, v6 offset:49252
	s_waitcnt lgkmcnt(0)
	v_add_u32_e32 v10, v11, v10
	s_or_b64 exec, exec, s[76:77]
	s_and_saveexec_b64 s[76:77], s[54:55]
	s_cbranch_execnz .LBB30_68
.LBB30_100:                             ;   in Loop: Header=BB30_41 Depth=1
	s_or_b64 exec, exec, s[76:77]
	s_and_saveexec_b64 s[76:77], s[56:57]
	s_cbranch_execz .LBB30_69
.LBB30_101:                             ;   in Loop: Header=BB30_41 Depth=1
	ds_read_b32 v11, v6 offset:49260
	s_waitcnt lgkmcnt(0)
	v_add_u32_e32 v10, v11, v10
	s_or_b64 exec, exec, s[76:77]
	s_and_saveexec_b64 s[76:77], s[58:59]
	s_cbranch_execnz .LBB30_70
.LBB30_102:                             ;   in Loop: Header=BB30_41 Depth=1
	s_or_b64 exec, exec, s[76:77]
	s_and_saveexec_b64 s[76:77], s[60:61]
	s_cbranch_execz .LBB30_71
.LBB30_103:                             ;   in Loop: Header=BB30_41 Depth=1
	ds_read_b32 v11, v6 offset:49268
	s_waitcnt lgkmcnt(0)
	v_add_u32_e32 v10, v11, v10
	s_or_b64 exec, exec, s[76:77]
	s_and_saveexec_b64 s[76:77], s[62:63]
	s_cbranch_execnz .LBB30_72
.LBB30_104:                             ;   in Loop: Header=BB30_41 Depth=1
	s_or_b64 exec, exec, s[76:77]
	s_and_saveexec_b64 s[76:77], s[64:65]
	s_cbranch_execz .LBB30_73
.LBB30_105:                             ;   in Loop: Header=BB30_41 Depth=1
	v_add3_u32 v11, v8, -1, v10
	v_lshl_add_u32 v11, v11, 2, 0
	v_add_u32_e32 v12, v8, v10
	v_lshl_add_u32 v12, v12, 3, 0
	ds_write_b32 v11, v9
	ds_write_b64 v12, v[4:5] offset:16376
	s_or_b64 exec, exec, s[76:77]
	s_and_saveexec_b64 s[64:65], vcc
	s_cbranch_execz .LBB30_40
.LBB30_106:                             ;   in Loop: Header=BB30_41 Depth=1
	ds_write_b32 v6, v10 offset:49276
	s_branch .LBB30_40
.LBB30_107:
	s_or_b64 exec, exec, s[68:69]
	s_ashr_i32 s75, s74, 31
	s_lshl_b64 s[0:1], s[74:75], 2
	s_add_u32 s2, s66, s0
	s_addc_u32 s3, s67, s1
	s_load_dwordx2 s[0:1], s[2:3], 0x0
	s_waitcnt lgkmcnt(0)
	s_sub_i32 s14, s1, s0
	v_cmp_gt_i32_e32 vcc, s14, v0
	s_and_saveexec_b64 s[2:3], vcc
	s_cbranch_execz .LBB30_121
; %bb.108:
	s_sub_i32 s8, s0, s70
	v_sub_co_u32_e64 v1, s[0:1], s14, 2
	s_nop 0
	v_readfirstlane_b32 s2, v1
	s_lshr_b32 s2, s2, 1
	s_add_i32 s2, s2, 1
	s_xor_b64 s[0:1], s[0:1], -1
	s_and_b32 s15, s14, -2
	s_and_b32 s3, s2, 7
	s_and_b32 s16, s2, -8
	s_cmp_lg_u32 s3, 0
	v_cmp_lt_u32_e32 vcc, 13, v1
	s_cselect_b64 s[4:5], -1, 0
	s_cmp_lg_u32 s14, s15
	v_cndmask_b32_e64 v1, 0, 1, vcc
	s_cselect_b64 s[10:11], -1, 0
	s_lshl_b32 s17, s3, 3
	v_cndmask_b32_e64 v2, 0, 1, s[0:1]
	v_cmp_ne_u32_e64 s[2:3], 1, v1
	v_cndmask_b32_e64 v1, 0, 1, s[4:5]
	s_mov_b32 s9, 0
	s_mov_b64 s[12:13], 0
	v_cmp_ne_u32_e64 s[0:1], 1, v2
	v_cmp_ne_u32_e64 s[4:5], 1, v1
	s_branch .LBB30_110
.LBB30_109:                             ;   in Loop: Header=BB30_110 Depth=1
	v_add_u32_e32 v0, 0x400, v0
	v_ashrrev_i32_e32 v5, 31, v4
	v_cmp_le_i32_e32 vcc, s14, v0
	v_lshl_add_u64 v[4:5], v[4:5], 3, s[72:73]
	s_or_b64 s[12:13], vcc, s[12:13]
	s_waitcnt lgkmcnt(0)
	global_store_dwordx2 v[4:5], v[2:3], off
	s_andn2_b64 exec, exec, s[12:13]
	s_cbranch_execz .LBB30_121
.LBB30_110:                             ; =>This Loop Header: Depth=1
                                        ;     Child Loop BB30_113 Depth 2
                                        ;     Child Loop BB30_116 Depth 2
	;; [unrolled: 1-line block ×3, first 2 shown]
	v_lshlrev_b32_e32 v1, 2, v0
	v_add_u32_e32 v2, 0, v1
	v_add_u32_e32 v3, v2, v1
	ds_read_b32 v1, v2
	ds_read_b64 v[2:3], v3 offset:16384
	s_and_b64 vcc, exec, s[0:1]
	v_mov_b32_e32 v4, s8
	s_mov_b32 s18, 0
	s_mov_b64 s[6:7], -1
	s_cbranch_vccnz .LBB30_118
; %bb.111:                              ;   in Loop: Header=BB30_110 Depth=1
	s_and_b64 vcc, exec, s[2:3]
	v_mov_b64_e32 v[4:5], s[8:9]
	s_cbranch_vccnz .LBB30_114
; %bb.112:                              ;   in Loop: Header=BB30_110 Depth=1
	s_mov_b32 s19, 0
	v_mov_b32_e32 v4, s8
	v_mov_b32_e32 v5, 0
	s_mov_b32 s20, s16
.LBB30_113:                             ;   Parent Loop BB30_110 Depth=1
                                        ; =>  This Inner Loop Header: Depth=2
	v_mov_b32_e32 v20, s19
	ds_read2_b32 v[6:7], v20 offset1:1
	ds_read2_b32 v[8:9], v20 offset0:2 offset1:3
	ds_read2_b32 v[10:11], v20 offset0:4 offset1:5
	ds_read2_b32 v[12:13], v20 offset0:6 offset1:7
	ds_read2_b32 v[14:15], v20 offset0:8 offset1:9
	ds_read2_b32 v[16:17], v20 offset0:10 offset1:11
	ds_read2_b32 v[18:19], v20 offset0:12 offset1:13
	ds_read2_b32 v[20:21], v20 offset0:14 offset1:15
	s_waitcnt lgkmcnt(7)
	v_cmp_gt_i32_e32 vcc, v1, v7
	s_waitcnt lgkmcnt(5)
	v_cmp_gt_i32_e64 s[6:7], v1, v10
	s_add_i32 s18, s18, 16
	v_cndmask_b32_e64 v7, 0, 1, vcc
	v_cmp_gt_i32_e32 vcc, v1, v6
	s_add_i32 s19, s19, 64
	s_add_i32 s20, s20, -8
	v_cndmask_b32_e64 v6, 0, 1, vcc
	v_cmp_gt_i32_e32 vcc, v1, v9
	v_cndmask_b32_e64 v9, 0, 1, s[6:7]
	v_cmp_gt_i32_e64 s[6:7], v1, v11
	v_addc_co_u32_e32 v5, vcc, v5, v7, vcc
	s_nop 0
	v_cndmask_b32_e64 v10, 0, 1, s[6:7]
	s_waitcnt lgkmcnt(3)
	v_cmp_gt_i32_e64 s[6:7], v1, v15
	v_cmp_gt_i32_e32 vcc, v1, v12
	s_cmp_lg_u32 s20, 0
	v_cndmask_b32_e64 v11, 0, 1, s[6:7]
	v_cmp_gt_i32_e64 s[6:7], v1, v14
	s_nop 1
	v_cndmask_b32_e64 v14, 0, 1, s[6:7]
	s_waitcnt lgkmcnt(1)
	v_cmp_gt_i32_e64 s[6:7], v1, v18
	s_nop 1
	v_cndmask_b32_e64 v15, 0, 1, s[6:7]
	v_cmp_gt_i32_e64 s[6:7], v1, v19
	s_nop 1
	v_cndmask_b32_e64 v18, 0, 1, s[6:7]
	v_cmp_gt_i32_e64 s[6:7], v1, v8
	s_nop 1
	v_addc_co_u32_e64 v4, s[6:7], v4, v6, s[6:7]
	v_cmp_gt_i32_e64 s[6:7], v1, v13
	v_addc_co_u32_e32 v4, vcc, v4, v9, vcc
	s_nop 0
	v_addc_co_u32_e64 v5, s[6:7], v5, v10, s[6:7]
	v_cmp_gt_i32_e32 vcc, v1, v17
	v_cmp_gt_i32_e64 s[6:7], v1, v16
	s_nop 0
	v_addc_co_u32_e32 v5, vcc, v5, v11, vcc
	v_addc_co_u32_e64 v4, s[6:7], v4, v14, s[6:7]
	s_waitcnt lgkmcnt(0)
	v_cmp_gt_i32_e32 vcc, v1, v20
	v_cmp_gt_i32_e64 s[6:7], v1, v21
	s_nop 0
	v_addc_co_u32_e32 v4, vcc, v4, v15, vcc
	v_addc_co_u32_e64 v5, s[6:7], v5, v18, s[6:7]
	s_cbranch_scc1 .LBB30_113
.LBB30_114:                             ;   in Loop: Header=BB30_110 Depth=1
	s_and_b64 vcc, exec, s[4:5]
	s_cbranch_vccnz .LBB30_117
; %bb.115:                              ;   in Loop: Header=BB30_110 Depth=1
	s_lshl_b32 s6, s18, 2
	s_add_i32 s6, s6, 0
	s_mov_b32 s7, s17
.LBB30_116:                             ;   Parent Loop BB30_110 Depth=1
                                        ; =>  This Inner Loop Header: Depth=2
	v_mov_b32_e32 v6, s6
	ds_read2_b32 v[6:7], v6 offset1:1
	s_add_i32 s6, s6, 8
	s_add_i32 s7, s7, -8
	s_cmp_lg_u32 s7, 0
	s_waitcnt lgkmcnt(0)
	v_cmp_gt_i32_e32 vcc, v1, v7
	s_nop 1
	v_addc_co_u32_e32 v5, vcc, 0, v5, vcc
	v_cmp_gt_i32_e32 vcc, v1, v6
	s_nop 1
	v_addc_co_u32_e32 v4, vcc, 0, v4, vcc
	s_cbranch_scc1 .LBB30_116
.LBB30_117:                             ;   in Loop: Header=BB30_110 Depth=1
	v_add_u32_e32 v4, v4, v5
	s_mov_b32 s18, s15
	s_mov_b64 s[6:7], s[10:11]
.LBB30_118:                             ;   in Loop: Header=BB30_110 Depth=1
	s_and_b64 vcc, exec, s[6:7]
	s_cbranch_vccz .LBB30_109
; %bb.119:                              ;   in Loop: Header=BB30_110 Depth=1
	s_lshl_b32 s6, s18, 2
	s_add_i32 s6, s6, 0
.LBB30_120:                             ;   Parent Loop BB30_110 Depth=1
                                        ; =>  This Inner Loop Header: Depth=2
	v_mov_b32_e32 v5, s6
	ds_read_b32 v5, v5
	s_add_i32 s18, s18, 1
	s_add_i32 s6, s6, 4
	s_cmp_ge_i32 s18, s14
	s_waitcnt lgkmcnt(0)
	v_cmp_gt_i32_e32 vcc, v1, v5
	s_nop 1
	v_addc_co_u32_e32 v4, vcc, 0, v4, vcc
	s_cbranch_scc0 .LBB30_120
	s_branch .LBB30_109
.LBB30_121:
	s_endpgm
	.section	.rodata,"a",@progbits
	.p2align	6, 0x0
	.amdhsa_kernel _ZN9rocsparseL41csrgemm_numeric_fill_block_per_row_kernelILj1024ELj64ELj4096ELj137ELj32EiidEEvT5_PKS1_S3_NS_24const_host_device_scalarIT6_EEPKT4_S3_PKS5_S9_S3_SB_S6_S9_S3_SB_S9_S3_PS5_21rocsparse_index_base_SD_SD_SD_bbb
		.amdhsa_group_segment_fixed_size 0
		.amdhsa_private_segment_fixed_size 0
		.amdhsa_kernarg_size 156
		.amdhsa_user_sgpr_count 2
		.amdhsa_user_sgpr_dispatch_ptr 0
		.amdhsa_user_sgpr_queue_ptr 0
		.amdhsa_user_sgpr_kernarg_segment_ptr 1
		.amdhsa_user_sgpr_dispatch_id 0
		.amdhsa_user_sgpr_kernarg_preload_length 0
		.amdhsa_user_sgpr_kernarg_preload_offset 0
		.amdhsa_user_sgpr_private_segment_size 0
		.amdhsa_uses_dynamic_stack 0
		.amdhsa_enable_private_segment 0
		.amdhsa_system_sgpr_workgroup_id_x 1
		.amdhsa_system_sgpr_workgroup_id_y 0
		.amdhsa_system_sgpr_workgroup_id_z 0
		.amdhsa_system_sgpr_workgroup_info 0
		.amdhsa_system_vgpr_workitem_id 0
		.amdhsa_next_free_vgpr 22
		.amdhsa_next_free_sgpr 78
		.amdhsa_accum_offset 24
		.amdhsa_reserve_vcc 1
		.amdhsa_float_round_mode_32 0
		.amdhsa_float_round_mode_16_64 0
		.amdhsa_float_denorm_mode_32 3
		.amdhsa_float_denorm_mode_16_64 3
		.amdhsa_dx10_clamp 1
		.amdhsa_ieee_mode 1
		.amdhsa_fp16_overflow 0
		.amdhsa_tg_split 0
		.amdhsa_exception_fp_ieee_invalid_op 0
		.amdhsa_exception_fp_denorm_src 0
		.amdhsa_exception_fp_ieee_div_zero 0
		.amdhsa_exception_fp_ieee_overflow 0
		.amdhsa_exception_fp_ieee_underflow 0
		.amdhsa_exception_fp_ieee_inexact 0
		.amdhsa_exception_int_div_zero 0
	.end_amdhsa_kernel
	.section	.text._ZN9rocsparseL41csrgemm_numeric_fill_block_per_row_kernelILj1024ELj64ELj4096ELj137ELj32EiidEEvT5_PKS1_S3_NS_24const_host_device_scalarIT6_EEPKT4_S3_PKS5_S9_S3_SB_S6_S9_S3_SB_S9_S3_PS5_21rocsparse_index_base_SD_SD_SD_bbb,"axG",@progbits,_ZN9rocsparseL41csrgemm_numeric_fill_block_per_row_kernelILj1024ELj64ELj4096ELj137ELj32EiidEEvT5_PKS1_S3_NS_24const_host_device_scalarIT6_EEPKT4_S3_PKS5_S9_S3_SB_S6_S9_S3_SB_S9_S3_PS5_21rocsparse_index_base_SD_SD_SD_bbb,comdat
.Lfunc_end30:
	.size	_ZN9rocsparseL41csrgemm_numeric_fill_block_per_row_kernelILj1024ELj64ELj4096ELj137ELj32EiidEEvT5_PKS1_S3_NS_24const_host_device_scalarIT6_EEPKT4_S3_PKS5_S9_S3_SB_S6_S9_S3_SB_S9_S3_PS5_21rocsparse_index_base_SD_SD_SD_bbb, .Lfunc_end30-_ZN9rocsparseL41csrgemm_numeric_fill_block_per_row_kernelILj1024ELj64ELj4096ELj137ELj32EiidEEvT5_PKS1_S3_NS_24const_host_device_scalarIT6_EEPKT4_S3_PKS5_S9_S3_SB_S6_S9_S3_SB_S9_S3_PS5_21rocsparse_index_base_SD_SD_SD_bbb
                                        ; -- End function
	.set _ZN9rocsparseL41csrgemm_numeric_fill_block_per_row_kernelILj1024ELj64ELj4096ELj137ELj32EiidEEvT5_PKS1_S3_NS_24const_host_device_scalarIT6_EEPKT4_S3_PKS5_S9_S3_SB_S6_S9_S3_SB_S9_S3_PS5_21rocsparse_index_base_SD_SD_SD_bbb.num_vgpr, 22
	.set _ZN9rocsparseL41csrgemm_numeric_fill_block_per_row_kernelILj1024ELj64ELj4096ELj137ELj32EiidEEvT5_PKS1_S3_NS_24const_host_device_scalarIT6_EEPKT4_S3_PKS5_S9_S3_SB_S6_S9_S3_SB_S9_S3_PS5_21rocsparse_index_base_SD_SD_SD_bbb.num_agpr, 0
	.set _ZN9rocsparseL41csrgemm_numeric_fill_block_per_row_kernelILj1024ELj64ELj4096ELj137ELj32EiidEEvT5_PKS1_S3_NS_24const_host_device_scalarIT6_EEPKT4_S3_PKS5_S9_S3_SB_S6_S9_S3_SB_S9_S3_PS5_21rocsparse_index_base_SD_SD_SD_bbb.numbered_sgpr, 78
	.set _ZN9rocsparseL41csrgemm_numeric_fill_block_per_row_kernelILj1024ELj64ELj4096ELj137ELj32EiidEEvT5_PKS1_S3_NS_24const_host_device_scalarIT6_EEPKT4_S3_PKS5_S9_S3_SB_S6_S9_S3_SB_S9_S3_PS5_21rocsparse_index_base_SD_SD_SD_bbb.num_named_barrier, 0
	.set _ZN9rocsparseL41csrgemm_numeric_fill_block_per_row_kernelILj1024ELj64ELj4096ELj137ELj32EiidEEvT5_PKS1_S3_NS_24const_host_device_scalarIT6_EEPKT4_S3_PKS5_S9_S3_SB_S6_S9_S3_SB_S9_S3_PS5_21rocsparse_index_base_SD_SD_SD_bbb.private_seg_size, 0
	.set _ZN9rocsparseL41csrgemm_numeric_fill_block_per_row_kernelILj1024ELj64ELj4096ELj137ELj32EiidEEvT5_PKS1_S3_NS_24const_host_device_scalarIT6_EEPKT4_S3_PKS5_S9_S3_SB_S6_S9_S3_SB_S9_S3_PS5_21rocsparse_index_base_SD_SD_SD_bbb.uses_vcc, 1
	.set _ZN9rocsparseL41csrgemm_numeric_fill_block_per_row_kernelILj1024ELj64ELj4096ELj137ELj32EiidEEvT5_PKS1_S3_NS_24const_host_device_scalarIT6_EEPKT4_S3_PKS5_S9_S3_SB_S6_S9_S3_SB_S9_S3_PS5_21rocsparse_index_base_SD_SD_SD_bbb.uses_flat_scratch, 0
	.set _ZN9rocsparseL41csrgemm_numeric_fill_block_per_row_kernelILj1024ELj64ELj4096ELj137ELj32EiidEEvT5_PKS1_S3_NS_24const_host_device_scalarIT6_EEPKT4_S3_PKS5_S9_S3_SB_S6_S9_S3_SB_S9_S3_PS5_21rocsparse_index_base_SD_SD_SD_bbb.has_dyn_sized_stack, 0
	.set _ZN9rocsparseL41csrgemm_numeric_fill_block_per_row_kernelILj1024ELj64ELj4096ELj137ELj32EiidEEvT5_PKS1_S3_NS_24const_host_device_scalarIT6_EEPKT4_S3_PKS5_S9_S3_SB_S6_S9_S3_SB_S9_S3_PS5_21rocsparse_index_base_SD_SD_SD_bbb.has_recursion, 0
	.set _ZN9rocsparseL41csrgemm_numeric_fill_block_per_row_kernelILj1024ELj64ELj4096ELj137ELj32EiidEEvT5_PKS1_S3_NS_24const_host_device_scalarIT6_EEPKT4_S3_PKS5_S9_S3_SB_S6_S9_S3_SB_S9_S3_PS5_21rocsparse_index_base_SD_SD_SD_bbb.has_indirect_call, 0
	.section	.AMDGPU.csdata,"",@progbits
; Kernel info:
; codeLenInByte = 4056
; TotalNumSgprs: 84
; NumVgprs: 22
; NumAgprs: 0
; TotalNumVgprs: 22
; ScratchSize: 0
; MemoryBound: 0
; FloatMode: 240
; IeeeMode: 1
; LDSByteSize: 0 bytes/workgroup (compile time only)
; SGPRBlocks: 10
; VGPRBlocks: 2
; NumSGPRsForWavesPerEU: 84
; NumVGPRsForWavesPerEU: 22
; AccumOffset: 24
; Occupancy: 8
; WaveLimiterHint : 1
; COMPUTE_PGM_RSRC2:SCRATCH_EN: 0
; COMPUTE_PGM_RSRC2:USER_SGPR: 2
; COMPUTE_PGM_RSRC2:TRAP_HANDLER: 0
; COMPUTE_PGM_RSRC2:TGID_X_EN: 1
; COMPUTE_PGM_RSRC2:TGID_Y_EN: 0
; COMPUTE_PGM_RSRC2:TGID_Z_EN: 0
; COMPUTE_PGM_RSRC2:TIDIG_COMP_CNT: 0
; COMPUTE_PGM_RSRC3_GFX90A:ACCUM_OFFSET: 5
; COMPUTE_PGM_RSRC3_GFX90A:TG_SPLIT: 0
	.section	.text._ZN9rocsparseL41csrgemm_numeric_fill_block_per_row_kernelILj1024ELj64ELj4096ELj137ELj64EiidEEvT5_PKS1_S3_NS_24const_host_device_scalarIT6_EEPKT4_S3_PKS5_S9_S3_SB_S6_S9_S3_SB_S9_S3_PS5_21rocsparse_index_base_SD_SD_SD_bbb,"axG",@progbits,_ZN9rocsparseL41csrgemm_numeric_fill_block_per_row_kernelILj1024ELj64ELj4096ELj137ELj64EiidEEvT5_PKS1_S3_NS_24const_host_device_scalarIT6_EEPKT4_S3_PKS5_S9_S3_SB_S6_S9_S3_SB_S9_S3_PS5_21rocsparse_index_base_SD_SD_SD_bbb,comdat
	.globl	_ZN9rocsparseL41csrgemm_numeric_fill_block_per_row_kernelILj1024ELj64ELj4096ELj137ELj64EiidEEvT5_PKS1_S3_NS_24const_host_device_scalarIT6_EEPKT4_S3_PKS5_S9_S3_SB_S6_S9_S3_SB_S9_S3_PS5_21rocsparse_index_base_SD_SD_SD_bbb ; -- Begin function _ZN9rocsparseL41csrgemm_numeric_fill_block_per_row_kernelILj1024ELj64ELj4096ELj137ELj64EiidEEvT5_PKS1_S3_NS_24const_host_device_scalarIT6_EEPKT4_S3_PKS5_S9_S3_SB_S6_S9_S3_SB_S9_S3_PS5_21rocsparse_index_base_SD_SD_SD_bbb
	.p2align	8
	.type	_ZN9rocsparseL41csrgemm_numeric_fill_block_per_row_kernelILj1024ELj64ELj4096ELj137ELj64EiidEEvT5_PKS1_S3_NS_24const_host_device_scalarIT6_EEPKT4_S3_PKS5_S9_S3_SB_S6_S9_S3_SB_S9_S3_PS5_21rocsparse_index_base_SD_SD_SD_bbb,@function
_ZN9rocsparseL41csrgemm_numeric_fill_block_per_row_kernelILj1024ELj64ELj4096ELj137ELj64EiidEEvT5_PKS1_S3_NS_24const_host_device_scalarIT6_EEPKT4_S3_PKS5_S9_S3_SB_S6_S9_S3_SB_S9_S3_PS5_21rocsparse_index_base_SD_SD_SD_bbb: ; @_ZN9rocsparseL41csrgemm_numeric_fill_block_per_row_kernelILj1024ELj64ELj4096ELj137ELj64EiidEEvT5_PKS1_S3_NS_24const_host_device_scalarIT6_EEPKT4_S3_PKS5_S9_S3_SB_S6_S9_S3_SB_S9_S3_PS5_21rocsparse_index_base_SD_SD_SD_bbb
; %bb.0:
	s_load_dword s3, s[0:1], 0x98
	s_load_dwordx4 s[44:47], s[0:1], 0x88
	s_load_dwordx2 s[4:5], s[0:1], 0x18
	s_load_dwordx2 s[24:25], s[0:1], 0x50
	s_waitcnt lgkmcnt(0)
	s_bitcmp1_b32 s3, 0
	s_cselect_b64 s[22:23], -1, 0
	s_bitcmp1_b32 s3, 16
	s_cselect_b64 s[26:27], -1, 0
	s_xor_b64 s[6:7], s[22:23], -1
	s_or_b64 s[6:7], s[26:27], s[6:7]
	s_and_b64 s[8:9], s[22:23], exec
	s_cselect_b32 s9, s5, 0
	s_cselect_b32 s8, s4, 0
	s_and_b64 vcc, exec, s[6:7]
	v_mov_b64_e32 v[4:5], s[8:9]
	s_cbranch_vccnz .LBB31_2
; %bb.1:
	v_mov_b64_e32 v[2:3], s[4:5]
	flat_load_dwordx2 v[4:5], v[2:3]
.LBB31_2:
	s_load_dwordx2 s[34:35], s[0:1], 0x80
	s_load_dwordx8 s[36:43], s[0:1], 0x58
	s_load_dwordx4 s[12:15], s[0:1], 0x40
	s_load_dwordx4 s[16:19], s[0:1], 0x8
	s_load_dwordx8 s[4:11], s[0:1], 0x20
	s_bitcmp1_b32 s3, 8
	s_cselect_b64 s[20:21], -1, 0
	s_xor_b64 s[28:29], s[20:21], -1
	s_or_b64 s[26:27], s[26:27], s[28:29]
	s_and_b64 s[28:29], s[20:21], exec
	s_cselect_b32 s29, s25, 0
	s_cselect_b32 s28, s24, 0
	s_and_b64 vcc, exec, s[26:27]
	v_mov_b64_e32 v[2:3], s[28:29]
	s_cbranch_vccnz .LBB31_4
; %bb.3:
	v_mov_b64_e32 v[2:3], s[24:25]
	flat_load_dwordx2 v[2:3], v[2:3]
.LBB31_4:
	s_load_dword s33, s[0:1], 0x0
	v_lshl_add_u32 v1, v0, 3, 0
	v_mov_b32_e32 v6, 0
	v_add_u32_e32 v1, 0x4000, v1
	v_or_b32_e32 v14, 0xfffffc00, v0
	v_lshl_add_u32 v15, v0, 2, 0
	s_mov_b64 s[0:1], 0
	s_waitcnt lgkmcnt(0)
	v_mov_b32_e32 v11, s33
	v_mov_b32_e32 v7, v6
	s_movk_i32 s3, 0xbff
	v_mov_b32_e32 v8, v15
	v_mov_b32_e32 v9, v14
	;; [unrolled: 1-line block ×3, first 2 shown]
.LBB31_5:                               ; =>This Inner Loop Header: Depth=1
	v_add_u32_e32 v9, 0x400, v9
	v_cmp_lt_u32_e32 vcc, s3, v9
	ds_write_b32 v8, v11
	ds_write_b64 v10, v[6:7]
	v_add_u32_e32 v10, 0x2000, v10
	s_or_b64 s[0:1], vcc, s[0:1]
	v_add_u32_e32 v8, 0x1000, v8
	s_andn2_b64 exec, exec, s[0:1]
	s_cbranch_execnz .LBB31_5
; %bb.6:
	s_or_b64 exec, exec, s[0:1]
	s_waitcnt lgkmcnt(0)
	s_barrier
	s_load_dword s0, s[16:17], 0x0
	s_mov_b32 s1, 0
	v_lshrrev_b32_e32 v16, 6, v0
	s_waitcnt lgkmcnt(0)
	s_add_i32 s0, s0, s2
	s_lshl_b64 s[0:1], s[0:1], 2
	s_add_u32 s0, s18, s0
	s_addc_u32 s1, s19, s1
	s_load_dword s48, s[0:1], 0x0
	s_and_b64 vcc, exec, s[22:23]
	s_cbranch_vccz .LBB31_24
; %bb.7:
	s_waitcnt lgkmcnt(0)
	s_ashr_i32 s49, s48, 31
	s_lshl_b64 s[0:1], s[48:49], 2
	s_add_u32 s0, s4, s0
	s_addc_u32 s1, s5, s1
	s_load_dwordx2 s[2:3], s[0:1], 0x0
	v_subrev_u32_e32 v6, s44, v16
	s_waitcnt lgkmcnt(0)
	s_sub_i32 s30, s3, s44
	v_add_u32_e32 v6, s2, v6
	v_cmp_gt_i32_e32 vcc, s30, v6
	s_and_saveexec_b64 s[0:1], vcc
	s_cbranch_execz .LBB31_23
; %bb.8:
	v_and_b32_e32 v7, 63, v0
	v_subrev_u32_e32 v17, s45, v7
	s_mov_b64 s[2:3], 0
	s_movk_i32 s31, 0x89
	s_branch .LBB31_10
.LBB31_9:                               ;   in Loop: Header=BB31_10 Depth=1
	s_or_b64 exec, exec, s[4:5]
	v_add_u32_e32 v6, 16, v6
	v_cmp_le_i32_e32 vcc, s30, v6
	s_or_b64 s[2:3], vcc, s[2:3]
	s_andn2_b64 exec, exec, s[2:3]
	s_cbranch_execz .LBB31_23
.LBB31_10:                              ; =>This Loop Header: Depth=1
                                        ;     Child Loop BB31_14 Depth 2
                                        ;       Child Loop BB31_17 Depth 3
	v_ashrrev_i32_e32 v7, 31, v6
	v_lshl_add_u64 v[8:9], v[6:7], 2, s[6:7]
	global_load_dword v8, v[8:9], off
	s_waitcnt vmcnt(0)
	v_subrev_u32_e32 v8, s44, v8
	v_ashrrev_i32_e32 v9, 31, v8
	v_lshl_add_u64 v[8:9], v[8:9], 2, s[10:11]
	global_load_dwordx2 v[8:9], v[8:9], off
	s_waitcnt vmcnt(0)
	v_subrev_u32_e32 v18, s45, v9
	v_add_u32_e32 v8, v8, v17
	v_cmp_lt_i32_e32 vcc, v8, v18
	s_and_saveexec_b64 s[4:5], vcc
	s_cbranch_execz .LBB31_9
; %bb.11:                               ;   in Loop: Header=BB31_10 Depth=1
	v_lshl_add_u64 v[10:11], v[6:7], 3, s[8:9]
	global_load_dwordx2 v[10:11], v[10:11], off
	s_mov_b64 s[16:17], 0
	s_waitcnt vmcnt(0)
	v_mul_f64 v[10:11], v[4:5], v[10:11]
	s_branch .LBB31_14
.LBB31_12:                              ;   in Loop: Header=BB31_14 Depth=2
	s_or_b64 exec, exec, s[22:23]
.LBB31_13:                              ;   in Loop: Header=BB31_14 Depth=2
	s_or_b64 exec, exec, s[18:19]
	s_waitcnt vmcnt(0)
	v_mul_f64 v[12:13], v[10:11], v[12:13]
	v_lshl_add_u32 v7, v7, 3, 0
	ds_add_f64 v7, v[12:13] offset:16384
	v_add_u32_e32 v8, 64, v8
	v_cmp_ge_i32_e32 vcc, v8, v18
	s_or_b64 s[16:17], vcc, s[16:17]
	s_andn2_b64 exec, exec, s[16:17]
	s_cbranch_execz .LBB31_9
.LBB31_14:                              ;   Parent Loop BB31_10 Depth=1
                                        ; =>  This Loop Header: Depth=2
                                        ;       Child Loop BB31_17 Depth 3
	v_ashrrev_i32_e32 v9, 31, v8
	v_lshl_add_u64 v[12:13], v[8:9], 2, s[12:13]
	global_load_dword v7, v[12:13], off
	v_lshl_add_u64 v[12:13], v[8:9], 3, s[14:15]
	global_load_dwordx2 v[12:13], v[12:13], off
	s_waitcnt vmcnt(1)
	v_subrev_u32_e32 v9, s45, v7
	v_mul_lo_u32 v7, v9, s31
	v_and_b32_e32 v7, 0xfff, v7
	v_lshl_add_u32 v19, v7, 2, 0
	ds_read_b32 v20, v19
	s_waitcnt lgkmcnt(0)
	v_cmp_ne_u32_e32 vcc, v20, v9
	s_and_saveexec_b64 s[18:19], vcc
	s_cbranch_execz .LBB31_13
; %bb.15:                               ;   in Loop: Header=BB31_14 Depth=2
	s_mov_b64 s[22:23], 0
	s_branch .LBB31_17
.LBB31_16:                              ;   in Loop: Header=BB31_17 Depth=3
	s_or_b64 exec, exec, s[28:29]
	s_and_b64 s[24:25], exec, s[26:27]
	s_or_b64 s[22:23], s[24:25], s[22:23]
	s_andn2_b64 exec, exec, s[22:23]
	s_cbranch_execz .LBB31_12
.LBB31_17:                              ;   Parent Loop BB31_10 Depth=1
                                        ;     Parent Loop BB31_14 Depth=2
                                        ; =>    This Inner Loop Header: Depth=3
	v_cmp_ne_u32_e32 vcc, s33, v20
	s_mov_b64 s[24:25], 0
	s_and_saveexec_b64 s[26:27], vcc
	s_xor_b64 s[26:27], exec, s[26:27]
	s_cbranch_execz .LBB31_19
; %bb.18:                               ;   in Loop: Header=BB31_17 Depth=3
	v_add_u32_e32 v7, 1, v7
	s_mov_b64 s[24:25], exec
	v_and_b32_e32 v7, 0xfff, v7
                                        ; implicit-def: $vgpr19
	s_andn2_saveexec_b64 s[26:27], s[26:27]
	s_cbranch_execz .LBB31_21
	s_branch .LBB31_20
.LBB31_19:                              ;   in Loop: Header=BB31_17 Depth=3
	s_andn2_saveexec_b64 s[26:27], s[26:27]
	s_cbranch_execz .LBB31_21
.LBB31_20:                              ;   in Loop: Header=BB31_17 Depth=3
	v_mov_b32_e32 v20, s33
	ds_cmpst_rtn_b32 v19, v19, v20, v9
	s_andn2_b64 s[24:25], s[24:25], exec
	s_waitcnt lgkmcnt(0)
	v_cmp_ne_u32_e32 vcc, s33, v19
	s_and_b64 s[28:29], vcc, exec
	s_or_b64 s[24:25], s[24:25], s[28:29]
.LBB31_21:                              ;   in Loop: Header=BB31_17 Depth=3
	s_or_b64 exec, exec, s[26:27]
	s_mov_b64 s[26:27], -1
                                        ; implicit-def: $vgpr19
                                        ; implicit-def: $vgpr20
	s_and_saveexec_b64 s[28:29], s[24:25]
	s_cbranch_execz .LBB31_16
; %bb.22:                               ;   in Loop: Header=BB31_17 Depth=3
	v_lshl_add_u32 v19, v7, 2, 0
	ds_read_b32 v20, v19
	s_waitcnt lgkmcnt(0)
	v_cmp_eq_u32_e32 vcc, v20, v9
	s_orn2_b64 s[26:27], vcc, exec
	s_branch .LBB31_16
.LBB31_23:
	s_or_b64 exec, exec, s[0:1]
.LBB31_24:
	s_andn2_b64 vcc, exec, s[20:21]
	s_cbranch_vccnz .LBB31_39
; %bb.25:
	s_waitcnt lgkmcnt(0)
	s_ashr_i32 s49, s48, 31
	s_lshl_b64 s[0:1], s[48:49], 2
	s_add_u32 s0, s36, s0
	s_addc_u32 s1, s37, s1
	s_load_dwordx2 s[2:3], s[0:1], 0x0
	s_waitcnt vmcnt(0)
	v_subrev_u32_e32 v4, s47, v0
	s_waitcnt lgkmcnt(0)
	s_sub_i32 s14, s3, s47
	v_add_u32_e32 v4, s2, v4
	v_cmp_gt_i32_e32 vcc, s14, v4
	s_and_saveexec_b64 s[0:1], vcc
	s_cbranch_execz .LBB31_38
; %bb.26:
	s_mov_b64 s[2:3], 0
	s_movk_i32 s15, 0x89
	s_branch .LBB31_29
.LBB31_27:                              ;   in Loop: Header=BB31_29 Depth=1
	s_or_b64 exec, exec, s[6:7]
.LBB31_28:                              ;   in Loop: Header=BB31_29 Depth=1
	s_or_b64 exec, exec, s[4:5]
	s_waitcnt vmcnt(0)
	v_mul_f64 v[6:7], v[2:3], v[6:7]
	v_lshl_add_u32 v5, v5, 3, 0
	ds_add_f64 v5, v[6:7] offset:16384
	v_add_u32_e32 v4, 0x400, v4
	v_cmp_le_i32_e32 vcc, s14, v4
	s_or_b64 s[2:3], vcc, s[2:3]
	s_andn2_b64 exec, exec, s[2:3]
	s_cbranch_execz .LBB31_38
.LBB31_29:                              ; =>This Loop Header: Depth=1
                                        ;     Child Loop BB31_32 Depth 2
	v_ashrrev_i32_e32 v5, 31, v4
	v_lshl_add_u64 v[6:7], v[4:5], 2, s[38:39]
	global_load_dword v8, v[6:7], off
	v_lshl_add_u64 v[6:7], v[4:5], 3, s[40:41]
	global_load_dwordx2 v[6:7], v[6:7], off
	s_waitcnt vmcnt(1)
	v_subrev_u32_e32 v8, s47, v8
	v_mul_lo_u32 v5, v8, s15
	v_and_b32_e32 v5, 0xfff, v5
	v_lshl_add_u32 v9, v5, 2, 0
	ds_read_b32 v10, v9
	s_waitcnt lgkmcnt(0)
	v_cmp_ne_u32_e32 vcc, v10, v8
	s_and_saveexec_b64 s[4:5], vcc
	s_cbranch_execz .LBB31_28
; %bb.30:                               ;   in Loop: Header=BB31_29 Depth=1
	s_mov_b64 s[6:7], 0
	s_branch .LBB31_32
.LBB31_31:                              ;   in Loop: Header=BB31_32 Depth=2
	s_or_b64 exec, exec, s[12:13]
	s_and_b64 s[8:9], exec, s[10:11]
	s_or_b64 s[6:7], s[8:9], s[6:7]
	s_andn2_b64 exec, exec, s[6:7]
	s_cbranch_execz .LBB31_27
.LBB31_32:                              ;   Parent Loop BB31_29 Depth=1
                                        ; =>  This Inner Loop Header: Depth=2
	v_cmp_ne_u32_e32 vcc, s33, v10
	s_mov_b64 s[8:9], 0
	s_and_saveexec_b64 s[10:11], vcc
	s_xor_b64 s[10:11], exec, s[10:11]
	s_cbranch_execz .LBB31_34
; %bb.33:                               ;   in Loop: Header=BB31_32 Depth=2
	v_add_u32_e32 v5, 1, v5
	s_mov_b64 s[8:9], exec
	v_and_b32_e32 v5, 0xfff, v5
                                        ; implicit-def: $vgpr9
	s_andn2_saveexec_b64 s[10:11], s[10:11]
	s_cbranch_execz .LBB31_36
	s_branch .LBB31_35
.LBB31_34:                              ;   in Loop: Header=BB31_32 Depth=2
	s_andn2_saveexec_b64 s[10:11], s[10:11]
	s_cbranch_execz .LBB31_36
.LBB31_35:                              ;   in Loop: Header=BB31_32 Depth=2
	v_mov_b32_e32 v10, s33
	ds_cmpst_rtn_b32 v9, v9, v10, v8
	s_andn2_b64 s[8:9], s[8:9], exec
	s_waitcnt lgkmcnt(0)
	v_cmp_ne_u32_e32 vcc, s33, v9
	s_and_b64 s[12:13], vcc, exec
	s_or_b64 s[8:9], s[8:9], s[12:13]
.LBB31_36:                              ;   in Loop: Header=BB31_32 Depth=2
	s_or_b64 exec, exec, s[10:11]
	s_mov_b64 s[10:11], -1
                                        ; implicit-def: $vgpr9
                                        ; implicit-def: $vgpr10
	s_and_saveexec_b64 s[12:13], s[8:9]
	s_cbranch_execz .LBB31_31
; %bb.37:                               ;   in Loop: Header=BB31_32 Depth=2
	v_lshl_add_u32 v9, v5, 2, 0
	ds_read_b32 v10, v9
	s_waitcnt lgkmcnt(0)
	v_cmp_eq_u32_e32 vcc, v10, v8
	s_orn2_b64 s[10:11], vcc, exec
	s_branch .LBB31_31
.LBB31_38:
	s_or_b64 exec, exec, s[0:1]
.LBB31_39:
	s_waitcnt vmcnt(0)
	v_mbcnt_lo_u32_b32 v2, -1, 0
	v_mbcnt_hi_u32_b32 v2, -1, v2
	v_sub_u32_e32 v2, 63, v2
	s_movk_i32 s0, 0x3ff
	s_movk_i32 s2, 0x7f
	;; [unrolled: 1-line block ×15, first 2 shown]
	v_mov_b32_e32 v6, 0
	v_lshrrev_b64 v[2:3], v2, -1
	v_lshl_add_u32 v7, v16, 2, 0
	v_cmp_eq_u32_e32 vcc, s0, v0
	v_cmp_lt_u32_e64 s[0:1], 63, v0
	v_cmp_lt_u32_e64 s[2:3], s2, v0
	;; [unrolled: 1-line block ×15, first 2 shown]
	s_mov_b64 s[36:37], 0
	s_movk_i32 s40, 0xbff
	v_mov_b32_e32 v8, 0
	s_waitcnt lgkmcnt(0)
	s_barrier
	s_branch .LBB31_41
.LBB31_40:                              ;   in Loop: Header=BB31_41 Depth=1
	s_or_b64 exec, exec, s[30:31]
	s_waitcnt lgkmcnt(0)
	s_barrier
	ds_read_b32 v4, v6 offset:49212
	v_add_u32_e32 v14, 0x400, v14
	v_cmp_lt_u32_e64 s[30:31], s40, v14
	v_add_u32_e32 v1, 0x2000, v1
	s_or_b64 s[36:37], s[30:31], s[36:37]
	s_waitcnt lgkmcnt(0)
	v_add_u32_e32 v8, v4, v8
	v_add_u32_e32 v15, 0x1000, v15
	s_andn2_b64 exec, exec, s[36:37]
	s_cbranch_execz .LBB31_75
.LBB31_41:                              ; =>This Inner Loop Header: Depth=1
	ds_read_b32 v9, v15
	ds_read_b64 v[4:5], v1
	s_waitcnt lgkmcnt(0)
	s_barrier
	v_cmp_gt_i32_e64 s[30:31], s33, v9
	s_bcnt1_i32_b64 s38, s[30:31]
	s_nop 0
	v_and_b32_e32 v11, s30, v2
	v_and_b32_e32 v10, s31, v3
	v_bcnt_u32_b32 v11, v11, 0
	v_bcnt_u32_b32 v10, v10, v11
	v_mov_b32_e32 v11, s38
	ds_write_b32 v7, v11 offset:49152
	s_waitcnt lgkmcnt(0)
	s_barrier
	s_and_saveexec_b64 s[38:39], s[0:1]
	s_cbranch_execz .LBB31_58
; %bb.42:                               ;   in Loop: Header=BB31_41 Depth=1
	ds_read_b32 v11, v6 offset:49152
	s_waitcnt lgkmcnt(0)
	v_add_u32_e32 v10, v11, v10
	s_or_b64 exec, exec, s[38:39]
	s_and_saveexec_b64 s[38:39], s[2:3]
	s_cbranch_execnz .LBB31_59
.LBB31_43:                              ;   in Loop: Header=BB31_41 Depth=1
	s_or_b64 exec, exec, s[38:39]
	s_and_saveexec_b64 s[38:39], s[4:5]
	s_cbranch_execz .LBB31_60
.LBB31_44:                              ;   in Loop: Header=BB31_41 Depth=1
	ds_read_b32 v11, v6 offset:49160
	s_waitcnt lgkmcnt(0)
	v_add_u32_e32 v10, v11, v10
	s_or_b64 exec, exec, s[38:39]
	s_and_saveexec_b64 s[38:39], s[6:7]
	s_cbranch_execnz .LBB31_61
.LBB31_45:                              ;   in Loop: Header=BB31_41 Depth=1
	s_or_b64 exec, exec, s[38:39]
	s_and_saveexec_b64 s[38:39], s[8:9]
	s_cbranch_execz .LBB31_62
.LBB31_46:                              ;   in Loop: Header=BB31_41 Depth=1
	ds_read_b32 v11, v6 offset:49168
	s_waitcnt lgkmcnt(0)
	v_add_u32_e32 v10, v11, v10
	s_or_b64 exec, exec, s[38:39]
	s_and_saveexec_b64 s[38:39], s[10:11]
	s_cbranch_execnz .LBB31_63
.LBB31_47:                              ;   in Loop: Header=BB31_41 Depth=1
	s_or_b64 exec, exec, s[38:39]
	s_and_saveexec_b64 s[38:39], s[12:13]
	s_cbranch_execz .LBB31_64
.LBB31_48:                              ;   in Loop: Header=BB31_41 Depth=1
	ds_read_b32 v11, v6 offset:49176
	s_waitcnt lgkmcnt(0)
	v_add_u32_e32 v10, v11, v10
	s_or_b64 exec, exec, s[38:39]
	s_and_saveexec_b64 s[38:39], s[14:15]
	s_cbranch_execnz .LBB31_65
.LBB31_49:                              ;   in Loop: Header=BB31_41 Depth=1
	s_or_b64 exec, exec, s[38:39]
	s_and_saveexec_b64 s[38:39], s[16:17]
	s_cbranch_execz .LBB31_66
.LBB31_50:                              ;   in Loop: Header=BB31_41 Depth=1
	ds_read_b32 v11, v6 offset:49184
	s_waitcnt lgkmcnt(0)
	v_add_u32_e32 v10, v11, v10
	s_or_b64 exec, exec, s[38:39]
	s_and_saveexec_b64 s[38:39], s[18:19]
	s_cbranch_execnz .LBB31_67
.LBB31_51:                              ;   in Loop: Header=BB31_41 Depth=1
	s_or_b64 exec, exec, s[38:39]
	s_and_saveexec_b64 s[38:39], s[20:21]
	s_cbranch_execz .LBB31_68
.LBB31_52:                              ;   in Loop: Header=BB31_41 Depth=1
	ds_read_b32 v11, v6 offset:49192
	s_waitcnt lgkmcnt(0)
	v_add_u32_e32 v10, v11, v10
	s_or_b64 exec, exec, s[38:39]
	s_and_saveexec_b64 s[38:39], s[22:23]
	s_cbranch_execnz .LBB31_69
.LBB31_53:                              ;   in Loop: Header=BB31_41 Depth=1
	s_or_b64 exec, exec, s[38:39]
	s_and_saveexec_b64 s[38:39], s[24:25]
	s_cbranch_execz .LBB31_70
.LBB31_54:                              ;   in Loop: Header=BB31_41 Depth=1
	ds_read_b32 v11, v6 offset:49200
	s_waitcnt lgkmcnt(0)
	v_add_u32_e32 v10, v11, v10
	s_or_b64 exec, exec, s[38:39]
	s_and_saveexec_b64 s[38:39], s[26:27]
	s_cbranch_execnz .LBB31_71
.LBB31_55:                              ;   in Loop: Header=BB31_41 Depth=1
	s_or_b64 exec, exec, s[38:39]
	s_and_saveexec_b64 s[38:39], s[28:29]
	s_cbranch_execz .LBB31_72
.LBB31_56:                              ;   in Loop: Header=BB31_41 Depth=1
	ds_read_b32 v11, v6 offset:49208
	s_waitcnt lgkmcnt(0)
	v_add_u32_e32 v10, v11, v10
	s_or_b64 exec, exec, s[38:39]
	s_and_saveexec_b64 s[38:39], s[30:31]
	s_cbranch_execnz .LBB31_73
.LBB31_57:                              ;   in Loop: Header=BB31_41 Depth=1
	s_or_b64 exec, exec, s[38:39]
	s_and_saveexec_b64 s[30:31], vcc
	s_cbranch_execz .LBB31_40
	s_branch .LBB31_74
.LBB31_58:                              ;   in Loop: Header=BB31_41 Depth=1
	s_or_b64 exec, exec, s[38:39]
	s_and_saveexec_b64 s[38:39], s[2:3]
	s_cbranch_execz .LBB31_43
.LBB31_59:                              ;   in Loop: Header=BB31_41 Depth=1
	ds_read_b32 v11, v6 offset:49156
	s_waitcnt lgkmcnt(0)
	v_add_u32_e32 v10, v11, v10
	s_or_b64 exec, exec, s[38:39]
	s_and_saveexec_b64 s[38:39], s[4:5]
	s_cbranch_execnz .LBB31_44
.LBB31_60:                              ;   in Loop: Header=BB31_41 Depth=1
	s_or_b64 exec, exec, s[38:39]
	s_and_saveexec_b64 s[38:39], s[6:7]
	s_cbranch_execz .LBB31_45
.LBB31_61:                              ;   in Loop: Header=BB31_41 Depth=1
	ds_read_b32 v11, v6 offset:49164
	s_waitcnt lgkmcnt(0)
	v_add_u32_e32 v10, v11, v10
	s_or_b64 exec, exec, s[38:39]
	s_and_saveexec_b64 s[38:39], s[8:9]
	s_cbranch_execnz .LBB31_46
.LBB31_62:                              ;   in Loop: Header=BB31_41 Depth=1
	s_or_b64 exec, exec, s[38:39]
	s_and_saveexec_b64 s[38:39], s[10:11]
	s_cbranch_execz .LBB31_47
.LBB31_63:                              ;   in Loop: Header=BB31_41 Depth=1
	ds_read_b32 v11, v6 offset:49172
	s_waitcnt lgkmcnt(0)
	v_add_u32_e32 v10, v11, v10
	s_or_b64 exec, exec, s[38:39]
	s_and_saveexec_b64 s[38:39], s[12:13]
	s_cbranch_execnz .LBB31_48
.LBB31_64:                              ;   in Loop: Header=BB31_41 Depth=1
	s_or_b64 exec, exec, s[38:39]
	s_and_saveexec_b64 s[38:39], s[14:15]
	s_cbranch_execz .LBB31_49
.LBB31_65:                              ;   in Loop: Header=BB31_41 Depth=1
	ds_read_b32 v11, v6 offset:49180
	s_waitcnt lgkmcnt(0)
	v_add_u32_e32 v10, v11, v10
	s_or_b64 exec, exec, s[38:39]
	s_and_saveexec_b64 s[38:39], s[16:17]
	s_cbranch_execnz .LBB31_50
.LBB31_66:                              ;   in Loop: Header=BB31_41 Depth=1
	s_or_b64 exec, exec, s[38:39]
	s_and_saveexec_b64 s[38:39], s[18:19]
	s_cbranch_execz .LBB31_51
.LBB31_67:                              ;   in Loop: Header=BB31_41 Depth=1
	ds_read_b32 v11, v6 offset:49188
	s_waitcnt lgkmcnt(0)
	v_add_u32_e32 v10, v11, v10
	s_or_b64 exec, exec, s[38:39]
	s_and_saveexec_b64 s[38:39], s[20:21]
	s_cbranch_execnz .LBB31_52
.LBB31_68:                              ;   in Loop: Header=BB31_41 Depth=1
	s_or_b64 exec, exec, s[38:39]
	s_and_saveexec_b64 s[38:39], s[22:23]
	s_cbranch_execz .LBB31_53
.LBB31_69:                              ;   in Loop: Header=BB31_41 Depth=1
	ds_read_b32 v11, v6 offset:49196
	s_waitcnt lgkmcnt(0)
	v_add_u32_e32 v10, v11, v10
	s_or_b64 exec, exec, s[38:39]
	s_and_saveexec_b64 s[38:39], s[24:25]
	s_cbranch_execnz .LBB31_54
.LBB31_70:                              ;   in Loop: Header=BB31_41 Depth=1
	s_or_b64 exec, exec, s[38:39]
	s_and_saveexec_b64 s[38:39], s[26:27]
	s_cbranch_execz .LBB31_55
.LBB31_71:                              ;   in Loop: Header=BB31_41 Depth=1
	ds_read_b32 v11, v6 offset:49204
	s_waitcnt lgkmcnt(0)
	v_add_u32_e32 v10, v11, v10
	s_or_b64 exec, exec, s[38:39]
	s_and_saveexec_b64 s[38:39], s[28:29]
	s_cbranch_execnz .LBB31_56
.LBB31_72:                              ;   in Loop: Header=BB31_41 Depth=1
	s_or_b64 exec, exec, s[38:39]
	s_and_saveexec_b64 s[38:39], s[30:31]
	s_cbranch_execz .LBB31_57
.LBB31_73:                              ;   in Loop: Header=BB31_41 Depth=1
	v_add3_u32 v11, v8, -1, v10
	v_lshl_add_u32 v11, v11, 2, 0
	v_add_u32_e32 v12, v8, v10
	v_lshl_add_u32 v12, v12, 3, 0
	ds_write_b32 v11, v9
	ds_write_b64 v12, v[4:5] offset:16376
	s_or_b64 exec, exec, s[38:39]
	s_and_saveexec_b64 s[30:31], vcc
	s_cbranch_execz .LBB31_40
.LBB31_74:                              ;   in Loop: Header=BB31_41 Depth=1
	ds_write_b32 v6, v10 offset:49212
	s_branch .LBB31_40
.LBB31_75:
	s_or_b64 exec, exec, s[36:37]
	s_ashr_i32 s49, s48, 31
	s_lshl_b64 s[0:1], s[48:49], 2
	s_add_u32 s2, s42, s0
	s_addc_u32 s3, s43, s1
	s_load_dwordx2 s[0:1], s[2:3], 0x0
	s_waitcnt lgkmcnt(0)
	s_sub_i32 s14, s1, s0
	v_cmp_gt_i32_e32 vcc, s14, v0
	s_and_saveexec_b64 s[2:3], vcc
	s_cbranch_execz .LBB31_89
; %bb.76:
	s_sub_i32 s8, s0, s46
	v_sub_co_u32_e64 v1, s[0:1], s14, 2
	s_nop 0
	v_readfirstlane_b32 s2, v1
	s_lshr_b32 s2, s2, 1
	s_add_i32 s2, s2, 1
	s_xor_b64 s[0:1], s[0:1], -1
	s_and_b32 s15, s14, -2
	s_and_b32 s3, s2, 7
	s_and_b32 s16, s2, -8
	s_cmp_lg_u32 s3, 0
	v_cmp_lt_u32_e32 vcc, 13, v1
	s_cselect_b64 s[4:5], -1, 0
	s_cmp_lg_u32 s14, s15
	v_cndmask_b32_e64 v1, 0, 1, vcc
	s_cselect_b64 s[10:11], -1, 0
	s_lshl_b32 s17, s3, 3
	v_cndmask_b32_e64 v2, 0, 1, s[0:1]
	v_cmp_ne_u32_e64 s[2:3], 1, v1
	v_cndmask_b32_e64 v1, 0, 1, s[4:5]
	s_mov_b32 s9, 0
	s_mov_b64 s[12:13], 0
	v_cmp_ne_u32_e64 s[0:1], 1, v2
	v_cmp_ne_u32_e64 s[4:5], 1, v1
	s_branch .LBB31_78
.LBB31_77:                              ;   in Loop: Header=BB31_78 Depth=1
	v_add_u32_e32 v0, 0x400, v0
	v_ashrrev_i32_e32 v5, 31, v4
	v_cmp_le_i32_e32 vcc, s14, v0
	v_lshl_add_u64 v[4:5], v[4:5], 3, s[34:35]
	s_or_b64 s[12:13], vcc, s[12:13]
	s_waitcnt lgkmcnt(0)
	global_store_dwordx2 v[4:5], v[2:3], off
	s_andn2_b64 exec, exec, s[12:13]
	s_cbranch_execz .LBB31_89
.LBB31_78:                              ; =>This Loop Header: Depth=1
                                        ;     Child Loop BB31_81 Depth 2
                                        ;     Child Loop BB31_84 Depth 2
	;; [unrolled: 1-line block ×3, first 2 shown]
	v_lshlrev_b32_e32 v1, 2, v0
	v_add_u32_e32 v2, 0, v1
	v_add_u32_e32 v3, v2, v1
	ds_read_b32 v1, v2
	ds_read_b64 v[2:3], v3 offset:16384
	s_and_b64 vcc, exec, s[0:1]
	v_mov_b32_e32 v4, s8
	s_mov_b32 s18, 0
	s_mov_b64 s[6:7], -1
	s_cbranch_vccnz .LBB31_86
; %bb.79:                               ;   in Loop: Header=BB31_78 Depth=1
	s_and_b64 vcc, exec, s[2:3]
	v_mov_b64_e32 v[4:5], s[8:9]
	s_cbranch_vccnz .LBB31_82
; %bb.80:                               ;   in Loop: Header=BB31_78 Depth=1
	s_mov_b32 s19, 0
	v_mov_b32_e32 v4, s8
	v_mov_b32_e32 v5, 0
	s_mov_b32 s20, s16
.LBB31_81:                              ;   Parent Loop BB31_78 Depth=1
                                        ; =>  This Inner Loop Header: Depth=2
	v_mov_b32_e32 v20, s19
	ds_read2_b32 v[6:7], v20 offset1:1
	ds_read2_b32 v[8:9], v20 offset0:2 offset1:3
	ds_read2_b32 v[10:11], v20 offset0:4 offset1:5
	;; [unrolled: 1-line block ×7, first 2 shown]
	s_waitcnt lgkmcnt(7)
	v_cmp_gt_i32_e32 vcc, v1, v7
	s_waitcnt lgkmcnt(5)
	v_cmp_gt_i32_e64 s[6:7], v1, v10
	s_add_i32 s18, s18, 16
	v_cndmask_b32_e64 v7, 0, 1, vcc
	v_cmp_gt_i32_e32 vcc, v1, v6
	s_add_i32 s19, s19, 64
	s_add_i32 s20, s20, -8
	v_cndmask_b32_e64 v6, 0, 1, vcc
	v_cmp_gt_i32_e32 vcc, v1, v9
	v_cndmask_b32_e64 v9, 0, 1, s[6:7]
	v_cmp_gt_i32_e64 s[6:7], v1, v11
	v_addc_co_u32_e32 v5, vcc, v5, v7, vcc
	s_nop 0
	v_cndmask_b32_e64 v10, 0, 1, s[6:7]
	s_waitcnt lgkmcnt(3)
	v_cmp_gt_i32_e64 s[6:7], v1, v15
	v_cmp_gt_i32_e32 vcc, v1, v12
	s_cmp_lg_u32 s20, 0
	v_cndmask_b32_e64 v11, 0, 1, s[6:7]
	v_cmp_gt_i32_e64 s[6:7], v1, v14
	s_nop 1
	v_cndmask_b32_e64 v14, 0, 1, s[6:7]
	s_waitcnt lgkmcnt(1)
	v_cmp_gt_i32_e64 s[6:7], v1, v18
	s_nop 1
	v_cndmask_b32_e64 v15, 0, 1, s[6:7]
	v_cmp_gt_i32_e64 s[6:7], v1, v19
	s_nop 1
	v_cndmask_b32_e64 v18, 0, 1, s[6:7]
	v_cmp_gt_i32_e64 s[6:7], v1, v8
	s_nop 1
	v_addc_co_u32_e64 v4, s[6:7], v4, v6, s[6:7]
	v_cmp_gt_i32_e64 s[6:7], v1, v13
	v_addc_co_u32_e32 v4, vcc, v4, v9, vcc
	s_nop 0
	v_addc_co_u32_e64 v5, s[6:7], v5, v10, s[6:7]
	v_cmp_gt_i32_e32 vcc, v1, v17
	v_cmp_gt_i32_e64 s[6:7], v1, v16
	s_nop 0
	v_addc_co_u32_e32 v5, vcc, v5, v11, vcc
	v_addc_co_u32_e64 v4, s[6:7], v4, v14, s[6:7]
	s_waitcnt lgkmcnt(0)
	v_cmp_gt_i32_e32 vcc, v1, v20
	v_cmp_gt_i32_e64 s[6:7], v1, v21
	s_nop 0
	v_addc_co_u32_e32 v4, vcc, v4, v15, vcc
	v_addc_co_u32_e64 v5, s[6:7], v5, v18, s[6:7]
	s_cbranch_scc1 .LBB31_81
.LBB31_82:                              ;   in Loop: Header=BB31_78 Depth=1
	s_and_b64 vcc, exec, s[4:5]
	s_cbranch_vccnz .LBB31_85
; %bb.83:                               ;   in Loop: Header=BB31_78 Depth=1
	s_lshl_b32 s6, s18, 2
	s_add_i32 s6, s6, 0
	s_mov_b32 s7, s17
.LBB31_84:                              ;   Parent Loop BB31_78 Depth=1
                                        ; =>  This Inner Loop Header: Depth=2
	v_mov_b32_e32 v6, s6
	ds_read2_b32 v[6:7], v6 offset1:1
	s_add_i32 s6, s6, 8
	s_add_i32 s7, s7, -8
	s_cmp_lg_u32 s7, 0
	s_waitcnt lgkmcnt(0)
	v_cmp_gt_i32_e32 vcc, v1, v7
	s_nop 1
	v_addc_co_u32_e32 v5, vcc, 0, v5, vcc
	v_cmp_gt_i32_e32 vcc, v1, v6
	s_nop 1
	v_addc_co_u32_e32 v4, vcc, 0, v4, vcc
	s_cbranch_scc1 .LBB31_84
.LBB31_85:                              ;   in Loop: Header=BB31_78 Depth=1
	v_add_u32_e32 v4, v4, v5
	s_mov_b32 s18, s15
	s_mov_b64 s[6:7], s[10:11]
.LBB31_86:                              ;   in Loop: Header=BB31_78 Depth=1
	s_and_b64 vcc, exec, s[6:7]
	s_cbranch_vccz .LBB31_77
; %bb.87:                               ;   in Loop: Header=BB31_78 Depth=1
	s_lshl_b32 s6, s18, 2
	s_add_i32 s6, s6, 0
.LBB31_88:                              ;   Parent Loop BB31_78 Depth=1
                                        ; =>  This Inner Loop Header: Depth=2
	v_mov_b32_e32 v5, s6
	ds_read_b32 v5, v5
	s_add_i32 s18, s18, 1
	s_add_i32 s6, s6, 4
	s_cmp_ge_i32 s18, s14
	s_waitcnt lgkmcnt(0)
	v_cmp_gt_i32_e32 vcc, v1, v5
	s_nop 1
	v_addc_co_u32_e32 v4, vcc, 0, v4, vcc
	s_cbranch_scc0 .LBB31_88
	s_branch .LBB31_77
.LBB31_89:
	s_endpgm
	.section	.rodata,"a",@progbits
	.p2align	6, 0x0
	.amdhsa_kernel _ZN9rocsparseL41csrgemm_numeric_fill_block_per_row_kernelILj1024ELj64ELj4096ELj137ELj64EiidEEvT5_PKS1_S3_NS_24const_host_device_scalarIT6_EEPKT4_S3_PKS5_S9_S3_SB_S6_S9_S3_SB_S9_S3_PS5_21rocsparse_index_base_SD_SD_SD_bbb
		.amdhsa_group_segment_fixed_size 0
		.amdhsa_private_segment_fixed_size 0
		.amdhsa_kernarg_size 156
		.amdhsa_user_sgpr_count 2
		.amdhsa_user_sgpr_dispatch_ptr 0
		.amdhsa_user_sgpr_queue_ptr 0
		.amdhsa_user_sgpr_kernarg_segment_ptr 1
		.amdhsa_user_sgpr_dispatch_id 0
		.amdhsa_user_sgpr_kernarg_preload_length 0
		.amdhsa_user_sgpr_kernarg_preload_offset 0
		.amdhsa_user_sgpr_private_segment_size 0
		.amdhsa_uses_dynamic_stack 0
		.amdhsa_enable_private_segment 0
		.amdhsa_system_sgpr_workgroup_id_x 1
		.amdhsa_system_sgpr_workgroup_id_y 0
		.amdhsa_system_sgpr_workgroup_id_z 0
		.amdhsa_system_sgpr_workgroup_info 0
		.amdhsa_system_vgpr_workitem_id 0
		.amdhsa_next_free_vgpr 22
		.amdhsa_next_free_sgpr 50
		.amdhsa_accum_offset 24
		.amdhsa_reserve_vcc 1
		.amdhsa_float_round_mode_32 0
		.amdhsa_float_round_mode_16_64 0
		.amdhsa_float_denorm_mode_32 3
		.amdhsa_float_denorm_mode_16_64 3
		.amdhsa_dx10_clamp 1
		.amdhsa_ieee_mode 1
		.amdhsa_fp16_overflow 0
		.amdhsa_tg_split 0
		.amdhsa_exception_fp_ieee_invalid_op 0
		.amdhsa_exception_fp_denorm_src 0
		.amdhsa_exception_fp_ieee_div_zero 0
		.amdhsa_exception_fp_ieee_overflow 0
		.amdhsa_exception_fp_ieee_underflow 0
		.amdhsa_exception_fp_ieee_inexact 0
		.amdhsa_exception_int_div_zero 0
	.end_amdhsa_kernel
	.section	.text._ZN9rocsparseL41csrgemm_numeric_fill_block_per_row_kernelILj1024ELj64ELj4096ELj137ELj64EiidEEvT5_PKS1_S3_NS_24const_host_device_scalarIT6_EEPKT4_S3_PKS5_S9_S3_SB_S6_S9_S3_SB_S9_S3_PS5_21rocsparse_index_base_SD_SD_SD_bbb,"axG",@progbits,_ZN9rocsparseL41csrgemm_numeric_fill_block_per_row_kernelILj1024ELj64ELj4096ELj137ELj64EiidEEvT5_PKS1_S3_NS_24const_host_device_scalarIT6_EEPKT4_S3_PKS5_S9_S3_SB_S6_S9_S3_SB_S9_S3_PS5_21rocsparse_index_base_SD_SD_SD_bbb,comdat
.Lfunc_end31:
	.size	_ZN9rocsparseL41csrgemm_numeric_fill_block_per_row_kernelILj1024ELj64ELj4096ELj137ELj64EiidEEvT5_PKS1_S3_NS_24const_host_device_scalarIT6_EEPKT4_S3_PKS5_S9_S3_SB_S6_S9_S3_SB_S9_S3_PS5_21rocsparse_index_base_SD_SD_SD_bbb, .Lfunc_end31-_ZN9rocsparseL41csrgemm_numeric_fill_block_per_row_kernelILj1024ELj64ELj4096ELj137ELj64EiidEEvT5_PKS1_S3_NS_24const_host_device_scalarIT6_EEPKT4_S3_PKS5_S9_S3_SB_S6_S9_S3_SB_S9_S3_PS5_21rocsparse_index_base_SD_SD_SD_bbb
                                        ; -- End function
	.set _ZN9rocsparseL41csrgemm_numeric_fill_block_per_row_kernelILj1024ELj64ELj4096ELj137ELj64EiidEEvT5_PKS1_S3_NS_24const_host_device_scalarIT6_EEPKT4_S3_PKS5_S9_S3_SB_S6_S9_S3_SB_S9_S3_PS5_21rocsparse_index_base_SD_SD_SD_bbb.num_vgpr, 22
	.set _ZN9rocsparseL41csrgemm_numeric_fill_block_per_row_kernelILj1024ELj64ELj4096ELj137ELj64EiidEEvT5_PKS1_S3_NS_24const_host_device_scalarIT6_EEPKT4_S3_PKS5_S9_S3_SB_S6_S9_S3_SB_S9_S3_PS5_21rocsparse_index_base_SD_SD_SD_bbb.num_agpr, 0
	.set _ZN9rocsparseL41csrgemm_numeric_fill_block_per_row_kernelILj1024ELj64ELj4096ELj137ELj64EiidEEvT5_PKS1_S3_NS_24const_host_device_scalarIT6_EEPKT4_S3_PKS5_S9_S3_SB_S6_S9_S3_SB_S9_S3_PS5_21rocsparse_index_base_SD_SD_SD_bbb.numbered_sgpr, 50
	.set _ZN9rocsparseL41csrgemm_numeric_fill_block_per_row_kernelILj1024ELj64ELj4096ELj137ELj64EiidEEvT5_PKS1_S3_NS_24const_host_device_scalarIT6_EEPKT4_S3_PKS5_S9_S3_SB_S6_S9_S3_SB_S9_S3_PS5_21rocsparse_index_base_SD_SD_SD_bbb.num_named_barrier, 0
	.set _ZN9rocsparseL41csrgemm_numeric_fill_block_per_row_kernelILj1024ELj64ELj4096ELj137ELj64EiidEEvT5_PKS1_S3_NS_24const_host_device_scalarIT6_EEPKT4_S3_PKS5_S9_S3_SB_S6_S9_S3_SB_S9_S3_PS5_21rocsparse_index_base_SD_SD_SD_bbb.private_seg_size, 0
	.set _ZN9rocsparseL41csrgemm_numeric_fill_block_per_row_kernelILj1024ELj64ELj4096ELj137ELj64EiidEEvT5_PKS1_S3_NS_24const_host_device_scalarIT6_EEPKT4_S3_PKS5_S9_S3_SB_S6_S9_S3_SB_S9_S3_PS5_21rocsparse_index_base_SD_SD_SD_bbb.uses_vcc, 1
	.set _ZN9rocsparseL41csrgemm_numeric_fill_block_per_row_kernelILj1024ELj64ELj4096ELj137ELj64EiidEEvT5_PKS1_S3_NS_24const_host_device_scalarIT6_EEPKT4_S3_PKS5_S9_S3_SB_S6_S9_S3_SB_S9_S3_PS5_21rocsparse_index_base_SD_SD_SD_bbb.uses_flat_scratch, 0
	.set _ZN9rocsparseL41csrgemm_numeric_fill_block_per_row_kernelILj1024ELj64ELj4096ELj137ELj64EiidEEvT5_PKS1_S3_NS_24const_host_device_scalarIT6_EEPKT4_S3_PKS5_S9_S3_SB_S6_S9_S3_SB_S9_S3_PS5_21rocsparse_index_base_SD_SD_SD_bbb.has_dyn_sized_stack, 0
	.set _ZN9rocsparseL41csrgemm_numeric_fill_block_per_row_kernelILj1024ELj64ELj4096ELj137ELj64EiidEEvT5_PKS1_S3_NS_24const_host_device_scalarIT6_EEPKT4_S3_PKS5_S9_S3_SB_S6_S9_S3_SB_S9_S3_PS5_21rocsparse_index_base_SD_SD_SD_bbb.has_recursion, 0
	.set _ZN9rocsparseL41csrgemm_numeric_fill_block_per_row_kernelILj1024ELj64ELj4096ELj137ELj64EiidEEvT5_PKS1_S3_NS_24const_host_device_scalarIT6_EEPKT4_S3_PKS5_S9_S3_SB_S6_S9_S3_SB_S9_S3_PS5_21rocsparse_index_base_SD_SD_SD_bbb.has_indirect_call, 0
	.section	.AMDGPU.csdata,"",@progbits
; Kernel info:
; codeLenInByte = 3220
; TotalNumSgprs: 56
; NumVgprs: 22
; NumAgprs: 0
; TotalNumVgprs: 22
; ScratchSize: 0
; MemoryBound: 0
; FloatMode: 240
; IeeeMode: 1
; LDSByteSize: 0 bytes/workgroup (compile time only)
; SGPRBlocks: 6
; VGPRBlocks: 2
; NumSGPRsForWavesPerEU: 56
; NumVGPRsForWavesPerEU: 22
; AccumOffset: 24
; Occupancy: 8
; WaveLimiterHint : 1
; COMPUTE_PGM_RSRC2:SCRATCH_EN: 0
; COMPUTE_PGM_RSRC2:USER_SGPR: 2
; COMPUTE_PGM_RSRC2:TRAP_HANDLER: 0
; COMPUTE_PGM_RSRC2:TGID_X_EN: 1
; COMPUTE_PGM_RSRC2:TGID_Y_EN: 0
; COMPUTE_PGM_RSRC2:TGID_Z_EN: 0
; COMPUTE_PGM_RSRC2:TIDIG_COMP_CNT: 0
; COMPUTE_PGM_RSRC3_GFX90A:ACCUM_OFFSET: 5
; COMPUTE_PGM_RSRC3_GFX90A:TG_SPLIT: 0
	.section	.text._ZN9rocsparseL41csrgemm_numeric_fill_block_per_row_kernelILj1024ELj64ELj8192ELj137ELj32EiidEEvT5_PKS1_S3_NS_24const_host_device_scalarIT6_EEPKT4_S3_PKS5_S9_S3_SB_S6_S9_S3_SB_S9_S3_PS5_21rocsparse_index_base_SD_SD_SD_bbb,"axG",@progbits,_ZN9rocsparseL41csrgemm_numeric_fill_block_per_row_kernelILj1024ELj64ELj8192ELj137ELj32EiidEEvT5_PKS1_S3_NS_24const_host_device_scalarIT6_EEPKT4_S3_PKS5_S9_S3_SB_S6_S9_S3_SB_S9_S3_PS5_21rocsparse_index_base_SD_SD_SD_bbb,comdat
	.globl	_ZN9rocsparseL41csrgemm_numeric_fill_block_per_row_kernelILj1024ELj64ELj8192ELj137ELj32EiidEEvT5_PKS1_S3_NS_24const_host_device_scalarIT6_EEPKT4_S3_PKS5_S9_S3_SB_S6_S9_S3_SB_S9_S3_PS5_21rocsparse_index_base_SD_SD_SD_bbb ; -- Begin function _ZN9rocsparseL41csrgemm_numeric_fill_block_per_row_kernelILj1024ELj64ELj8192ELj137ELj32EiidEEvT5_PKS1_S3_NS_24const_host_device_scalarIT6_EEPKT4_S3_PKS5_S9_S3_SB_S6_S9_S3_SB_S9_S3_PS5_21rocsparse_index_base_SD_SD_SD_bbb
	.p2align	8
	.type	_ZN9rocsparseL41csrgemm_numeric_fill_block_per_row_kernelILj1024ELj64ELj8192ELj137ELj32EiidEEvT5_PKS1_S3_NS_24const_host_device_scalarIT6_EEPKT4_S3_PKS5_S9_S3_SB_S6_S9_S3_SB_S9_S3_PS5_21rocsparse_index_base_SD_SD_SD_bbb,@function
_ZN9rocsparseL41csrgemm_numeric_fill_block_per_row_kernelILj1024ELj64ELj8192ELj137ELj32EiidEEvT5_PKS1_S3_NS_24const_host_device_scalarIT6_EEPKT4_S3_PKS5_S9_S3_SB_S6_S9_S3_SB_S9_S3_PS5_21rocsparse_index_base_SD_SD_SD_bbb: ; @_ZN9rocsparseL41csrgemm_numeric_fill_block_per_row_kernelILj1024ELj64ELj8192ELj137ELj32EiidEEvT5_PKS1_S3_NS_24const_host_device_scalarIT6_EEPKT4_S3_PKS5_S9_S3_SB_S6_S9_S3_SB_S9_S3_PS5_21rocsparse_index_base_SD_SD_SD_bbb
; %bb.0:
	s_load_dword s3, s[0:1], 0x98
	s_load_dwordx4 s[4:7], s[0:1], 0x8
	s_load_dwordx2 s[12:13], s[0:1], 0x18
	s_load_dwordx4 s[64:67], s[0:1], 0x88
	s_load_dwordx2 s[10:11], s[0:1], 0x50
	s_waitcnt lgkmcnt(0)
	s_bitcmp1_b32 s3, 0
	s_cselect_b64 s[8:9], -1, 0
	s_bitcmp1_b32 s3, 16
	s_cselect_b64 s[14:15], -1, 0
	s_xor_b64 s[16:17], s[8:9], -1
	s_or_b64 s[16:17], s[14:15], s[16:17]
	s_and_b64 s[18:19], s[8:9], exec
	s_cselect_b32 s19, s13, 0
	s_cselect_b32 s18, s12, 0
	s_and_b64 vcc, exec, s[16:17]
	v_mov_b64_e32 v[4:5], s[18:19]
	s_cbranch_vccnz .LBB32_2
; %bb.1:
	v_mov_b64_e32 v[2:3], s[12:13]
	flat_load_dwordx2 v[4:5], v[2:3]
.LBB32_2:
	s_bitcmp1_b32 s3, 8
	s_cselect_b64 s[12:13], -1, 0
	s_xor_b64 s[16:17], s[12:13], -1
	s_or_b64 s[14:15], s[14:15], s[16:17]
	s_and_b64 s[16:17], s[12:13], exec
	s_cselect_b32 s17, s11, 0
	s_cselect_b32 s16, s10, 0
	s_and_b64 vcc, exec, s[14:15]
	v_mov_b64_e32 v[2:3], s[16:17]
	s_cbranch_vccnz .LBB32_4
; %bb.3:
	v_mov_b64_e32 v[2:3], s[10:11]
	flat_load_dwordx2 v[2:3], v[2:3]
.LBB32_4:
	s_load_dword s33, s[0:1], 0x0
	v_lshlrev_b32_e32 v6, 2, v0
	s_mov_b32 s10, 0
	v_add_u32_e32 v1, 0, v6
	v_add_u32_e32 v8, v1, v6
	s_waitcnt lgkmcnt(0)
	v_mov_b32_e32 v9, s33
	s_mov_b32 s11, s10
	v_mov_b32_e32 v10, s33
	v_mov_b64_e32 v[6:7], s[10:11]
	ds_write2st64_b32 v1, v9, v10 offset1:16
	ds_write2st64_b64 v8, v[6:7], v[6:7] offset0:64 offset1:80
	ds_write2st64_b32 v1, v9, v10 offset0:32 offset1:48
	ds_write2st64_b64 v8, v[6:7], v[6:7] offset0:96 offset1:112
	v_mov_b32_e32 v8, s33
	s_add_i32 s3, 0, 0x8000
	v_lshl_add_u32 v9, v0, 3, s3
	ds_write2st64_b32 v1, v8, v10 offset0:64 offset1:80
	ds_write2st64_b64 v9, v[6:7], v[6:7] offset0:64 offset1:80
	ds_write2st64_b32 v1, v8, v10 offset0:96 offset1:112
	ds_write2st64_b64 v9, v[6:7], v[6:7] offset0:96 offset1:112
	s_waitcnt lgkmcnt(0)
	s_barrier
	s_load_dword s3, s[4:5], 0x0
                                        ; implicit-def: $vgpr22 : SGPR spill to VGPR lane
	s_waitcnt lgkmcnt(0)
	s_add_i32 s2, s3, s2
	s_mov_b32 s3, s10
	s_lshl_b64 s[2:3], s[2:3], 2
	s_add_u32 s2, s6, s2
	s_addc_u32 s3, s7, s3
	s_load_dword s2, s[2:3], 0x0
	s_andn2_b64 vcc, exec, s[8:9]
	s_waitcnt lgkmcnt(0)
	v_writelane_b32 v22, s2, 0
	s_nop 1
	v_writelane_b32 v22, s3, 1
	s_cbranch_vccnz .LBB32_22
; %bb.5:
	s_load_dwordx2 s[2:3], s[0:1], 0x20
	v_readlane_b32 s4, v22, 0
	v_readlane_b32 s5, v22, 1
	s_mov_b32 s6, s4
	s_ashr_i32 s7, s4, 31
	v_writelane_b32 v22, s4, 0
	v_lshrrev_b32_e32 v6, 6, v0
	v_subrev_u32_e32 v6, s64, v6
	v_writelane_b32 v22, s5, 1
	s_lshl_b64 s[4:5], s[6:7], 2
	s_waitcnt lgkmcnt(0)
	s_add_u32 s2, s2, s4
	s_addc_u32 s3, s3, s5
	s_load_dwordx2 s[4:5], s[2:3], 0x0
	s_waitcnt lgkmcnt(0)
	s_sub_i32 s34, s5, s64
	v_add_u32_e32 v6, s4, v6
	v_cmp_gt_i32_e32 vcc, s34, v6
	s_and_saveexec_b64 s[2:3], vcc
	s_cbranch_execz .LBB32_21
; %bb.6:
	s_load_dwordx2 s[14:15], s[0:1], 0x48
	s_load_dwordx8 s[4:11], s[0:1], 0x28
	v_and_b32_e32 v7, 63, v0
	v_subrev_u32_e32 v14, s65, v7
	s_mov_b64 s[16:17], 0
	s_movk_i32 s35, 0x89
	s_branch .LBB32_8
.LBB32_7:                               ;   in Loop: Header=BB32_8 Depth=1
	s_or_b64 exec, exec, s[18:19]
	v_add_u32_e32 v6, 16, v6
	v_cmp_le_i32_e32 vcc, s34, v6
	s_or_b64 s[16:17], vcc, s[16:17]
	s_andn2_b64 exec, exec, s[16:17]
	s_cbranch_execz .LBB32_21
.LBB32_8:                               ; =>This Loop Header: Depth=1
                                        ;     Child Loop BB32_12 Depth 2
                                        ;       Child Loop BB32_15 Depth 3
	v_ashrrev_i32_e32 v7, 31, v6
	s_waitcnt lgkmcnt(0)
	v_lshl_add_u64 v[8:9], v[6:7], 2, s[4:5]
	global_load_dword v8, v[8:9], off
	s_waitcnt vmcnt(0)
	v_subrev_u32_e32 v8, s64, v8
	v_ashrrev_i32_e32 v9, 31, v8
	v_lshl_add_u64 v[8:9], v[8:9], 2, s[8:9]
	global_load_dwordx2 v[8:9], v[8:9], off
	s_waitcnt vmcnt(0)
	v_subrev_u32_e32 v15, s65, v9
	v_add_u32_e32 v8, v8, v14
	v_cmp_lt_i32_e32 vcc, v8, v15
	s_and_saveexec_b64 s[18:19], vcc
	s_cbranch_execz .LBB32_7
; %bb.9:                                ;   in Loop: Header=BB32_8 Depth=1
	v_lshl_add_u64 v[10:11], v[6:7], 3, s[6:7]
	global_load_dwordx2 v[10:11], v[10:11], off
	s_mov_b64 s[20:21], 0
	s_waitcnt vmcnt(0)
	v_mul_f64 v[10:11], v[4:5], v[10:11]
	s_branch .LBB32_12
.LBB32_10:                              ;   in Loop: Header=BB32_12 Depth=2
	s_or_b64 exec, exec, s[24:25]
.LBB32_11:                              ;   in Loop: Header=BB32_12 Depth=2
	s_or_b64 exec, exec, s[22:23]
	s_waitcnt vmcnt(0)
	v_mul_f64 v[12:13], v[10:11], v[12:13]
	v_lshl_add_u32 v7, v7, 3, 0
	ds_add_f64 v7, v[12:13] offset:32768
	v_add_u32_e32 v8, 64, v8
	v_cmp_ge_i32_e32 vcc, v8, v15
	s_or_b64 s[20:21], vcc, s[20:21]
	s_andn2_b64 exec, exec, s[20:21]
	s_cbranch_execz .LBB32_7
.LBB32_12:                              ;   Parent Loop BB32_8 Depth=1
                                        ; =>  This Loop Header: Depth=2
                                        ;       Child Loop BB32_15 Depth 3
	v_ashrrev_i32_e32 v9, 31, v8
	v_lshl_add_u64 v[12:13], v[8:9], 2, s[10:11]
	global_load_dword v7, v[12:13], off
	v_lshl_add_u64 v[12:13], v[8:9], 3, s[14:15]
	global_load_dwordx2 v[12:13], v[12:13], off
	s_waitcnt vmcnt(1)
	v_subrev_u32_e32 v9, s65, v7
	v_mul_lo_u32 v7, v9, s35
	v_and_b32_e32 v7, 0x1fff, v7
	v_lshl_add_u32 v16, v7, 2, 0
	ds_read_b32 v17, v16
	s_waitcnt lgkmcnt(0)
	v_cmp_ne_u32_e32 vcc, v17, v9
	s_and_saveexec_b64 s[22:23], vcc
	s_cbranch_execz .LBB32_11
; %bb.13:                               ;   in Loop: Header=BB32_12 Depth=2
	s_mov_b64 s[24:25], 0
	s_branch .LBB32_15
.LBB32_14:                              ;   in Loop: Header=BB32_15 Depth=3
	s_or_b64 exec, exec, s[30:31]
	s_and_b64 s[26:27], exec, s[28:29]
	s_or_b64 s[24:25], s[26:27], s[24:25]
	s_andn2_b64 exec, exec, s[24:25]
	s_cbranch_execz .LBB32_10
.LBB32_15:                              ;   Parent Loop BB32_8 Depth=1
                                        ;     Parent Loop BB32_12 Depth=2
                                        ; =>    This Inner Loop Header: Depth=3
	v_cmp_ne_u32_e32 vcc, s33, v17
	s_mov_b64 s[26:27], 0
	s_and_saveexec_b64 s[28:29], vcc
	s_xor_b64 s[28:29], exec, s[28:29]
	s_cbranch_execz .LBB32_17
; %bb.16:                               ;   in Loop: Header=BB32_15 Depth=3
	v_add_u32_e32 v7, 1, v7
	s_mov_b64 s[26:27], exec
	v_and_b32_e32 v7, 0x1fff, v7
                                        ; implicit-def: $vgpr16
	s_andn2_saveexec_b64 s[28:29], s[28:29]
	s_cbranch_execz .LBB32_19
	s_branch .LBB32_18
.LBB32_17:                              ;   in Loop: Header=BB32_15 Depth=3
	s_andn2_saveexec_b64 s[28:29], s[28:29]
	s_cbranch_execz .LBB32_19
.LBB32_18:                              ;   in Loop: Header=BB32_15 Depth=3
	v_mov_b32_e32 v17, s33
	ds_cmpst_rtn_b32 v16, v16, v17, v9
	s_andn2_b64 s[26:27], s[26:27], exec
	s_waitcnt lgkmcnt(0)
	v_cmp_ne_u32_e32 vcc, s33, v16
	s_and_b64 s[30:31], vcc, exec
	s_or_b64 s[26:27], s[26:27], s[30:31]
.LBB32_19:                              ;   in Loop: Header=BB32_15 Depth=3
	s_or_b64 exec, exec, s[28:29]
	s_mov_b64 s[28:29], -1
                                        ; implicit-def: $vgpr16
                                        ; implicit-def: $vgpr17
	s_and_saveexec_b64 s[30:31], s[26:27]
	s_cbranch_execz .LBB32_14
; %bb.20:                               ;   in Loop: Header=BB32_15 Depth=3
	v_lshl_add_u32 v16, v7, 2, 0
	ds_read_b32 v17, v16
	s_waitcnt lgkmcnt(0)
	v_cmp_eq_u32_e32 vcc, v17, v9
	s_orn2_b64 s[28:29], vcc, exec
	s_branch .LBB32_14
.LBB32_21:
	s_or_b64 exec, exec, s[2:3]
.LBB32_22:
	s_load_dwordx2 s[20:21], s[0:1], 0x80
	s_load_dwordx2 s[2:3], s[0:1], 0x70
	s_andn2_b64 vcc, exec, s[12:13]
	s_waitcnt lgkmcnt(0)
	v_writelane_b32 v22, s2, 2
	s_nop 1
	v_writelane_b32 v22, s3, 3
	s_cbranch_vccnz .LBB32_37
; %bb.23:
	s_load_dwordx2 s[2:3], s[0:1], 0x58
	v_readlane_b32 s4, v22, 0
	v_readlane_b32 s5, v22, 1
	s_mov_b32 s6, s4
	s_ashr_i32 s7, s4, 31
	v_writelane_b32 v22, s4, 0
	s_waitcnt vmcnt(0)
	v_subrev_u32_e32 v4, s67, v0
	v_writelane_b32 v22, s5, 1
	s_lshl_b64 s[4:5], s[6:7], 2
	s_waitcnt lgkmcnt(0)
	s_add_u32 s2, s2, s4
	s_addc_u32 s3, s3, s5
	s_load_dwordx2 s[4:5], s[2:3], 0x0
	s_waitcnt lgkmcnt(0)
	s_sub_i32 s18, s5, s67
	v_add_u32_e32 v4, s4, v4
	v_cmp_gt_i32_e32 vcc, s18, v4
	s_and_saveexec_b64 s[2:3], vcc
	s_cbranch_execz .LBB32_36
; %bb.24:
	s_load_dwordx4 s[4:7], s[0:1], 0x60
	s_mov_b64 s[0:1], 0
	s_movk_i32 s19, 0x89
	s_branch .LBB32_27
.LBB32_25:                              ;   in Loop: Header=BB32_27 Depth=1
	s_or_b64 exec, exec, s[10:11]
.LBB32_26:                              ;   in Loop: Header=BB32_27 Depth=1
	s_or_b64 exec, exec, s[8:9]
	s_waitcnt vmcnt(0)
	v_mul_f64 v[6:7], v[2:3], v[6:7]
	v_lshl_add_u32 v5, v5, 3, 0
	ds_add_f64 v5, v[6:7] offset:32768
	v_add_u32_e32 v4, 0x400, v4
	v_cmp_le_i32_e32 vcc, s18, v4
	s_or_b64 s[0:1], vcc, s[0:1]
	s_andn2_b64 exec, exec, s[0:1]
	s_cbranch_execz .LBB32_36
.LBB32_27:                              ; =>This Loop Header: Depth=1
                                        ;     Child Loop BB32_30 Depth 2
	v_ashrrev_i32_e32 v5, 31, v4
	s_waitcnt lgkmcnt(0)
	v_lshl_add_u64 v[6:7], v[4:5], 2, s[4:5]
	global_load_dword v8, v[6:7], off
	v_lshl_add_u64 v[6:7], v[4:5], 3, s[6:7]
	global_load_dwordx2 v[6:7], v[6:7], off
	s_waitcnt vmcnt(1)
	v_subrev_u32_e32 v8, s67, v8
	v_mul_lo_u32 v5, v8, s19
	v_and_b32_e32 v5, 0x1fff, v5
	v_lshl_add_u32 v9, v5, 2, 0
	ds_read_b32 v10, v9
	s_waitcnt lgkmcnt(0)
	v_cmp_ne_u32_e32 vcc, v10, v8
	s_and_saveexec_b64 s[8:9], vcc
	s_cbranch_execz .LBB32_26
; %bb.28:                               ;   in Loop: Header=BB32_27 Depth=1
	s_mov_b64 s[10:11], 0
	s_branch .LBB32_30
.LBB32_29:                              ;   in Loop: Header=BB32_30 Depth=2
	s_or_b64 exec, exec, s[16:17]
	s_and_b64 s[12:13], exec, s[14:15]
	s_or_b64 s[10:11], s[12:13], s[10:11]
	s_andn2_b64 exec, exec, s[10:11]
	s_cbranch_execz .LBB32_25
.LBB32_30:                              ;   Parent Loop BB32_27 Depth=1
                                        ; =>  This Inner Loop Header: Depth=2
	v_cmp_ne_u32_e32 vcc, s33, v10
	s_mov_b64 s[12:13], 0
	s_and_saveexec_b64 s[14:15], vcc
	s_xor_b64 s[14:15], exec, s[14:15]
	s_cbranch_execz .LBB32_32
; %bb.31:                               ;   in Loop: Header=BB32_30 Depth=2
	v_add_u32_e32 v5, 1, v5
	s_mov_b64 s[12:13], exec
	v_and_b32_e32 v5, 0x1fff, v5
                                        ; implicit-def: $vgpr9
	s_andn2_saveexec_b64 s[14:15], s[14:15]
	s_cbranch_execz .LBB32_34
	s_branch .LBB32_33
.LBB32_32:                              ;   in Loop: Header=BB32_30 Depth=2
	s_andn2_saveexec_b64 s[14:15], s[14:15]
	s_cbranch_execz .LBB32_34
.LBB32_33:                              ;   in Loop: Header=BB32_30 Depth=2
	v_mov_b32_e32 v10, s33
	ds_cmpst_rtn_b32 v9, v9, v10, v8
	s_andn2_b64 s[12:13], s[12:13], exec
	s_waitcnt lgkmcnt(0)
	v_cmp_ne_u32_e32 vcc, s33, v9
	s_and_b64 s[16:17], vcc, exec
	s_or_b64 s[12:13], s[12:13], s[16:17]
.LBB32_34:                              ;   in Loop: Header=BB32_30 Depth=2
	s_or_b64 exec, exec, s[14:15]
	s_mov_b64 s[14:15], -1
                                        ; implicit-def: $vgpr9
                                        ; implicit-def: $vgpr10
	s_and_saveexec_b64 s[16:17], s[12:13]
	s_cbranch_execz .LBB32_29
; %bb.35:                               ;   in Loop: Header=BB32_30 Depth=2
	v_lshl_add_u32 v9, v5, 2, 0
	ds_read_b32 v10, v9
	s_waitcnt lgkmcnt(0)
	v_cmp_eq_u32_e32 vcc, v10, v8
	s_orn2_b64 s[14:15], vcc, exec
	s_branch .LBB32_29
.LBB32_36:
	s_or_b64 exec, exec, s[2:3]
.LBB32_37:
	v_writelane_b32 v22, s20, 4
	s_add_i32 s0, 0, 0x18000
	s_waitcnt vmcnt(0)
	v_lshrrev_b32_e32 v4, 3, v0
	v_writelane_b32 v22, s21, 5
	v_writelane_b32 v22, s0, 6
	s_add_i32 s60, 0, 0x18004
	v_mbcnt_lo_u32_b32 v2, -1, 0
	v_and_b32_e32 v4, 0x7c, v4
	v_writelane_b32 v22, s60, 7
	s_add_i32 s60, 0, 0x18008
	v_mbcnt_hi_u32_b32 v2, -1, v2
	v_add_u32_e32 v6, s0, v4
	s_movk_i32 s0, 0x3ff
	v_writelane_b32 v22, s60, 8
	s_add_i32 s60, 0, 0x1800c
	v_sub_u32_e32 v2, 63, v2
	v_cmp_eq_u32_e32 vcc, s0, v0
	s_movk_i32 s0, 0x5f
	s_movk_i32 s2, 0x7f
	;; [unrolled: 1-line block ×29, first 2 shown]
	v_lshl_add_u32 v4, v0, 3, 0
	v_writelane_b32 v22, s60, 9
	s_add_i32 s60, 0, 0x18014
	v_lshrrev_b64 v[2:3], v2, -1
	v_cmp_lt_u32_e64 s[0:1], s0, v0
	v_cmp_lt_u32_e64 s[2:3], s2, v0
	;; [unrolled: 1-line block ×29, first 2 shown]
	v_add_u32_e32 v7, 0x8000, v4
	v_or_b32_e32 v8, 0xfffffc00, v0
	v_mov_b32_e32 v9, 0
	s_add_i32 s79, 0, 0x18010
	v_writelane_b32 v22, s60, 10
	s_add_i32 s82, 0, 0x18018
	s_add_i32 s83, 0, 0x1801c
	;; [unrolled: 1-line block ×26, first 2 shown]
	v_cmp_lt_u32_e64 s[60:61], 31, v0
	v_cmp_lt_u32_e64 s[62:63], 63, v0
	s_mov_b64 s[74:75], 0
	s_waitcnt lgkmcnt(0)
	s_barrier
	s_branch .LBB32_39
.LBB32_38:                              ;   in Loop: Header=BB32_39 Depth=1
	s_or_b64 exec, exec, s[64:65]
	v_mov_b32_e32 v4, s78
	s_waitcnt lgkmcnt(0)
	s_barrier
	ds_read_b32 v4, v4
	v_add_u32_e32 v8, 0x400, v8
	s_movk_i32 s64, 0x1bff
	v_cmp_lt_u32_e64 s[64:65], s64, v8
	v_add_u32_e32 v7, 0x2000, v7
	s_waitcnt lgkmcnt(0)
	v_add_u32_e32 v9, v4, v9
	s_or_b64 s[74:75], s[64:65], s[74:75]
	v_add_u32_e32 v1, 0x1000, v1
	s_andn2_b64 exec, exec, s[74:75]
	s_cbranch_execz .LBB32_105
.LBB32_39:                              ; =>This Inner Loop Header: Depth=1
	ds_read_b32 v10, v1
	ds_read_b64 v[4:5], v7
	s_waitcnt lgkmcnt(0)
	s_barrier
	v_cmp_gt_i32_e64 s[64:65], s33, v10
	s_bcnt1_i32_b64 s76, s[64:65]
	s_nop 0
	v_and_b32_e32 v12, s64, v2
	v_and_b32_e32 v11, s65, v3
	v_bcnt_u32_b32 v12, v12, 0
	v_bcnt_u32_b32 v11, v11, v12
	v_mov_b32_e32 v12, s76
	ds_write_b32 v6, v12
	s_waitcnt lgkmcnt(0)
	s_barrier
	s_and_saveexec_b64 s[76:77], s[60:61]
	s_cbranch_execz .LBB32_72
; %bb.40:                               ;   in Loop: Header=BB32_39 Depth=1
	v_readlane_b32 s80, v22, 6
	s_nop 1
	v_mov_b32_e32 v12, s80
	ds_read_b32 v12, v12
	s_waitcnt lgkmcnt(0)
	v_add_u32_e32 v11, v12, v11
	s_or_b64 exec, exec, s[76:77]
	s_and_saveexec_b64 s[76:77], s[62:63]
	s_cbranch_execnz .LBB32_73
.LBB32_41:                              ;   in Loop: Header=BB32_39 Depth=1
	s_or_b64 exec, exec, s[76:77]
	s_and_saveexec_b64 s[76:77], s[0:1]
	s_cbranch_execz .LBB32_74
.LBB32_42:                              ;   in Loop: Header=BB32_39 Depth=1
	v_readlane_b32 s80, v22, 8
	s_nop 1
	v_mov_b32_e32 v12, s80
	ds_read_b32 v12, v12
	s_waitcnt lgkmcnt(0)
	v_add_u32_e32 v11, v12, v11
	s_or_b64 exec, exec, s[76:77]
	s_and_saveexec_b64 s[76:77], s[2:3]
	s_cbranch_execnz .LBB32_75
.LBB32_43:                              ;   in Loop: Header=BB32_39 Depth=1
	s_or_b64 exec, exec, s[76:77]
	s_and_saveexec_b64 s[76:77], s[4:5]
	s_cbranch_execz .LBB32_76
.LBB32_44:                              ;   in Loop: Header=BB32_39 Depth=1
	v_mov_b32_e32 v12, s79
	ds_read_b32 v12, v12
	s_waitcnt lgkmcnt(0)
	v_add_u32_e32 v11, v12, v11
	s_or_b64 exec, exec, s[76:77]
	s_and_saveexec_b64 s[76:77], s[6:7]
	s_cbranch_execnz .LBB32_77
.LBB32_45:                              ;   in Loop: Header=BB32_39 Depth=1
	s_or_b64 exec, exec, s[76:77]
	s_and_saveexec_b64 s[76:77], s[8:9]
	s_cbranch_execz .LBB32_78
.LBB32_46:                              ;   in Loop: Header=BB32_39 Depth=1
	v_mov_b32_e32 v12, s82
	ds_read_b32 v12, v12
	s_waitcnt lgkmcnt(0)
	v_add_u32_e32 v11, v12, v11
	s_or_b64 exec, exec, s[76:77]
	s_and_saveexec_b64 s[76:77], s[10:11]
	s_cbranch_execnz .LBB32_79
.LBB32_47:                              ;   in Loop: Header=BB32_39 Depth=1
	s_or_b64 exec, exec, s[76:77]
	s_and_saveexec_b64 s[76:77], s[12:13]
	s_cbranch_execz .LBB32_80
.LBB32_48:                              ;   in Loop: Header=BB32_39 Depth=1
	v_mov_b32_e32 v12, s84
	ds_read_b32 v12, v12
	s_waitcnt lgkmcnt(0)
	v_add_u32_e32 v11, v12, v11
	s_or_b64 exec, exec, s[76:77]
	s_and_saveexec_b64 s[76:77], s[14:15]
	s_cbranch_execnz .LBB32_81
.LBB32_49:                              ;   in Loop: Header=BB32_39 Depth=1
	s_or_b64 exec, exec, s[76:77]
	s_and_saveexec_b64 s[76:77], s[16:17]
	s_cbranch_execz .LBB32_82
.LBB32_50:                              ;   in Loop: Header=BB32_39 Depth=1
	v_mov_b32_e32 v12, s86
	ds_read_b32 v12, v12
	s_waitcnt lgkmcnt(0)
	v_add_u32_e32 v11, v12, v11
	s_or_b64 exec, exec, s[76:77]
	s_and_saveexec_b64 s[76:77], s[18:19]
	s_cbranch_execnz .LBB32_83
.LBB32_51:                              ;   in Loop: Header=BB32_39 Depth=1
	s_or_b64 exec, exec, s[76:77]
	s_and_saveexec_b64 s[76:77], s[20:21]
	s_cbranch_execz .LBB32_84
.LBB32_52:                              ;   in Loop: Header=BB32_39 Depth=1
	v_mov_b32_e32 v12, s88
	ds_read_b32 v12, v12
	s_waitcnt lgkmcnt(0)
	v_add_u32_e32 v11, v12, v11
	s_or_b64 exec, exec, s[76:77]
	s_and_saveexec_b64 s[76:77], s[22:23]
	s_cbranch_execnz .LBB32_85
.LBB32_53:                              ;   in Loop: Header=BB32_39 Depth=1
	s_or_b64 exec, exec, s[76:77]
	s_and_saveexec_b64 s[76:77], s[24:25]
	s_cbranch_execz .LBB32_86
.LBB32_54:                              ;   in Loop: Header=BB32_39 Depth=1
	v_mov_b32_e32 v12, s90
	ds_read_b32 v12, v12
	s_waitcnt lgkmcnt(0)
	v_add_u32_e32 v11, v12, v11
	s_or_b64 exec, exec, s[76:77]
	s_and_saveexec_b64 s[76:77], s[26:27]
	s_cbranch_execnz .LBB32_87
.LBB32_55:                              ;   in Loop: Header=BB32_39 Depth=1
	s_or_b64 exec, exec, s[76:77]
	s_and_saveexec_b64 s[76:77], s[28:29]
	s_cbranch_execz .LBB32_88
.LBB32_56:                              ;   in Loop: Header=BB32_39 Depth=1
	v_mov_b32_e32 v12, s92
	ds_read_b32 v12, v12
	s_waitcnt lgkmcnt(0)
	v_add_u32_e32 v11, v12, v11
	s_or_b64 exec, exec, s[76:77]
	s_and_saveexec_b64 s[76:77], s[30:31]
	s_cbranch_execnz .LBB32_89
.LBB32_57:                              ;   in Loop: Header=BB32_39 Depth=1
	s_or_b64 exec, exec, s[76:77]
	s_and_saveexec_b64 s[76:77], s[34:35]
	s_cbranch_execz .LBB32_90
.LBB32_58:                              ;   in Loop: Header=BB32_39 Depth=1
	v_mov_b32_e32 v12, s94
	ds_read_b32 v12, v12
	s_waitcnt lgkmcnt(0)
	v_add_u32_e32 v11, v12, v11
	s_or_b64 exec, exec, s[76:77]
	s_and_saveexec_b64 s[76:77], s[36:37]
	s_cbranch_execnz .LBB32_91
.LBB32_59:                              ;   in Loop: Header=BB32_39 Depth=1
	s_or_b64 exec, exec, s[76:77]
	s_and_saveexec_b64 s[76:77], s[38:39]
	s_cbranch_execz .LBB32_92
.LBB32_60:                              ;   in Loop: Header=BB32_39 Depth=1
	v_mov_b32_e32 v12, s96
	ds_read_b32 v12, v12
	s_waitcnt lgkmcnt(0)
	v_add_u32_e32 v11, v12, v11
	s_or_b64 exec, exec, s[76:77]
	s_and_saveexec_b64 s[76:77], s[40:41]
	s_cbranch_execnz .LBB32_93
.LBB32_61:                              ;   in Loop: Header=BB32_39 Depth=1
	s_or_b64 exec, exec, s[76:77]
	s_and_saveexec_b64 s[76:77], s[42:43]
	s_cbranch_execz .LBB32_94
.LBB32_62:                              ;   in Loop: Header=BB32_39 Depth=1
	v_mov_b32_e32 v12, s98
	ds_read_b32 v12, v12
	s_waitcnt lgkmcnt(0)
	v_add_u32_e32 v11, v12, v11
	s_or_b64 exec, exec, s[76:77]
	s_and_saveexec_b64 s[76:77], s[44:45]
	s_cbranch_execnz .LBB32_95
.LBB32_63:                              ;   in Loop: Header=BB32_39 Depth=1
	s_or_b64 exec, exec, s[76:77]
	s_and_saveexec_b64 s[76:77], s[46:47]
	s_cbranch_execz .LBB32_96
.LBB32_64:                              ;   in Loop: Header=BB32_39 Depth=1
	v_mov_b32_e32 v12, s72
	ds_read_b32 v12, v12
	s_waitcnt lgkmcnt(0)
	v_add_u32_e32 v11, v12, v11
	s_or_b64 exec, exec, s[76:77]
	s_and_saveexec_b64 s[76:77], s[48:49]
	s_cbranch_execnz .LBB32_97
.LBB32_65:                              ;   in Loop: Header=BB32_39 Depth=1
	s_or_b64 exec, exec, s[76:77]
	s_and_saveexec_b64 s[76:77], s[50:51]
	s_cbranch_execz .LBB32_98
.LBB32_66:                              ;   in Loop: Header=BB32_39 Depth=1
	v_mov_b32_e32 v12, s70
	ds_read_b32 v12, v12
	s_waitcnt lgkmcnt(0)
	v_add_u32_e32 v11, v12, v11
	s_or_b64 exec, exec, s[76:77]
	s_and_saveexec_b64 s[76:77], s[52:53]
	s_cbranch_execnz .LBB32_99
.LBB32_67:                              ;   in Loop: Header=BB32_39 Depth=1
	s_or_b64 exec, exec, s[76:77]
	s_and_saveexec_b64 s[76:77], s[54:55]
	s_cbranch_execz .LBB32_100
.LBB32_68:                              ;   in Loop: Header=BB32_39 Depth=1
	v_mov_b32_e32 v12, s69
	ds_read_b32 v12, v12
	s_waitcnt lgkmcnt(0)
	v_add_u32_e32 v11, v12, v11
	s_or_b64 exec, exec, s[76:77]
	s_and_saveexec_b64 s[76:77], s[56:57]
	s_cbranch_execnz .LBB32_101
.LBB32_69:                              ;   in Loop: Header=BB32_39 Depth=1
	s_or_b64 exec, exec, s[76:77]
	s_and_saveexec_b64 s[76:77], s[58:59]
	s_cbranch_execz .LBB32_102
.LBB32_70:                              ;   in Loop: Header=BB32_39 Depth=1
	v_mov_b32_e32 v12, s71
	ds_read_b32 v12, v12
	s_waitcnt lgkmcnt(0)
	v_add_u32_e32 v11, v12, v11
	s_or_b64 exec, exec, s[76:77]
	s_and_saveexec_b64 s[76:77], s[64:65]
	s_cbranch_execnz .LBB32_103
.LBB32_71:                              ;   in Loop: Header=BB32_39 Depth=1
	s_or_b64 exec, exec, s[76:77]
	s_and_saveexec_b64 s[64:65], vcc
	s_cbranch_execz .LBB32_38
	s_branch .LBB32_104
.LBB32_72:                              ;   in Loop: Header=BB32_39 Depth=1
	s_or_b64 exec, exec, s[76:77]
	s_and_saveexec_b64 s[76:77], s[62:63]
	s_cbranch_execz .LBB32_41
.LBB32_73:                              ;   in Loop: Header=BB32_39 Depth=1
	v_readlane_b32 s80, v22, 7
	s_nop 1
	v_mov_b32_e32 v12, s80
	ds_read_b32 v12, v12
	s_waitcnt lgkmcnt(0)
	v_add_u32_e32 v11, v12, v11
	s_or_b64 exec, exec, s[76:77]
	s_and_saveexec_b64 s[76:77], s[0:1]
	s_cbranch_execnz .LBB32_42
.LBB32_74:                              ;   in Loop: Header=BB32_39 Depth=1
	s_or_b64 exec, exec, s[76:77]
	s_and_saveexec_b64 s[76:77], s[2:3]
	s_cbranch_execz .LBB32_43
.LBB32_75:                              ;   in Loop: Header=BB32_39 Depth=1
	v_readlane_b32 s80, v22, 9
	s_nop 1
	v_mov_b32_e32 v12, s80
	ds_read_b32 v12, v12
	s_waitcnt lgkmcnt(0)
	v_add_u32_e32 v11, v12, v11
	s_or_b64 exec, exec, s[76:77]
	s_and_saveexec_b64 s[76:77], s[4:5]
	s_cbranch_execnz .LBB32_44
.LBB32_76:                              ;   in Loop: Header=BB32_39 Depth=1
	s_or_b64 exec, exec, s[76:77]
	s_and_saveexec_b64 s[76:77], s[6:7]
	s_cbranch_execz .LBB32_45
.LBB32_77:                              ;   in Loop: Header=BB32_39 Depth=1
	v_readlane_b32 s80, v22, 10
	s_nop 1
	v_mov_b32_e32 v12, s80
	ds_read_b32 v12, v12
	s_waitcnt lgkmcnt(0)
	v_add_u32_e32 v11, v12, v11
	s_or_b64 exec, exec, s[76:77]
	s_and_saveexec_b64 s[76:77], s[8:9]
	s_cbranch_execnz .LBB32_46
.LBB32_78:                              ;   in Loop: Header=BB32_39 Depth=1
	s_or_b64 exec, exec, s[76:77]
	s_and_saveexec_b64 s[76:77], s[10:11]
	s_cbranch_execz .LBB32_47
.LBB32_79:                              ;   in Loop: Header=BB32_39 Depth=1
	v_mov_b32_e32 v12, s83
	ds_read_b32 v12, v12
	s_waitcnt lgkmcnt(0)
	v_add_u32_e32 v11, v12, v11
	s_or_b64 exec, exec, s[76:77]
	s_and_saveexec_b64 s[76:77], s[12:13]
	s_cbranch_execnz .LBB32_48
.LBB32_80:                              ;   in Loop: Header=BB32_39 Depth=1
	s_or_b64 exec, exec, s[76:77]
	s_and_saveexec_b64 s[76:77], s[14:15]
	s_cbranch_execz .LBB32_49
.LBB32_81:                              ;   in Loop: Header=BB32_39 Depth=1
	v_mov_b32_e32 v12, s85
	ds_read_b32 v12, v12
	s_waitcnt lgkmcnt(0)
	v_add_u32_e32 v11, v12, v11
	s_or_b64 exec, exec, s[76:77]
	s_and_saveexec_b64 s[76:77], s[16:17]
	s_cbranch_execnz .LBB32_50
.LBB32_82:                              ;   in Loop: Header=BB32_39 Depth=1
	s_or_b64 exec, exec, s[76:77]
	s_and_saveexec_b64 s[76:77], s[18:19]
	s_cbranch_execz .LBB32_51
.LBB32_83:                              ;   in Loop: Header=BB32_39 Depth=1
	v_mov_b32_e32 v12, s87
	ds_read_b32 v12, v12
	s_waitcnt lgkmcnt(0)
	v_add_u32_e32 v11, v12, v11
	s_or_b64 exec, exec, s[76:77]
	s_and_saveexec_b64 s[76:77], s[20:21]
	s_cbranch_execnz .LBB32_52
.LBB32_84:                              ;   in Loop: Header=BB32_39 Depth=1
	s_or_b64 exec, exec, s[76:77]
	s_and_saveexec_b64 s[76:77], s[22:23]
	s_cbranch_execz .LBB32_53
.LBB32_85:                              ;   in Loop: Header=BB32_39 Depth=1
	v_mov_b32_e32 v12, s89
	ds_read_b32 v12, v12
	s_waitcnt lgkmcnt(0)
	v_add_u32_e32 v11, v12, v11
	s_or_b64 exec, exec, s[76:77]
	s_and_saveexec_b64 s[76:77], s[24:25]
	s_cbranch_execnz .LBB32_54
.LBB32_86:                              ;   in Loop: Header=BB32_39 Depth=1
	s_or_b64 exec, exec, s[76:77]
	s_and_saveexec_b64 s[76:77], s[26:27]
	s_cbranch_execz .LBB32_55
.LBB32_87:                              ;   in Loop: Header=BB32_39 Depth=1
	v_mov_b32_e32 v12, s91
	ds_read_b32 v12, v12
	s_waitcnt lgkmcnt(0)
	v_add_u32_e32 v11, v12, v11
	s_or_b64 exec, exec, s[76:77]
	s_and_saveexec_b64 s[76:77], s[28:29]
	s_cbranch_execnz .LBB32_56
.LBB32_88:                              ;   in Loop: Header=BB32_39 Depth=1
	s_or_b64 exec, exec, s[76:77]
	s_and_saveexec_b64 s[76:77], s[30:31]
	s_cbranch_execz .LBB32_57
.LBB32_89:                              ;   in Loop: Header=BB32_39 Depth=1
	v_mov_b32_e32 v12, s93
	ds_read_b32 v12, v12
	s_waitcnt lgkmcnt(0)
	v_add_u32_e32 v11, v12, v11
	s_or_b64 exec, exec, s[76:77]
	s_and_saveexec_b64 s[76:77], s[34:35]
	s_cbranch_execnz .LBB32_58
.LBB32_90:                              ;   in Loop: Header=BB32_39 Depth=1
	s_or_b64 exec, exec, s[76:77]
	s_and_saveexec_b64 s[76:77], s[36:37]
	s_cbranch_execz .LBB32_59
.LBB32_91:                              ;   in Loop: Header=BB32_39 Depth=1
	v_mov_b32_e32 v12, s95
	ds_read_b32 v12, v12
	s_waitcnt lgkmcnt(0)
	v_add_u32_e32 v11, v12, v11
	s_or_b64 exec, exec, s[76:77]
	s_and_saveexec_b64 s[76:77], s[38:39]
	s_cbranch_execnz .LBB32_60
.LBB32_92:                              ;   in Loop: Header=BB32_39 Depth=1
	s_or_b64 exec, exec, s[76:77]
	s_and_saveexec_b64 s[76:77], s[40:41]
	s_cbranch_execz .LBB32_61
.LBB32_93:                              ;   in Loop: Header=BB32_39 Depth=1
	v_mov_b32_e32 v12, s97
	ds_read_b32 v12, v12
	s_waitcnt lgkmcnt(0)
	v_add_u32_e32 v11, v12, v11
	s_or_b64 exec, exec, s[76:77]
	s_and_saveexec_b64 s[76:77], s[42:43]
	s_cbranch_execnz .LBB32_62
.LBB32_94:                              ;   in Loop: Header=BB32_39 Depth=1
	s_or_b64 exec, exec, s[76:77]
	s_and_saveexec_b64 s[76:77], s[44:45]
	s_cbranch_execz .LBB32_63
.LBB32_95:                              ;   in Loop: Header=BB32_39 Depth=1
	v_mov_b32_e32 v12, s99
	ds_read_b32 v12, v12
	s_waitcnt lgkmcnt(0)
	v_add_u32_e32 v11, v12, v11
	s_or_b64 exec, exec, s[76:77]
	s_and_saveexec_b64 s[76:77], s[46:47]
	s_cbranch_execnz .LBB32_64
.LBB32_96:                              ;   in Loop: Header=BB32_39 Depth=1
	s_or_b64 exec, exec, s[76:77]
	s_and_saveexec_b64 s[76:77], s[48:49]
	s_cbranch_execz .LBB32_65
.LBB32_97:                              ;   in Loop: Header=BB32_39 Depth=1
	v_mov_b32_e32 v12, s73
	ds_read_b32 v12, v12
	s_waitcnt lgkmcnt(0)
	v_add_u32_e32 v11, v12, v11
	s_or_b64 exec, exec, s[76:77]
	s_and_saveexec_b64 s[76:77], s[50:51]
	s_cbranch_execnz .LBB32_66
.LBB32_98:                              ;   in Loop: Header=BB32_39 Depth=1
	s_or_b64 exec, exec, s[76:77]
	s_and_saveexec_b64 s[76:77], s[52:53]
	s_cbranch_execz .LBB32_67
.LBB32_99:                              ;   in Loop: Header=BB32_39 Depth=1
	v_mov_b32_e32 v12, s68
	ds_read_b32 v12, v12
	s_waitcnt lgkmcnt(0)
	v_add_u32_e32 v11, v12, v11
	s_or_b64 exec, exec, s[76:77]
	s_and_saveexec_b64 s[76:77], s[54:55]
	s_cbranch_execnz .LBB32_68
.LBB32_100:                             ;   in Loop: Header=BB32_39 Depth=1
	s_or_b64 exec, exec, s[76:77]
	s_and_saveexec_b64 s[76:77], s[56:57]
	s_cbranch_execz .LBB32_69
.LBB32_101:                             ;   in Loop: Header=BB32_39 Depth=1
	v_mov_b32_e32 v12, s67
	ds_read_b32 v12, v12
	s_waitcnt lgkmcnt(0)
	v_add_u32_e32 v11, v12, v11
	s_or_b64 exec, exec, s[76:77]
	s_and_saveexec_b64 s[76:77], s[58:59]
	s_cbranch_execnz .LBB32_70
.LBB32_102:                             ;   in Loop: Header=BB32_39 Depth=1
	s_or_b64 exec, exec, s[76:77]
	s_and_saveexec_b64 s[76:77], s[64:65]
	s_cbranch_execz .LBB32_71
.LBB32_103:                             ;   in Loop: Header=BB32_39 Depth=1
	v_add3_u32 v12, v9, -1, v11
	v_lshl_add_u32 v12, v12, 2, 0
	v_add_u32_e32 v13, v9, v11
	v_lshl_add_u32 v13, v13, 3, 0
	ds_write_b32 v12, v10
	ds_write_b64 v13, v[4:5] offset:32760
	s_or_b64 exec, exec, s[76:77]
	s_and_saveexec_b64 s[64:65], vcc
	s_cbranch_execz .LBB32_38
.LBB32_104:                             ;   in Loop: Header=BB32_39 Depth=1
	v_mov_b32_e32 v4, s78
	ds_write_b32 v4, v11
	s_branch .LBB32_38
.LBB32_105:
	s_or_b64 exec, exec, s[74:75]
	v_readlane_b32 s0, v22, 0
	v_readlane_b32 s1, v22, 1
	s_ashr_i32 s1, s0, 31
	s_lshl_b64 s[0:1], s[0:1], 2
	v_readlane_b32 s2, v22, 2
	v_readlane_b32 s3, v22, 3
	s_add_u32 s2, s2, s0
	s_addc_u32 s3, s3, s1
	s_load_dwordx2 s[0:1], s[2:3], 0x0
	s_waitcnt lgkmcnt(0)
	s_sub_i32 s14, s1, s0
	v_cmp_gt_i32_e32 vcc, s14, v0
	s_and_saveexec_b64 s[2:3], vcc
	v_readlane_b32 s22, v22, 4
	v_readlane_b32 s23, v22, 5
	s_cbranch_execz .LBB32_119
; %bb.106:
	s_sub_i32 s8, s0, s66
	v_sub_co_u32_e64 v1, s[0:1], s14, 2
	s_nop 0
	v_readfirstlane_b32 s2, v1
	s_lshr_b32 s2, s2, 1
	s_add_i32 s2, s2, 1
	s_xor_b64 s[0:1], s[0:1], -1
	s_and_b32 s15, s14, -2
	s_and_b32 s3, s2, 7
	s_and_b32 s16, s2, -8
	s_cmp_lg_u32 s3, 0
	v_cmp_lt_u32_e32 vcc, 13, v1
	s_cselect_b64 s[4:5], -1, 0
	s_cmp_lg_u32 s14, s15
	v_cndmask_b32_e64 v1, 0, 1, vcc
	s_cselect_b64 s[10:11], -1, 0
	s_lshl_b32 s17, s3, 3
	v_cndmask_b32_e64 v2, 0, 1, s[0:1]
	v_cmp_ne_u32_e64 s[2:3], 1, v1
	v_cndmask_b32_e64 v1, 0, 1, s[4:5]
	s_mov_b32 s9, 0
	s_mov_b64 s[12:13], 0
	v_cmp_ne_u32_e64 s[0:1], 1, v2
	v_cmp_ne_u32_e64 s[4:5], 1, v1
	s_branch .LBB32_108
.LBB32_107:                             ;   in Loop: Header=BB32_108 Depth=1
	v_add_u32_e32 v0, 0x400, v0
	v_ashrrev_i32_e32 v5, 31, v4
	v_cmp_le_i32_e32 vcc, s14, v0
	v_lshl_add_u64 v[4:5], v[4:5], 3, s[22:23]
	s_or_b64 s[12:13], vcc, s[12:13]
	s_waitcnt lgkmcnt(0)
	global_store_dwordx2 v[4:5], v[2:3], off
	s_andn2_b64 exec, exec, s[12:13]
	s_cbranch_execz .LBB32_119
.LBB32_108:                             ; =>This Loop Header: Depth=1
                                        ;     Child Loop BB32_111 Depth 2
                                        ;     Child Loop BB32_114 Depth 2
                                        ;     Child Loop BB32_118 Depth 2
	v_lshlrev_b32_e32 v1, 2, v0
	v_add_u32_e32 v2, 0, v1
	v_add_u32_e32 v3, v2, v1
	ds_read_b32 v1, v2
	ds_read_b64 v[2:3], v3 offset:32768
	s_and_b64 vcc, exec, s[0:1]
	v_mov_b32_e32 v4, s8
	s_mov_b32 s18, 0
	s_mov_b64 s[6:7], -1
	s_cbranch_vccnz .LBB32_116
; %bb.109:                              ;   in Loop: Header=BB32_108 Depth=1
	s_and_b64 vcc, exec, s[2:3]
	v_mov_b64_e32 v[4:5], s[8:9]
	s_cbranch_vccnz .LBB32_112
; %bb.110:                              ;   in Loop: Header=BB32_108 Depth=1
	s_mov_b32 s19, 0
	v_mov_b32_e32 v4, s8
	v_mov_b32_e32 v5, 0
	s_mov_b32 s20, s16
.LBB32_111:                             ;   Parent Loop BB32_108 Depth=1
                                        ; =>  This Inner Loop Header: Depth=2
	v_mov_b32_e32 v20, s19
	ds_read2_b32 v[6:7], v20 offset1:1
	ds_read2_b32 v[8:9], v20 offset0:2 offset1:3
	ds_read2_b32 v[10:11], v20 offset0:4 offset1:5
	;; [unrolled: 1-line block ×7, first 2 shown]
	s_waitcnt lgkmcnt(7)
	v_cmp_gt_i32_e32 vcc, v1, v7
	s_waitcnt lgkmcnt(5)
	v_cmp_gt_i32_e64 s[6:7], v1, v10
	s_add_i32 s18, s18, 16
	v_cndmask_b32_e64 v7, 0, 1, vcc
	v_cmp_gt_i32_e32 vcc, v1, v6
	s_add_i32 s19, s19, 64
	s_add_i32 s20, s20, -8
	v_cndmask_b32_e64 v6, 0, 1, vcc
	v_cmp_gt_i32_e32 vcc, v1, v9
	v_cndmask_b32_e64 v9, 0, 1, s[6:7]
	v_cmp_gt_i32_e64 s[6:7], v1, v11
	v_addc_co_u32_e32 v5, vcc, v5, v7, vcc
	s_nop 0
	v_cndmask_b32_e64 v10, 0, 1, s[6:7]
	s_waitcnt lgkmcnt(3)
	v_cmp_gt_i32_e64 s[6:7], v1, v15
	v_cmp_gt_i32_e32 vcc, v1, v12
	s_cmp_lg_u32 s20, 0
	v_cndmask_b32_e64 v11, 0, 1, s[6:7]
	v_cmp_gt_i32_e64 s[6:7], v1, v14
	s_nop 1
	v_cndmask_b32_e64 v14, 0, 1, s[6:7]
	s_waitcnt lgkmcnt(1)
	v_cmp_gt_i32_e64 s[6:7], v1, v18
	s_nop 1
	v_cndmask_b32_e64 v15, 0, 1, s[6:7]
	v_cmp_gt_i32_e64 s[6:7], v1, v19
	s_nop 1
	v_cndmask_b32_e64 v18, 0, 1, s[6:7]
	v_cmp_gt_i32_e64 s[6:7], v1, v8
	s_nop 1
	v_addc_co_u32_e64 v4, s[6:7], v4, v6, s[6:7]
	v_cmp_gt_i32_e64 s[6:7], v1, v13
	v_addc_co_u32_e32 v4, vcc, v4, v9, vcc
	s_nop 0
	v_addc_co_u32_e64 v5, s[6:7], v5, v10, s[6:7]
	v_cmp_gt_i32_e32 vcc, v1, v17
	v_cmp_gt_i32_e64 s[6:7], v1, v16
	s_nop 0
	v_addc_co_u32_e32 v5, vcc, v5, v11, vcc
	v_addc_co_u32_e64 v4, s[6:7], v4, v14, s[6:7]
	s_waitcnt lgkmcnt(0)
	v_cmp_gt_i32_e32 vcc, v1, v20
	v_cmp_gt_i32_e64 s[6:7], v1, v21
	s_nop 0
	v_addc_co_u32_e32 v4, vcc, v4, v15, vcc
	v_addc_co_u32_e64 v5, s[6:7], v5, v18, s[6:7]
	s_cbranch_scc1 .LBB32_111
.LBB32_112:                             ;   in Loop: Header=BB32_108 Depth=1
	s_and_b64 vcc, exec, s[4:5]
	s_cbranch_vccnz .LBB32_115
; %bb.113:                              ;   in Loop: Header=BB32_108 Depth=1
	s_lshl_b32 s6, s18, 2
	s_add_i32 s6, s6, 0
	s_mov_b32 s7, s17
.LBB32_114:                             ;   Parent Loop BB32_108 Depth=1
                                        ; =>  This Inner Loop Header: Depth=2
	v_mov_b32_e32 v6, s6
	ds_read2_b32 v[6:7], v6 offset1:1
	s_add_i32 s6, s6, 8
	s_add_i32 s7, s7, -8
	s_cmp_lg_u32 s7, 0
	s_waitcnt lgkmcnt(0)
	v_cmp_gt_i32_e32 vcc, v1, v7
	s_nop 1
	v_addc_co_u32_e32 v5, vcc, 0, v5, vcc
	v_cmp_gt_i32_e32 vcc, v1, v6
	s_nop 1
	v_addc_co_u32_e32 v4, vcc, 0, v4, vcc
	s_cbranch_scc1 .LBB32_114
.LBB32_115:                             ;   in Loop: Header=BB32_108 Depth=1
	v_add_u32_e32 v4, v4, v5
	s_mov_b32 s18, s15
	s_mov_b64 s[6:7], s[10:11]
.LBB32_116:                             ;   in Loop: Header=BB32_108 Depth=1
	s_and_b64 vcc, exec, s[6:7]
	s_cbranch_vccz .LBB32_107
; %bb.117:                              ;   in Loop: Header=BB32_108 Depth=1
	s_lshl_b32 s6, s18, 2
	s_add_i32 s6, s6, 0
.LBB32_118:                             ;   Parent Loop BB32_108 Depth=1
                                        ; =>  This Inner Loop Header: Depth=2
	v_mov_b32_e32 v5, s6
	ds_read_b32 v5, v5
	s_add_i32 s18, s18, 1
	s_add_i32 s6, s6, 4
	s_cmp_ge_i32 s18, s14
	s_waitcnt lgkmcnt(0)
	v_cmp_gt_i32_e32 vcc, v1, v5
	s_nop 1
	v_addc_co_u32_e32 v4, vcc, 0, v4, vcc
	s_cbranch_scc0 .LBB32_118
	s_branch .LBB32_107
.LBB32_119:
	s_endpgm
	.section	.rodata,"a",@progbits
	.p2align	6, 0x0
	.amdhsa_kernel _ZN9rocsparseL41csrgemm_numeric_fill_block_per_row_kernelILj1024ELj64ELj8192ELj137ELj32EiidEEvT5_PKS1_S3_NS_24const_host_device_scalarIT6_EEPKT4_S3_PKS5_S9_S3_SB_S6_S9_S3_SB_S9_S3_PS5_21rocsparse_index_base_SD_SD_SD_bbb
		.amdhsa_group_segment_fixed_size 0
		.amdhsa_private_segment_fixed_size 0
		.amdhsa_kernarg_size 156
		.amdhsa_user_sgpr_count 2
		.amdhsa_user_sgpr_dispatch_ptr 0
		.amdhsa_user_sgpr_queue_ptr 0
		.amdhsa_user_sgpr_kernarg_segment_ptr 1
		.amdhsa_user_sgpr_dispatch_id 0
		.amdhsa_user_sgpr_kernarg_preload_length 0
		.amdhsa_user_sgpr_kernarg_preload_offset 0
		.amdhsa_user_sgpr_private_segment_size 0
		.amdhsa_uses_dynamic_stack 0
		.amdhsa_enable_private_segment 0
		.amdhsa_system_sgpr_workgroup_id_x 1
		.amdhsa_system_sgpr_workgroup_id_y 0
		.amdhsa_system_sgpr_workgroup_id_z 0
		.amdhsa_system_sgpr_workgroup_info 0
		.amdhsa_system_vgpr_workitem_id 0
		.amdhsa_next_free_vgpr 23
		.amdhsa_next_free_sgpr 100
		.amdhsa_accum_offset 24
		.amdhsa_reserve_vcc 1
		.amdhsa_float_round_mode_32 0
		.amdhsa_float_round_mode_16_64 0
		.amdhsa_float_denorm_mode_32 3
		.amdhsa_float_denorm_mode_16_64 3
		.amdhsa_dx10_clamp 1
		.amdhsa_ieee_mode 1
		.amdhsa_fp16_overflow 0
		.amdhsa_tg_split 0
		.amdhsa_exception_fp_ieee_invalid_op 0
		.amdhsa_exception_fp_denorm_src 0
		.amdhsa_exception_fp_ieee_div_zero 0
		.amdhsa_exception_fp_ieee_overflow 0
		.amdhsa_exception_fp_ieee_underflow 0
		.amdhsa_exception_fp_ieee_inexact 0
		.amdhsa_exception_int_div_zero 0
	.end_amdhsa_kernel
	.section	.text._ZN9rocsparseL41csrgemm_numeric_fill_block_per_row_kernelILj1024ELj64ELj8192ELj137ELj32EiidEEvT5_PKS1_S3_NS_24const_host_device_scalarIT6_EEPKT4_S3_PKS5_S9_S3_SB_S6_S9_S3_SB_S9_S3_PS5_21rocsparse_index_base_SD_SD_SD_bbb,"axG",@progbits,_ZN9rocsparseL41csrgemm_numeric_fill_block_per_row_kernelILj1024ELj64ELj8192ELj137ELj32EiidEEvT5_PKS1_S3_NS_24const_host_device_scalarIT6_EEPKT4_S3_PKS5_S9_S3_SB_S6_S9_S3_SB_S9_S3_PS5_21rocsparse_index_base_SD_SD_SD_bbb,comdat
.Lfunc_end32:
	.size	_ZN9rocsparseL41csrgemm_numeric_fill_block_per_row_kernelILj1024ELj64ELj8192ELj137ELj32EiidEEvT5_PKS1_S3_NS_24const_host_device_scalarIT6_EEPKT4_S3_PKS5_S9_S3_SB_S6_S9_S3_SB_S9_S3_PS5_21rocsparse_index_base_SD_SD_SD_bbb, .Lfunc_end32-_ZN9rocsparseL41csrgemm_numeric_fill_block_per_row_kernelILj1024ELj64ELj8192ELj137ELj32EiidEEvT5_PKS1_S3_NS_24const_host_device_scalarIT6_EEPKT4_S3_PKS5_S9_S3_SB_S6_S9_S3_SB_S9_S3_PS5_21rocsparse_index_base_SD_SD_SD_bbb
                                        ; -- End function
	.set _ZN9rocsparseL41csrgemm_numeric_fill_block_per_row_kernelILj1024ELj64ELj8192ELj137ELj32EiidEEvT5_PKS1_S3_NS_24const_host_device_scalarIT6_EEPKT4_S3_PKS5_S9_S3_SB_S6_S9_S3_SB_S9_S3_PS5_21rocsparse_index_base_SD_SD_SD_bbb.num_vgpr, 23
	.set _ZN9rocsparseL41csrgemm_numeric_fill_block_per_row_kernelILj1024ELj64ELj8192ELj137ELj32EiidEEvT5_PKS1_S3_NS_24const_host_device_scalarIT6_EEPKT4_S3_PKS5_S9_S3_SB_S6_S9_S3_SB_S9_S3_PS5_21rocsparse_index_base_SD_SD_SD_bbb.num_agpr, 0
	.set _ZN9rocsparseL41csrgemm_numeric_fill_block_per_row_kernelILj1024ELj64ELj8192ELj137ELj32EiidEEvT5_PKS1_S3_NS_24const_host_device_scalarIT6_EEPKT4_S3_PKS5_S9_S3_SB_S6_S9_S3_SB_S9_S3_PS5_21rocsparse_index_base_SD_SD_SD_bbb.numbered_sgpr, 100
	.set _ZN9rocsparseL41csrgemm_numeric_fill_block_per_row_kernelILj1024ELj64ELj8192ELj137ELj32EiidEEvT5_PKS1_S3_NS_24const_host_device_scalarIT6_EEPKT4_S3_PKS5_S9_S3_SB_S6_S9_S3_SB_S9_S3_PS5_21rocsparse_index_base_SD_SD_SD_bbb.num_named_barrier, 0
	.set _ZN9rocsparseL41csrgemm_numeric_fill_block_per_row_kernelILj1024ELj64ELj8192ELj137ELj32EiidEEvT5_PKS1_S3_NS_24const_host_device_scalarIT6_EEPKT4_S3_PKS5_S9_S3_SB_S6_S9_S3_SB_S9_S3_PS5_21rocsparse_index_base_SD_SD_SD_bbb.private_seg_size, 0
	.set _ZN9rocsparseL41csrgemm_numeric_fill_block_per_row_kernelILj1024ELj64ELj8192ELj137ELj32EiidEEvT5_PKS1_S3_NS_24const_host_device_scalarIT6_EEPKT4_S3_PKS5_S9_S3_SB_S6_S9_S3_SB_S9_S3_PS5_21rocsparse_index_base_SD_SD_SD_bbb.uses_vcc, 1
	.set _ZN9rocsparseL41csrgemm_numeric_fill_block_per_row_kernelILj1024ELj64ELj8192ELj137ELj32EiidEEvT5_PKS1_S3_NS_24const_host_device_scalarIT6_EEPKT4_S3_PKS5_S9_S3_SB_S6_S9_S3_SB_S9_S3_PS5_21rocsparse_index_base_SD_SD_SD_bbb.uses_flat_scratch, 0
	.set _ZN9rocsparseL41csrgemm_numeric_fill_block_per_row_kernelILj1024ELj64ELj8192ELj137ELj32EiidEEvT5_PKS1_S3_NS_24const_host_device_scalarIT6_EEPKT4_S3_PKS5_S9_S3_SB_S6_S9_S3_SB_S9_S3_PS5_21rocsparse_index_base_SD_SD_SD_bbb.has_dyn_sized_stack, 0
	.set _ZN9rocsparseL41csrgemm_numeric_fill_block_per_row_kernelILj1024ELj64ELj8192ELj137ELj32EiidEEvT5_PKS1_S3_NS_24const_host_device_scalarIT6_EEPKT4_S3_PKS5_S9_S3_SB_S6_S9_S3_SB_S9_S3_PS5_21rocsparse_index_base_SD_SD_SD_bbb.has_recursion, 0
	.set _ZN9rocsparseL41csrgemm_numeric_fill_block_per_row_kernelILj1024ELj64ELj8192ELj137ELj32EiidEEvT5_PKS1_S3_NS_24const_host_device_scalarIT6_EEPKT4_S3_PKS5_S9_S3_SB_S6_S9_S3_SB_S9_S3_PS5_21rocsparse_index_base_SD_SD_SD_bbb.has_indirect_call, 0
	.section	.AMDGPU.csdata,"",@progbits
; Kernel info:
; codeLenInByte = 4772
; TotalNumSgprs: 106
; NumVgprs: 23
; NumAgprs: 0
; TotalNumVgprs: 23
; ScratchSize: 0
; MemoryBound: 0
; FloatMode: 240
; IeeeMode: 1
; LDSByteSize: 0 bytes/workgroup (compile time only)
; SGPRBlocks: 13
; VGPRBlocks: 2
; NumSGPRsForWavesPerEU: 106
; NumVGPRsForWavesPerEU: 23
; AccumOffset: 24
; Occupancy: 7
; WaveLimiterHint : 1
; COMPUTE_PGM_RSRC2:SCRATCH_EN: 0
; COMPUTE_PGM_RSRC2:USER_SGPR: 2
; COMPUTE_PGM_RSRC2:TRAP_HANDLER: 0
; COMPUTE_PGM_RSRC2:TGID_X_EN: 1
; COMPUTE_PGM_RSRC2:TGID_Y_EN: 0
; COMPUTE_PGM_RSRC2:TGID_Z_EN: 0
; COMPUTE_PGM_RSRC2:TIDIG_COMP_CNT: 0
; COMPUTE_PGM_RSRC3_GFX90A:ACCUM_OFFSET: 5
; COMPUTE_PGM_RSRC3_GFX90A:TG_SPLIT: 0
	.section	.text._ZN9rocsparseL41csrgemm_numeric_fill_block_per_row_kernelILj1024ELj64ELj8192ELj137ELj64EiidEEvT5_PKS1_S3_NS_24const_host_device_scalarIT6_EEPKT4_S3_PKS5_S9_S3_SB_S6_S9_S3_SB_S9_S3_PS5_21rocsparse_index_base_SD_SD_SD_bbb,"axG",@progbits,_ZN9rocsparseL41csrgemm_numeric_fill_block_per_row_kernelILj1024ELj64ELj8192ELj137ELj64EiidEEvT5_PKS1_S3_NS_24const_host_device_scalarIT6_EEPKT4_S3_PKS5_S9_S3_SB_S6_S9_S3_SB_S9_S3_PS5_21rocsparse_index_base_SD_SD_SD_bbb,comdat
	.globl	_ZN9rocsparseL41csrgemm_numeric_fill_block_per_row_kernelILj1024ELj64ELj8192ELj137ELj64EiidEEvT5_PKS1_S3_NS_24const_host_device_scalarIT6_EEPKT4_S3_PKS5_S9_S3_SB_S6_S9_S3_SB_S9_S3_PS5_21rocsparse_index_base_SD_SD_SD_bbb ; -- Begin function _ZN9rocsparseL41csrgemm_numeric_fill_block_per_row_kernelILj1024ELj64ELj8192ELj137ELj64EiidEEvT5_PKS1_S3_NS_24const_host_device_scalarIT6_EEPKT4_S3_PKS5_S9_S3_SB_S6_S9_S3_SB_S9_S3_PS5_21rocsparse_index_base_SD_SD_SD_bbb
	.p2align	8
	.type	_ZN9rocsparseL41csrgemm_numeric_fill_block_per_row_kernelILj1024ELj64ELj8192ELj137ELj64EiidEEvT5_PKS1_S3_NS_24const_host_device_scalarIT6_EEPKT4_S3_PKS5_S9_S3_SB_S6_S9_S3_SB_S9_S3_PS5_21rocsparse_index_base_SD_SD_SD_bbb,@function
_ZN9rocsparseL41csrgemm_numeric_fill_block_per_row_kernelILj1024ELj64ELj8192ELj137ELj64EiidEEvT5_PKS1_S3_NS_24const_host_device_scalarIT6_EEPKT4_S3_PKS5_S9_S3_SB_S6_S9_S3_SB_S9_S3_PS5_21rocsparse_index_base_SD_SD_SD_bbb: ; @_ZN9rocsparseL41csrgemm_numeric_fill_block_per_row_kernelILj1024ELj64ELj8192ELj137ELj64EiidEEvT5_PKS1_S3_NS_24const_host_device_scalarIT6_EEPKT4_S3_PKS5_S9_S3_SB_S6_S9_S3_SB_S9_S3_PS5_21rocsparse_index_base_SD_SD_SD_bbb
; %bb.0:
	s_load_dword s3, s[0:1], 0x98
	s_load_dwordx4 s[4:7], s[0:1], 0x8
	s_load_dwordx2 s[12:13], s[0:1], 0x18
	s_load_dwordx4 s[36:39], s[0:1], 0x88
	s_load_dwordx2 s[10:11], s[0:1], 0x50
	s_waitcnt lgkmcnt(0)
	s_bitcmp1_b32 s3, 0
	s_cselect_b64 s[8:9], -1, 0
	s_bitcmp1_b32 s3, 16
	s_cselect_b64 s[14:15], -1, 0
	s_xor_b64 s[16:17], s[8:9], -1
	s_or_b64 s[16:17], s[14:15], s[16:17]
	s_and_b64 s[18:19], s[8:9], exec
	s_cselect_b32 s19, s13, 0
	s_cselect_b32 s18, s12, 0
	s_and_b64 vcc, exec, s[16:17]
	v_mov_b64_e32 v[4:5], s[18:19]
	s_cbranch_vccnz .LBB33_2
; %bb.1:
	v_mov_b64_e32 v[2:3], s[12:13]
	flat_load_dwordx2 v[4:5], v[2:3]
.LBB33_2:
	s_bitcmp1_b32 s3, 8
	s_cselect_b64 s[12:13], -1, 0
	s_xor_b64 s[16:17], s[12:13], -1
	s_or_b64 s[14:15], s[14:15], s[16:17]
	s_and_b64 s[16:17], s[12:13], exec
	s_cselect_b32 s17, s11, 0
	s_cselect_b32 s16, s10, 0
	s_and_b64 vcc, exec, s[14:15]
	v_mov_b64_e32 v[2:3], s[16:17]
	s_cbranch_vccnz .LBB33_4
; %bb.3:
	v_mov_b64_e32 v[2:3], s[10:11]
	flat_load_dwordx2 v[2:3], v[2:3]
.LBB33_4:
	s_load_dword s33, s[0:1], 0x0
	v_lshlrev_b32_e32 v6, 2, v0
	s_mov_b32 s10, 0
	v_add_u32_e32 v1, 0, v6
	v_add_u32_e32 v8, v1, v6
	s_waitcnt lgkmcnt(0)
	v_mov_b32_e32 v9, s33
	s_mov_b32 s11, s10
	v_mov_b32_e32 v10, s33
	v_mov_b64_e32 v[6:7], s[10:11]
	ds_write2st64_b32 v1, v9, v10 offset1:16
	ds_write2st64_b64 v8, v[6:7], v[6:7] offset0:64 offset1:80
	ds_write2st64_b32 v1, v9, v10 offset0:32 offset1:48
	ds_write2st64_b64 v8, v[6:7], v[6:7] offset0:96 offset1:112
	v_mov_b32_e32 v8, s33
	s_add_i32 s3, 0, 0x8000
	v_lshl_add_u32 v9, v0, 3, s3
	ds_write2st64_b32 v1, v8, v10 offset0:64 offset1:80
	ds_write2st64_b64 v9, v[6:7], v[6:7] offset0:64 offset1:80
	ds_write2st64_b32 v1, v8, v10 offset0:96 offset1:112
	ds_write2st64_b64 v9, v[6:7], v[6:7] offset0:96 offset1:112
	s_waitcnt lgkmcnt(0)
	s_barrier
	s_load_dword s3, s[4:5], 0x0
	v_lshrrev_b32_e32 v14, 6, v0
	s_waitcnt lgkmcnt(0)
	s_add_i32 s2, s3, s2
	s_mov_b32 s3, s10
	s_lshl_b64 s[2:3], s[2:3], 2
	s_add_u32 s2, s6, s2
	s_addc_u32 s3, s7, s3
	s_load_dword s40, s[2:3], 0x0
	s_andn2_b64 vcc, exec, s[8:9]
	s_cbranch_vccnz .LBB33_22
; %bb.5:
	s_load_dwordx2 s[2:3], s[0:1], 0x20
	s_waitcnt lgkmcnt(0)
	s_ashr_i32 s41, s40, 31
	s_lshl_b64 s[4:5], s[40:41], 2
	v_subrev_u32_e32 v6, s36, v14
	s_add_u32 s2, s2, s4
	s_addc_u32 s3, s3, s5
	s_load_dwordx2 s[4:5], s[2:3], 0x0
	s_waitcnt lgkmcnt(0)
	s_sub_i32 s34, s5, s36
	v_add_u32_e32 v6, s4, v6
	v_cmp_gt_i32_e32 vcc, s34, v6
	s_and_saveexec_b64 s[2:3], vcc
	s_cbranch_execz .LBB33_21
; %bb.6:
	s_load_dwordx2 s[14:15], s[0:1], 0x48
	s_load_dwordx8 s[4:11], s[0:1], 0x28
	v_and_b32_e32 v7, 63, v0
	v_subrev_u32_e32 v15, s37, v7
	s_mov_b64 s[16:17], 0
	s_movk_i32 s35, 0x89
	s_branch .LBB33_8
.LBB33_7:                               ;   in Loop: Header=BB33_8 Depth=1
	s_or_b64 exec, exec, s[18:19]
	v_add_u32_e32 v6, 16, v6
	v_cmp_le_i32_e32 vcc, s34, v6
	s_or_b64 s[16:17], vcc, s[16:17]
	s_andn2_b64 exec, exec, s[16:17]
	s_cbranch_execz .LBB33_21
.LBB33_8:                               ; =>This Loop Header: Depth=1
                                        ;     Child Loop BB33_12 Depth 2
                                        ;       Child Loop BB33_15 Depth 3
	v_ashrrev_i32_e32 v7, 31, v6
	s_waitcnt lgkmcnt(0)
	v_lshl_add_u64 v[8:9], v[6:7], 2, s[4:5]
	global_load_dword v8, v[8:9], off
	s_waitcnt vmcnt(0)
	v_subrev_u32_e32 v8, s36, v8
	v_ashrrev_i32_e32 v9, 31, v8
	v_lshl_add_u64 v[8:9], v[8:9], 2, s[8:9]
	global_load_dwordx2 v[8:9], v[8:9], off
	s_waitcnt vmcnt(0)
	v_subrev_u32_e32 v16, s37, v9
	v_add_u32_e32 v8, v8, v15
	v_cmp_lt_i32_e32 vcc, v8, v16
	s_and_saveexec_b64 s[18:19], vcc
	s_cbranch_execz .LBB33_7
; %bb.9:                                ;   in Loop: Header=BB33_8 Depth=1
	v_lshl_add_u64 v[10:11], v[6:7], 3, s[6:7]
	global_load_dwordx2 v[10:11], v[10:11], off
	s_mov_b64 s[20:21], 0
	s_waitcnt vmcnt(0)
	v_mul_f64 v[10:11], v[4:5], v[10:11]
	s_branch .LBB33_12
.LBB33_10:                              ;   in Loop: Header=BB33_12 Depth=2
	s_or_b64 exec, exec, s[24:25]
.LBB33_11:                              ;   in Loop: Header=BB33_12 Depth=2
	s_or_b64 exec, exec, s[22:23]
	s_waitcnt vmcnt(0)
	v_mul_f64 v[12:13], v[10:11], v[12:13]
	v_lshl_add_u32 v7, v7, 3, 0
	ds_add_f64 v7, v[12:13] offset:32768
	v_add_u32_e32 v8, 64, v8
	v_cmp_ge_i32_e32 vcc, v8, v16
	s_or_b64 s[20:21], vcc, s[20:21]
	s_andn2_b64 exec, exec, s[20:21]
	s_cbranch_execz .LBB33_7
.LBB33_12:                              ;   Parent Loop BB33_8 Depth=1
                                        ; =>  This Loop Header: Depth=2
                                        ;       Child Loop BB33_15 Depth 3
	v_ashrrev_i32_e32 v9, 31, v8
	v_lshl_add_u64 v[12:13], v[8:9], 2, s[10:11]
	global_load_dword v7, v[12:13], off
	v_lshl_add_u64 v[12:13], v[8:9], 3, s[14:15]
	global_load_dwordx2 v[12:13], v[12:13], off
	s_waitcnt vmcnt(1)
	v_subrev_u32_e32 v9, s37, v7
	v_mul_lo_u32 v7, v9, s35
	v_and_b32_e32 v7, 0x1fff, v7
	v_lshl_add_u32 v17, v7, 2, 0
	ds_read_b32 v18, v17
	s_waitcnt lgkmcnt(0)
	v_cmp_ne_u32_e32 vcc, v18, v9
	s_and_saveexec_b64 s[22:23], vcc
	s_cbranch_execz .LBB33_11
; %bb.13:                               ;   in Loop: Header=BB33_12 Depth=2
	s_mov_b64 s[24:25], 0
	s_branch .LBB33_15
.LBB33_14:                              ;   in Loop: Header=BB33_15 Depth=3
	s_or_b64 exec, exec, s[30:31]
	s_and_b64 s[26:27], exec, s[28:29]
	s_or_b64 s[24:25], s[26:27], s[24:25]
	s_andn2_b64 exec, exec, s[24:25]
	s_cbranch_execz .LBB33_10
.LBB33_15:                              ;   Parent Loop BB33_8 Depth=1
                                        ;     Parent Loop BB33_12 Depth=2
                                        ; =>    This Inner Loop Header: Depth=3
	v_cmp_ne_u32_e32 vcc, s33, v18
	s_mov_b64 s[26:27], 0
	s_and_saveexec_b64 s[28:29], vcc
	s_xor_b64 s[28:29], exec, s[28:29]
	s_cbranch_execz .LBB33_17
; %bb.16:                               ;   in Loop: Header=BB33_15 Depth=3
	v_add_u32_e32 v7, 1, v7
	s_mov_b64 s[26:27], exec
	v_and_b32_e32 v7, 0x1fff, v7
                                        ; implicit-def: $vgpr17
	s_andn2_saveexec_b64 s[28:29], s[28:29]
	s_cbranch_execz .LBB33_19
	s_branch .LBB33_18
.LBB33_17:                              ;   in Loop: Header=BB33_15 Depth=3
	s_andn2_saveexec_b64 s[28:29], s[28:29]
	s_cbranch_execz .LBB33_19
.LBB33_18:                              ;   in Loop: Header=BB33_15 Depth=3
	v_mov_b32_e32 v18, s33
	ds_cmpst_rtn_b32 v17, v17, v18, v9
	s_andn2_b64 s[26:27], s[26:27], exec
	s_waitcnt lgkmcnt(0)
	v_cmp_ne_u32_e32 vcc, s33, v17
	s_and_b64 s[30:31], vcc, exec
	s_or_b64 s[26:27], s[26:27], s[30:31]
.LBB33_19:                              ;   in Loop: Header=BB33_15 Depth=3
	s_or_b64 exec, exec, s[28:29]
	s_mov_b64 s[28:29], -1
                                        ; implicit-def: $vgpr17
                                        ; implicit-def: $vgpr18
	s_and_saveexec_b64 s[30:31], s[26:27]
	s_cbranch_execz .LBB33_14
; %bb.20:                               ;   in Loop: Header=BB33_15 Depth=3
	v_lshl_add_u32 v17, v7, 2, 0
	ds_read_b32 v18, v17
	s_waitcnt lgkmcnt(0)
	v_cmp_eq_u32_e32 vcc, v18, v9
	s_orn2_b64 s[28:29], vcc, exec
	s_branch .LBB33_14
.LBB33_21:
	s_or_b64 exec, exec, s[2:3]
.LBB33_22:
	s_load_dwordx2 s[34:35], s[0:1], 0x80
	s_load_dwordx2 s[36:37], s[0:1], 0x70
	s_andn2_b64 vcc, exec, s[12:13]
	s_cbranch_vccnz .LBB33_37
; %bb.23:
	s_load_dwordx2 s[2:3], s[0:1], 0x58
	s_waitcnt lgkmcnt(0)
	s_ashr_i32 s41, s40, 31
	s_lshl_b64 s[4:5], s[40:41], 2
	s_waitcnt vmcnt(0)
	v_subrev_u32_e32 v4, s39, v0
	s_add_u32 s2, s2, s4
	s_addc_u32 s3, s3, s5
	s_load_dwordx2 s[4:5], s[2:3], 0x0
	s_waitcnt lgkmcnt(0)
	s_sub_i32 s18, s5, s39
	v_add_u32_e32 v4, s4, v4
	v_cmp_gt_i32_e32 vcc, s18, v4
	s_and_saveexec_b64 s[2:3], vcc
	s_cbranch_execz .LBB33_36
; %bb.24:
	s_load_dwordx4 s[4:7], s[0:1], 0x60
	s_mov_b64 s[0:1], 0
	s_movk_i32 s19, 0x89
	s_branch .LBB33_27
.LBB33_25:                              ;   in Loop: Header=BB33_27 Depth=1
	s_or_b64 exec, exec, s[10:11]
.LBB33_26:                              ;   in Loop: Header=BB33_27 Depth=1
	s_or_b64 exec, exec, s[8:9]
	s_waitcnt vmcnt(0)
	v_mul_f64 v[6:7], v[2:3], v[6:7]
	v_lshl_add_u32 v5, v5, 3, 0
	ds_add_f64 v5, v[6:7] offset:32768
	v_add_u32_e32 v4, 0x400, v4
	v_cmp_le_i32_e32 vcc, s18, v4
	s_or_b64 s[0:1], vcc, s[0:1]
	s_andn2_b64 exec, exec, s[0:1]
	s_cbranch_execz .LBB33_36
.LBB33_27:                              ; =>This Loop Header: Depth=1
                                        ;     Child Loop BB33_30 Depth 2
	v_ashrrev_i32_e32 v5, 31, v4
	s_waitcnt lgkmcnt(0)
	v_lshl_add_u64 v[6:7], v[4:5], 2, s[4:5]
	global_load_dword v8, v[6:7], off
	v_lshl_add_u64 v[6:7], v[4:5], 3, s[6:7]
	global_load_dwordx2 v[6:7], v[6:7], off
	s_waitcnt vmcnt(1)
	v_subrev_u32_e32 v8, s39, v8
	v_mul_lo_u32 v5, v8, s19
	v_and_b32_e32 v5, 0x1fff, v5
	v_lshl_add_u32 v9, v5, 2, 0
	ds_read_b32 v10, v9
	s_waitcnt lgkmcnt(0)
	v_cmp_ne_u32_e32 vcc, v10, v8
	s_and_saveexec_b64 s[8:9], vcc
	s_cbranch_execz .LBB33_26
; %bb.28:                               ;   in Loop: Header=BB33_27 Depth=1
	s_mov_b64 s[10:11], 0
	s_branch .LBB33_30
.LBB33_29:                              ;   in Loop: Header=BB33_30 Depth=2
	s_or_b64 exec, exec, s[16:17]
	s_and_b64 s[12:13], exec, s[14:15]
	s_or_b64 s[10:11], s[12:13], s[10:11]
	s_andn2_b64 exec, exec, s[10:11]
	s_cbranch_execz .LBB33_25
.LBB33_30:                              ;   Parent Loop BB33_27 Depth=1
                                        ; =>  This Inner Loop Header: Depth=2
	v_cmp_ne_u32_e32 vcc, s33, v10
	s_mov_b64 s[12:13], 0
	s_and_saveexec_b64 s[14:15], vcc
	s_xor_b64 s[14:15], exec, s[14:15]
	s_cbranch_execz .LBB33_32
; %bb.31:                               ;   in Loop: Header=BB33_30 Depth=2
	v_add_u32_e32 v5, 1, v5
	s_mov_b64 s[12:13], exec
	v_and_b32_e32 v5, 0x1fff, v5
                                        ; implicit-def: $vgpr9
	s_andn2_saveexec_b64 s[14:15], s[14:15]
	s_cbranch_execz .LBB33_34
	s_branch .LBB33_33
.LBB33_32:                              ;   in Loop: Header=BB33_30 Depth=2
	s_andn2_saveexec_b64 s[14:15], s[14:15]
	s_cbranch_execz .LBB33_34
.LBB33_33:                              ;   in Loop: Header=BB33_30 Depth=2
	v_mov_b32_e32 v10, s33
	ds_cmpst_rtn_b32 v9, v9, v10, v8
	s_andn2_b64 s[12:13], s[12:13], exec
	s_waitcnt lgkmcnt(0)
	v_cmp_ne_u32_e32 vcc, s33, v9
	s_and_b64 s[16:17], vcc, exec
	s_or_b64 s[12:13], s[12:13], s[16:17]
.LBB33_34:                              ;   in Loop: Header=BB33_30 Depth=2
	s_or_b64 exec, exec, s[14:15]
	s_mov_b64 s[14:15], -1
                                        ; implicit-def: $vgpr9
                                        ; implicit-def: $vgpr10
	s_and_saveexec_b64 s[16:17], s[12:13]
	s_cbranch_execz .LBB33_29
; %bb.35:                               ;   in Loop: Header=BB33_30 Depth=2
	v_lshl_add_u32 v9, v5, 2, 0
	ds_read_b32 v10, v9
	s_waitcnt lgkmcnt(0)
	v_cmp_eq_u32_e32 vcc, v10, v8
	s_orn2_b64 s[14:15], vcc, exec
	s_branch .LBB33_29
.LBB33_36:
	s_or_b64 exec, exec, s[2:3]
.LBB33_37:
	s_waitcnt vmcnt(0)
	v_mbcnt_lo_u32_b32 v2, -1, 0
	v_mbcnt_hi_u32_b32 v2, -1, v2
	v_sub_u32_e32 v2, 63, v2
	s_add_i32 s39, 0, 0x18000
	s_movk_i32 s0, 0x3ff
	s_movk_i32 s2, 0x7f
	;; [unrolled: 1-line block ×15, first 2 shown]
	v_lshl_add_u32 v4, v0, 3, 0
	s_add_i32 s59, 0, 0x1803c
	v_lshrrev_b64 v[2:3], v2, -1
	v_lshl_add_u32 v6, v14, 2, s39
	v_cmp_eq_u32_e32 vcc, s0, v0
	v_cmp_lt_u32_e64 s[0:1], 63, v0
	v_cmp_lt_u32_e64 s[2:3], s2, v0
	;; [unrolled: 1-line block ×15, first 2 shown]
	v_add_u32_e32 v7, 0x8000, v4
	v_or_b32_e32 v8, 0xfffffc00, v0
	s_mov_b64 s[42:43], 0
	v_mov_b32_e32 v9, 0
	s_add_i32 s41, 0, 0x18004
	s_add_i32 s46, 0, 0x18008
	;; [unrolled: 1-line block ×14, first 2 shown]
	v_mov_b32_e32 v10, s59
	s_movk_i32 s60, 0x1bff
	s_waitcnt lgkmcnt(0)
	s_barrier
	s_branch .LBB33_39
.LBB33_38:                              ;   in Loop: Header=BB33_39 Depth=1
	s_or_b64 exec, exec, s[30:31]
	s_waitcnt lgkmcnt(0)
	s_barrier
	ds_read_b32 v4, v10
	v_add_u32_e32 v8, 0x400, v8
	v_cmp_lt_u32_e64 s[30:31], s60, v8
	v_add_u32_e32 v7, 0x2000, v7
	s_or_b64 s[42:43], s[30:31], s[42:43]
	s_waitcnt lgkmcnt(0)
	v_add_u32_e32 v9, v4, v9
	v_add_u32_e32 v1, 0x1000, v1
	s_andn2_b64 exec, exec, s[42:43]
	s_cbranch_execz .LBB33_73
.LBB33_39:                              ; =>This Inner Loop Header: Depth=1
	ds_read_b32 v11, v1
	ds_read_b64 v[4:5], v7
	s_waitcnt lgkmcnt(0)
	s_barrier
	v_cmp_gt_i32_e64 s[30:31], s33, v11
	s_bcnt1_i32_b64 s44, s[30:31]
	s_nop 0
	v_and_b32_e32 v13, s30, v2
	v_and_b32_e32 v12, s31, v3
	v_bcnt_u32_b32 v13, v13, 0
	v_bcnt_u32_b32 v12, v12, v13
	v_mov_b32_e32 v13, s44
	ds_write_b32 v6, v13
	s_waitcnt lgkmcnt(0)
	s_barrier
	s_and_saveexec_b64 s[44:45], s[0:1]
	s_cbranch_execz .LBB33_56
; %bb.40:                               ;   in Loop: Header=BB33_39 Depth=1
	v_mov_b32_e32 v13, s39
	ds_read_b32 v13, v13
	s_waitcnt lgkmcnt(0)
	v_add_u32_e32 v12, v13, v12
	s_or_b64 exec, exec, s[44:45]
	s_and_saveexec_b64 s[44:45], s[2:3]
	s_cbranch_execnz .LBB33_57
.LBB33_41:                              ;   in Loop: Header=BB33_39 Depth=1
	s_or_b64 exec, exec, s[44:45]
	s_and_saveexec_b64 s[44:45], s[4:5]
	s_cbranch_execz .LBB33_58
.LBB33_42:                              ;   in Loop: Header=BB33_39 Depth=1
	v_mov_b32_e32 v13, s46
	ds_read_b32 v13, v13
	s_waitcnt lgkmcnt(0)
	v_add_u32_e32 v12, v13, v12
	s_or_b64 exec, exec, s[44:45]
	s_and_saveexec_b64 s[44:45], s[6:7]
	s_cbranch_execnz .LBB33_59
.LBB33_43:                              ;   in Loop: Header=BB33_39 Depth=1
	s_or_b64 exec, exec, s[44:45]
	s_and_saveexec_b64 s[44:45], s[8:9]
	s_cbranch_execz .LBB33_60
.LBB33_44:                              ;   in Loop: Header=BB33_39 Depth=1
	v_mov_b32_e32 v13, s48
	ds_read_b32 v13, v13
	s_waitcnt lgkmcnt(0)
	v_add_u32_e32 v12, v13, v12
	s_or_b64 exec, exec, s[44:45]
	s_and_saveexec_b64 s[44:45], s[10:11]
	s_cbranch_execnz .LBB33_61
.LBB33_45:                              ;   in Loop: Header=BB33_39 Depth=1
	s_or_b64 exec, exec, s[44:45]
	s_and_saveexec_b64 s[44:45], s[12:13]
	s_cbranch_execz .LBB33_62
.LBB33_46:                              ;   in Loop: Header=BB33_39 Depth=1
	v_mov_b32_e32 v13, s50
	ds_read_b32 v13, v13
	s_waitcnt lgkmcnt(0)
	v_add_u32_e32 v12, v13, v12
	s_or_b64 exec, exec, s[44:45]
	s_and_saveexec_b64 s[44:45], s[14:15]
	s_cbranch_execnz .LBB33_63
.LBB33_47:                              ;   in Loop: Header=BB33_39 Depth=1
	s_or_b64 exec, exec, s[44:45]
	s_and_saveexec_b64 s[44:45], s[16:17]
	s_cbranch_execz .LBB33_64
.LBB33_48:                              ;   in Loop: Header=BB33_39 Depth=1
	v_mov_b32_e32 v13, s52
	ds_read_b32 v13, v13
	s_waitcnt lgkmcnt(0)
	v_add_u32_e32 v12, v13, v12
	s_or_b64 exec, exec, s[44:45]
	s_and_saveexec_b64 s[44:45], s[18:19]
	s_cbranch_execnz .LBB33_65
.LBB33_49:                              ;   in Loop: Header=BB33_39 Depth=1
	s_or_b64 exec, exec, s[44:45]
	s_and_saveexec_b64 s[44:45], s[20:21]
	s_cbranch_execz .LBB33_66
.LBB33_50:                              ;   in Loop: Header=BB33_39 Depth=1
	v_mov_b32_e32 v13, s54
	ds_read_b32 v13, v13
	s_waitcnt lgkmcnt(0)
	v_add_u32_e32 v12, v13, v12
	s_or_b64 exec, exec, s[44:45]
	s_and_saveexec_b64 s[44:45], s[22:23]
	s_cbranch_execnz .LBB33_67
.LBB33_51:                              ;   in Loop: Header=BB33_39 Depth=1
	s_or_b64 exec, exec, s[44:45]
	s_and_saveexec_b64 s[44:45], s[24:25]
	s_cbranch_execz .LBB33_68
.LBB33_52:                              ;   in Loop: Header=BB33_39 Depth=1
	v_mov_b32_e32 v13, s56
	ds_read_b32 v13, v13
	s_waitcnt lgkmcnt(0)
	v_add_u32_e32 v12, v13, v12
	s_or_b64 exec, exec, s[44:45]
	s_and_saveexec_b64 s[44:45], s[26:27]
	s_cbranch_execnz .LBB33_69
.LBB33_53:                              ;   in Loop: Header=BB33_39 Depth=1
	s_or_b64 exec, exec, s[44:45]
	s_and_saveexec_b64 s[44:45], s[28:29]
	s_cbranch_execz .LBB33_70
.LBB33_54:                              ;   in Loop: Header=BB33_39 Depth=1
	v_mov_b32_e32 v13, s58
	ds_read_b32 v13, v13
	s_waitcnt lgkmcnt(0)
	v_add_u32_e32 v12, v13, v12
	s_or_b64 exec, exec, s[44:45]
	s_and_saveexec_b64 s[44:45], s[30:31]
	s_cbranch_execnz .LBB33_71
.LBB33_55:                              ;   in Loop: Header=BB33_39 Depth=1
	s_or_b64 exec, exec, s[44:45]
	s_and_saveexec_b64 s[30:31], vcc
	s_cbranch_execz .LBB33_38
	s_branch .LBB33_72
.LBB33_56:                              ;   in Loop: Header=BB33_39 Depth=1
	s_or_b64 exec, exec, s[44:45]
	s_and_saveexec_b64 s[44:45], s[2:3]
	s_cbranch_execz .LBB33_41
.LBB33_57:                              ;   in Loop: Header=BB33_39 Depth=1
	v_mov_b32_e32 v13, s41
	ds_read_b32 v13, v13
	s_waitcnt lgkmcnt(0)
	v_add_u32_e32 v12, v13, v12
	s_or_b64 exec, exec, s[44:45]
	s_and_saveexec_b64 s[44:45], s[4:5]
	s_cbranch_execnz .LBB33_42
.LBB33_58:                              ;   in Loop: Header=BB33_39 Depth=1
	s_or_b64 exec, exec, s[44:45]
	s_and_saveexec_b64 s[44:45], s[6:7]
	s_cbranch_execz .LBB33_43
.LBB33_59:                              ;   in Loop: Header=BB33_39 Depth=1
	v_mov_b32_e32 v13, s47
	ds_read_b32 v13, v13
	s_waitcnt lgkmcnt(0)
	v_add_u32_e32 v12, v13, v12
	s_or_b64 exec, exec, s[44:45]
	s_and_saveexec_b64 s[44:45], s[8:9]
	s_cbranch_execnz .LBB33_44
.LBB33_60:                              ;   in Loop: Header=BB33_39 Depth=1
	s_or_b64 exec, exec, s[44:45]
	s_and_saveexec_b64 s[44:45], s[10:11]
	s_cbranch_execz .LBB33_45
.LBB33_61:                              ;   in Loop: Header=BB33_39 Depth=1
	v_mov_b32_e32 v13, s49
	ds_read_b32 v13, v13
	s_waitcnt lgkmcnt(0)
	v_add_u32_e32 v12, v13, v12
	s_or_b64 exec, exec, s[44:45]
	s_and_saveexec_b64 s[44:45], s[12:13]
	s_cbranch_execnz .LBB33_46
.LBB33_62:                              ;   in Loop: Header=BB33_39 Depth=1
	s_or_b64 exec, exec, s[44:45]
	s_and_saveexec_b64 s[44:45], s[14:15]
	s_cbranch_execz .LBB33_47
.LBB33_63:                              ;   in Loop: Header=BB33_39 Depth=1
	v_mov_b32_e32 v13, s51
	ds_read_b32 v13, v13
	s_waitcnt lgkmcnt(0)
	v_add_u32_e32 v12, v13, v12
	s_or_b64 exec, exec, s[44:45]
	s_and_saveexec_b64 s[44:45], s[16:17]
	s_cbranch_execnz .LBB33_48
.LBB33_64:                              ;   in Loop: Header=BB33_39 Depth=1
	s_or_b64 exec, exec, s[44:45]
	s_and_saveexec_b64 s[44:45], s[18:19]
	s_cbranch_execz .LBB33_49
.LBB33_65:                              ;   in Loop: Header=BB33_39 Depth=1
	v_mov_b32_e32 v13, s53
	ds_read_b32 v13, v13
	s_waitcnt lgkmcnt(0)
	v_add_u32_e32 v12, v13, v12
	s_or_b64 exec, exec, s[44:45]
	s_and_saveexec_b64 s[44:45], s[20:21]
	s_cbranch_execnz .LBB33_50
.LBB33_66:                              ;   in Loop: Header=BB33_39 Depth=1
	s_or_b64 exec, exec, s[44:45]
	s_and_saveexec_b64 s[44:45], s[22:23]
	s_cbranch_execz .LBB33_51
.LBB33_67:                              ;   in Loop: Header=BB33_39 Depth=1
	v_mov_b32_e32 v13, s55
	ds_read_b32 v13, v13
	s_waitcnt lgkmcnt(0)
	v_add_u32_e32 v12, v13, v12
	s_or_b64 exec, exec, s[44:45]
	s_and_saveexec_b64 s[44:45], s[24:25]
	s_cbranch_execnz .LBB33_52
.LBB33_68:                              ;   in Loop: Header=BB33_39 Depth=1
	s_or_b64 exec, exec, s[44:45]
	s_and_saveexec_b64 s[44:45], s[26:27]
	s_cbranch_execz .LBB33_53
.LBB33_69:                              ;   in Loop: Header=BB33_39 Depth=1
	v_mov_b32_e32 v13, s57
	ds_read_b32 v13, v13
	s_waitcnt lgkmcnt(0)
	v_add_u32_e32 v12, v13, v12
	s_or_b64 exec, exec, s[44:45]
	s_and_saveexec_b64 s[44:45], s[28:29]
	s_cbranch_execnz .LBB33_54
.LBB33_70:                              ;   in Loop: Header=BB33_39 Depth=1
	s_or_b64 exec, exec, s[44:45]
	s_and_saveexec_b64 s[44:45], s[30:31]
	s_cbranch_execz .LBB33_55
.LBB33_71:                              ;   in Loop: Header=BB33_39 Depth=1
	v_add3_u32 v13, v9, -1, v12
	v_lshl_add_u32 v13, v13, 2, 0
	v_add_u32_e32 v14, v9, v12
	v_lshl_add_u32 v14, v14, 3, 0
	ds_write_b32 v13, v11
	ds_write_b64 v14, v[4:5] offset:32760
	s_or_b64 exec, exec, s[44:45]
	s_and_saveexec_b64 s[30:31], vcc
	s_cbranch_execz .LBB33_38
.LBB33_72:                              ;   in Loop: Header=BB33_39 Depth=1
	v_mov_b32_e32 v4, s59
	ds_write_b32 v4, v12
	s_branch .LBB33_38
.LBB33_73:
	s_or_b64 exec, exec, s[42:43]
	s_ashr_i32 s41, s40, 31
	s_lshl_b64 s[0:1], s[40:41], 2
	s_add_u32 s2, s36, s0
	s_addc_u32 s3, s37, s1
	s_load_dwordx2 s[0:1], s[2:3], 0x0
	s_waitcnt lgkmcnt(0)
	s_sub_i32 s14, s1, s0
	v_cmp_gt_i32_e32 vcc, s14, v0
	s_and_saveexec_b64 s[2:3], vcc
	s_cbranch_execz .LBB33_87
; %bb.74:
	s_sub_i32 s8, s0, s38
	v_sub_co_u32_e64 v1, s[0:1], s14, 2
	s_nop 0
	v_readfirstlane_b32 s2, v1
	s_lshr_b32 s2, s2, 1
	s_add_i32 s2, s2, 1
	s_xor_b64 s[0:1], s[0:1], -1
	s_and_b32 s15, s14, -2
	s_and_b32 s3, s2, 7
	s_and_b32 s16, s2, -8
	s_cmp_lg_u32 s3, 0
	v_cmp_lt_u32_e32 vcc, 13, v1
	s_cselect_b64 s[4:5], -1, 0
	s_cmp_lg_u32 s14, s15
	v_cndmask_b32_e64 v1, 0, 1, vcc
	s_cselect_b64 s[10:11], -1, 0
	s_lshl_b32 s17, s3, 3
	v_cndmask_b32_e64 v2, 0, 1, s[0:1]
	v_cmp_ne_u32_e64 s[2:3], 1, v1
	v_cndmask_b32_e64 v1, 0, 1, s[4:5]
	s_mov_b32 s9, 0
	s_mov_b64 s[12:13], 0
	v_cmp_ne_u32_e64 s[0:1], 1, v2
	v_cmp_ne_u32_e64 s[4:5], 1, v1
	s_branch .LBB33_76
.LBB33_75:                              ;   in Loop: Header=BB33_76 Depth=1
	v_add_u32_e32 v0, 0x400, v0
	v_ashrrev_i32_e32 v5, 31, v4
	v_cmp_le_i32_e32 vcc, s14, v0
	v_lshl_add_u64 v[4:5], v[4:5], 3, s[34:35]
	s_or_b64 s[12:13], vcc, s[12:13]
	s_waitcnt lgkmcnt(0)
	global_store_dwordx2 v[4:5], v[2:3], off
	s_andn2_b64 exec, exec, s[12:13]
	s_cbranch_execz .LBB33_87
.LBB33_76:                              ; =>This Loop Header: Depth=1
                                        ;     Child Loop BB33_79 Depth 2
                                        ;     Child Loop BB33_82 Depth 2
	;; [unrolled: 1-line block ×3, first 2 shown]
	v_lshlrev_b32_e32 v1, 2, v0
	v_add_u32_e32 v2, 0, v1
	v_add_u32_e32 v3, v2, v1
	ds_read_b32 v1, v2
	ds_read_b64 v[2:3], v3 offset:32768
	s_and_b64 vcc, exec, s[0:1]
	v_mov_b32_e32 v4, s8
	s_mov_b32 s18, 0
	s_mov_b64 s[6:7], -1
	s_cbranch_vccnz .LBB33_84
; %bb.77:                               ;   in Loop: Header=BB33_76 Depth=1
	s_and_b64 vcc, exec, s[2:3]
	v_mov_b64_e32 v[4:5], s[8:9]
	s_cbranch_vccnz .LBB33_80
; %bb.78:                               ;   in Loop: Header=BB33_76 Depth=1
	s_mov_b32 s19, 0
	v_mov_b32_e32 v4, s8
	v_mov_b32_e32 v5, 0
	s_mov_b32 s20, s16
.LBB33_79:                              ;   Parent Loop BB33_76 Depth=1
                                        ; =>  This Inner Loop Header: Depth=2
	v_mov_b32_e32 v20, s19
	ds_read2_b32 v[6:7], v20 offset1:1
	ds_read2_b32 v[8:9], v20 offset0:2 offset1:3
	ds_read2_b32 v[10:11], v20 offset0:4 offset1:5
	;; [unrolled: 1-line block ×7, first 2 shown]
	s_waitcnt lgkmcnt(7)
	v_cmp_gt_i32_e32 vcc, v1, v7
	s_waitcnt lgkmcnt(5)
	v_cmp_gt_i32_e64 s[6:7], v1, v10
	s_add_i32 s18, s18, 16
	v_cndmask_b32_e64 v7, 0, 1, vcc
	v_cmp_gt_i32_e32 vcc, v1, v6
	s_add_i32 s19, s19, 64
	s_add_i32 s20, s20, -8
	v_cndmask_b32_e64 v6, 0, 1, vcc
	v_cmp_gt_i32_e32 vcc, v1, v9
	v_cndmask_b32_e64 v9, 0, 1, s[6:7]
	v_cmp_gt_i32_e64 s[6:7], v1, v11
	v_addc_co_u32_e32 v5, vcc, v5, v7, vcc
	s_nop 0
	v_cndmask_b32_e64 v10, 0, 1, s[6:7]
	s_waitcnt lgkmcnt(3)
	v_cmp_gt_i32_e64 s[6:7], v1, v15
	v_cmp_gt_i32_e32 vcc, v1, v12
	s_cmp_lg_u32 s20, 0
	v_cndmask_b32_e64 v11, 0, 1, s[6:7]
	v_cmp_gt_i32_e64 s[6:7], v1, v14
	s_nop 1
	v_cndmask_b32_e64 v14, 0, 1, s[6:7]
	s_waitcnt lgkmcnt(1)
	v_cmp_gt_i32_e64 s[6:7], v1, v18
	s_nop 1
	v_cndmask_b32_e64 v15, 0, 1, s[6:7]
	v_cmp_gt_i32_e64 s[6:7], v1, v19
	s_nop 1
	v_cndmask_b32_e64 v18, 0, 1, s[6:7]
	v_cmp_gt_i32_e64 s[6:7], v1, v8
	s_nop 1
	v_addc_co_u32_e64 v4, s[6:7], v4, v6, s[6:7]
	v_cmp_gt_i32_e64 s[6:7], v1, v13
	v_addc_co_u32_e32 v4, vcc, v4, v9, vcc
	s_nop 0
	v_addc_co_u32_e64 v5, s[6:7], v5, v10, s[6:7]
	v_cmp_gt_i32_e32 vcc, v1, v17
	v_cmp_gt_i32_e64 s[6:7], v1, v16
	s_nop 0
	v_addc_co_u32_e32 v5, vcc, v5, v11, vcc
	v_addc_co_u32_e64 v4, s[6:7], v4, v14, s[6:7]
	s_waitcnt lgkmcnt(0)
	v_cmp_gt_i32_e32 vcc, v1, v20
	v_cmp_gt_i32_e64 s[6:7], v1, v21
	s_nop 0
	v_addc_co_u32_e32 v4, vcc, v4, v15, vcc
	v_addc_co_u32_e64 v5, s[6:7], v5, v18, s[6:7]
	s_cbranch_scc1 .LBB33_79
.LBB33_80:                              ;   in Loop: Header=BB33_76 Depth=1
	s_and_b64 vcc, exec, s[4:5]
	s_cbranch_vccnz .LBB33_83
; %bb.81:                               ;   in Loop: Header=BB33_76 Depth=1
	s_lshl_b32 s6, s18, 2
	s_add_i32 s6, s6, 0
	s_mov_b32 s7, s17
.LBB33_82:                              ;   Parent Loop BB33_76 Depth=1
                                        ; =>  This Inner Loop Header: Depth=2
	v_mov_b32_e32 v6, s6
	ds_read2_b32 v[6:7], v6 offset1:1
	s_add_i32 s6, s6, 8
	s_add_i32 s7, s7, -8
	s_cmp_lg_u32 s7, 0
	s_waitcnt lgkmcnt(0)
	v_cmp_gt_i32_e32 vcc, v1, v7
	s_nop 1
	v_addc_co_u32_e32 v5, vcc, 0, v5, vcc
	v_cmp_gt_i32_e32 vcc, v1, v6
	s_nop 1
	v_addc_co_u32_e32 v4, vcc, 0, v4, vcc
	s_cbranch_scc1 .LBB33_82
.LBB33_83:                              ;   in Loop: Header=BB33_76 Depth=1
	v_add_u32_e32 v4, v4, v5
	s_mov_b32 s18, s15
	s_mov_b64 s[6:7], s[10:11]
.LBB33_84:                              ;   in Loop: Header=BB33_76 Depth=1
	s_and_b64 vcc, exec, s[6:7]
	s_cbranch_vccz .LBB33_75
; %bb.85:                               ;   in Loop: Header=BB33_76 Depth=1
	s_lshl_b32 s6, s18, 2
	s_add_i32 s6, s6, 0
.LBB33_86:                              ;   Parent Loop BB33_76 Depth=1
                                        ; =>  This Inner Loop Header: Depth=2
	v_mov_b32_e32 v5, s6
	ds_read_b32 v5, v5
	s_add_i32 s18, s18, 1
	s_add_i32 s6, s6, 4
	s_cmp_ge_i32 s18, s14
	s_waitcnt lgkmcnt(0)
	v_cmp_gt_i32_e32 vcc, v1, v5
	s_nop 1
	v_addc_co_u32_e32 v4, vcc, 0, v4, vcc
	s_cbranch_scc0 .LBB33_86
	s_branch .LBB33_75
.LBB33_87:
	s_endpgm
	.section	.rodata,"a",@progbits
	.p2align	6, 0x0
	.amdhsa_kernel _ZN9rocsparseL41csrgemm_numeric_fill_block_per_row_kernelILj1024ELj64ELj8192ELj137ELj64EiidEEvT5_PKS1_S3_NS_24const_host_device_scalarIT6_EEPKT4_S3_PKS5_S9_S3_SB_S6_S9_S3_SB_S9_S3_PS5_21rocsparse_index_base_SD_SD_SD_bbb
		.amdhsa_group_segment_fixed_size 0
		.amdhsa_private_segment_fixed_size 0
		.amdhsa_kernarg_size 156
		.amdhsa_user_sgpr_count 2
		.amdhsa_user_sgpr_dispatch_ptr 0
		.amdhsa_user_sgpr_queue_ptr 0
		.amdhsa_user_sgpr_kernarg_segment_ptr 1
		.amdhsa_user_sgpr_dispatch_id 0
		.amdhsa_user_sgpr_kernarg_preload_length 0
		.amdhsa_user_sgpr_kernarg_preload_offset 0
		.amdhsa_user_sgpr_private_segment_size 0
		.amdhsa_uses_dynamic_stack 0
		.amdhsa_enable_private_segment 0
		.amdhsa_system_sgpr_workgroup_id_x 1
		.amdhsa_system_sgpr_workgroup_id_y 0
		.amdhsa_system_sgpr_workgroup_id_z 0
		.amdhsa_system_sgpr_workgroup_info 0
		.amdhsa_system_vgpr_workitem_id 0
		.amdhsa_next_free_vgpr 22
		.amdhsa_next_free_sgpr 61
		.amdhsa_accum_offset 24
		.amdhsa_reserve_vcc 1
		.amdhsa_float_round_mode_32 0
		.amdhsa_float_round_mode_16_64 0
		.amdhsa_float_denorm_mode_32 3
		.amdhsa_float_denorm_mode_16_64 3
		.amdhsa_dx10_clamp 1
		.amdhsa_ieee_mode 1
		.amdhsa_fp16_overflow 0
		.amdhsa_tg_split 0
		.amdhsa_exception_fp_ieee_invalid_op 0
		.amdhsa_exception_fp_denorm_src 0
		.amdhsa_exception_fp_ieee_div_zero 0
		.amdhsa_exception_fp_ieee_overflow 0
		.amdhsa_exception_fp_ieee_underflow 0
		.amdhsa_exception_fp_ieee_inexact 0
		.amdhsa_exception_int_div_zero 0
	.end_amdhsa_kernel
	.section	.text._ZN9rocsparseL41csrgemm_numeric_fill_block_per_row_kernelILj1024ELj64ELj8192ELj137ELj64EiidEEvT5_PKS1_S3_NS_24const_host_device_scalarIT6_EEPKT4_S3_PKS5_S9_S3_SB_S6_S9_S3_SB_S9_S3_PS5_21rocsparse_index_base_SD_SD_SD_bbb,"axG",@progbits,_ZN9rocsparseL41csrgemm_numeric_fill_block_per_row_kernelILj1024ELj64ELj8192ELj137ELj64EiidEEvT5_PKS1_S3_NS_24const_host_device_scalarIT6_EEPKT4_S3_PKS5_S9_S3_SB_S6_S9_S3_SB_S9_S3_PS5_21rocsparse_index_base_SD_SD_SD_bbb,comdat
.Lfunc_end33:
	.size	_ZN9rocsparseL41csrgemm_numeric_fill_block_per_row_kernelILj1024ELj64ELj8192ELj137ELj64EiidEEvT5_PKS1_S3_NS_24const_host_device_scalarIT6_EEPKT4_S3_PKS5_S9_S3_SB_S6_S9_S3_SB_S9_S3_PS5_21rocsparse_index_base_SD_SD_SD_bbb, .Lfunc_end33-_ZN9rocsparseL41csrgemm_numeric_fill_block_per_row_kernelILj1024ELj64ELj8192ELj137ELj64EiidEEvT5_PKS1_S3_NS_24const_host_device_scalarIT6_EEPKT4_S3_PKS5_S9_S3_SB_S6_S9_S3_SB_S9_S3_PS5_21rocsparse_index_base_SD_SD_SD_bbb
                                        ; -- End function
	.set _ZN9rocsparseL41csrgemm_numeric_fill_block_per_row_kernelILj1024ELj64ELj8192ELj137ELj64EiidEEvT5_PKS1_S3_NS_24const_host_device_scalarIT6_EEPKT4_S3_PKS5_S9_S3_SB_S6_S9_S3_SB_S9_S3_PS5_21rocsparse_index_base_SD_SD_SD_bbb.num_vgpr, 22
	.set _ZN9rocsparseL41csrgemm_numeric_fill_block_per_row_kernelILj1024ELj64ELj8192ELj137ELj64EiidEEvT5_PKS1_S3_NS_24const_host_device_scalarIT6_EEPKT4_S3_PKS5_S9_S3_SB_S6_S9_S3_SB_S9_S3_PS5_21rocsparse_index_base_SD_SD_SD_bbb.num_agpr, 0
	.set _ZN9rocsparseL41csrgemm_numeric_fill_block_per_row_kernelILj1024ELj64ELj8192ELj137ELj64EiidEEvT5_PKS1_S3_NS_24const_host_device_scalarIT6_EEPKT4_S3_PKS5_S9_S3_SB_S6_S9_S3_SB_S9_S3_PS5_21rocsparse_index_base_SD_SD_SD_bbb.numbered_sgpr, 61
	.set _ZN9rocsparseL41csrgemm_numeric_fill_block_per_row_kernelILj1024ELj64ELj8192ELj137ELj64EiidEEvT5_PKS1_S3_NS_24const_host_device_scalarIT6_EEPKT4_S3_PKS5_S9_S3_SB_S6_S9_S3_SB_S9_S3_PS5_21rocsparse_index_base_SD_SD_SD_bbb.num_named_barrier, 0
	.set _ZN9rocsparseL41csrgemm_numeric_fill_block_per_row_kernelILj1024ELj64ELj8192ELj137ELj64EiidEEvT5_PKS1_S3_NS_24const_host_device_scalarIT6_EEPKT4_S3_PKS5_S9_S3_SB_S6_S9_S3_SB_S9_S3_PS5_21rocsparse_index_base_SD_SD_SD_bbb.private_seg_size, 0
	.set _ZN9rocsparseL41csrgemm_numeric_fill_block_per_row_kernelILj1024ELj64ELj8192ELj137ELj64EiidEEvT5_PKS1_S3_NS_24const_host_device_scalarIT6_EEPKT4_S3_PKS5_S9_S3_SB_S6_S9_S3_SB_S9_S3_PS5_21rocsparse_index_base_SD_SD_SD_bbb.uses_vcc, 1
	.set _ZN9rocsparseL41csrgemm_numeric_fill_block_per_row_kernelILj1024ELj64ELj8192ELj137ELj64EiidEEvT5_PKS1_S3_NS_24const_host_device_scalarIT6_EEPKT4_S3_PKS5_S9_S3_SB_S6_S9_S3_SB_S9_S3_PS5_21rocsparse_index_base_SD_SD_SD_bbb.uses_flat_scratch, 0
	.set _ZN9rocsparseL41csrgemm_numeric_fill_block_per_row_kernelILj1024ELj64ELj8192ELj137ELj64EiidEEvT5_PKS1_S3_NS_24const_host_device_scalarIT6_EEPKT4_S3_PKS5_S9_S3_SB_S6_S9_S3_SB_S9_S3_PS5_21rocsparse_index_base_SD_SD_SD_bbb.has_dyn_sized_stack, 0
	.set _ZN9rocsparseL41csrgemm_numeric_fill_block_per_row_kernelILj1024ELj64ELj8192ELj137ELj64EiidEEvT5_PKS1_S3_NS_24const_host_device_scalarIT6_EEPKT4_S3_PKS5_S9_S3_SB_S6_S9_S3_SB_S9_S3_PS5_21rocsparse_index_base_SD_SD_SD_bbb.has_recursion, 0
	.set _ZN9rocsparseL41csrgemm_numeric_fill_block_per_row_kernelILj1024ELj64ELj8192ELj137ELj64EiidEEvT5_PKS1_S3_NS_24const_host_device_scalarIT6_EEPKT4_S3_PKS5_S9_S3_SB_S6_S9_S3_SB_S9_S3_PS5_21rocsparse_index_base_SD_SD_SD_bbb.has_indirect_call, 0
	.section	.AMDGPU.csdata,"",@progbits
; Kernel info:
; codeLenInByte = 3460
; TotalNumSgprs: 67
; NumVgprs: 22
; NumAgprs: 0
; TotalNumVgprs: 22
; ScratchSize: 0
; MemoryBound: 0
; FloatMode: 240
; IeeeMode: 1
; LDSByteSize: 0 bytes/workgroup (compile time only)
; SGPRBlocks: 8
; VGPRBlocks: 2
; NumSGPRsForWavesPerEU: 67
; NumVGPRsForWavesPerEU: 22
; AccumOffset: 24
; Occupancy: 8
; WaveLimiterHint : 1
; COMPUTE_PGM_RSRC2:SCRATCH_EN: 0
; COMPUTE_PGM_RSRC2:USER_SGPR: 2
; COMPUTE_PGM_RSRC2:TRAP_HANDLER: 0
; COMPUTE_PGM_RSRC2:TGID_X_EN: 1
; COMPUTE_PGM_RSRC2:TGID_Y_EN: 0
; COMPUTE_PGM_RSRC2:TGID_Z_EN: 0
; COMPUTE_PGM_RSRC2:TIDIG_COMP_CNT: 0
; COMPUTE_PGM_RSRC3_GFX90A:ACCUM_OFFSET: 5
; COMPUTE_PGM_RSRC3_GFX90A:TG_SPLIT: 0
	.section	.text._ZN9rocsparseL41csrgemm_numeric_fill_block_per_row_kernelILj1024ELj64ELj16384ELj137ELj32EiidEEvT5_PKS1_S3_NS_24const_host_device_scalarIT6_EEPKT4_S3_PKS5_S9_S3_SB_S6_S9_S3_SB_S9_S3_PS5_21rocsparse_index_base_SD_SD_SD_bbb,"axG",@progbits,_ZN9rocsparseL41csrgemm_numeric_fill_block_per_row_kernelILj1024ELj64ELj16384ELj137ELj32EiidEEvT5_PKS1_S3_NS_24const_host_device_scalarIT6_EEPKT4_S3_PKS5_S9_S3_SB_S6_S9_S3_SB_S9_S3_PS5_21rocsparse_index_base_SD_SD_SD_bbb,comdat
	.globl	_ZN9rocsparseL41csrgemm_numeric_fill_block_per_row_kernelILj1024ELj64ELj16384ELj137ELj32EiidEEvT5_PKS1_S3_NS_24const_host_device_scalarIT6_EEPKT4_S3_PKS5_S9_S3_SB_S6_S9_S3_SB_S9_S3_PS5_21rocsparse_index_base_SD_SD_SD_bbb ; -- Begin function _ZN9rocsparseL41csrgemm_numeric_fill_block_per_row_kernelILj1024ELj64ELj16384ELj137ELj32EiidEEvT5_PKS1_S3_NS_24const_host_device_scalarIT6_EEPKT4_S3_PKS5_S9_S3_SB_S6_S9_S3_SB_S9_S3_PS5_21rocsparse_index_base_SD_SD_SD_bbb
	.p2align	8
	.type	_ZN9rocsparseL41csrgemm_numeric_fill_block_per_row_kernelILj1024ELj64ELj16384ELj137ELj32EiidEEvT5_PKS1_S3_NS_24const_host_device_scalarIT6_EEPKT4_S3_PKS5_S9_S3_SB_S6_S9_S3_SB_S9_S3_PS5_21rocsparse_index_base_SD_SD_SD_bbb,@function
_ZN9rocsparseL41csrgemm_numeric_fill_block_per_row_kernelILj1024ELj64ELj16384ELj137ELj32EiidEEvT5_PKS1_S3_NS_24const_host_device_scalarIT6_EEPKT4_S3_PKS5_S9_S3_SB_S6_S9_S3_SB_S9_S3_PS5_21rocsparse_index_base_SD_SD_SD_bbb: ; @_ZN9rocsparseL41csrgemm_numeric_fill_block_per_row_kernelILj1024ELj64ELj16384ELj137ELj32EiidEEvT5_PKS1_S3_NS_24const_host_device_scalarIT6_EEPKT4_S3_PKS5_S9_S3_SB_S6_S9_S3_SB_S9_S3_PS5_21rocsparse_index_base_SD_SD_SD_bbb
; %bb.0:
	s_load_dword s3, s[0:1], 0x98
	s_load_dwordx4 s[68:71], s[0:1], 0x88
	s_load_dwordx2 s[4:5], s[0:1], 0x18
	s_load_dwordx2 s[24:25], s[0:1], 0x50
	s_waitcnt lgkmcnt(0)
	s_bitcmp1_b32 s3, 0
	s_cselect_b64 s[22:23], -1, 0
	s_bitcmp1_b32 s3, 16
	s_cselect_b64 s[26:27], -1, 0
	s_xor_b64 s[6:7], s[22:23], -1
	s_or_b64 s[6:7], s[26:27], s[6:7]
	s_and_b64 s[8:9], s[22:23], exec
	s_cselect_b32 s9, s5, 0
	s_cselect_b32 s8, s4, 0
	s_and_b64 vcc, exec, s[6:7]
	v_mov_b64_e32 v[4:5], s[8:9]
	s_cbranch_vccnz .LBB34_2
; %bb.1:
	v_mov_b64_e32 v[2:3], s[4:5]
	flat_load_dwordx2 v[4:5], v[2:3]
.LBB34_2:
	s_load_dwordx2 s[4:5], s[0:1], 0x80
                                        ; implicit-def: $vgpr22 : SGPR spill to VGPR lane
	s_bitcmp1_b32 s3, 8
	s_cselect_b64 s[20:21], -1, 0
	s_xor_b64 s[28:29], s[20:21], -1
	s_or_b64 s[26:27], s[26:27], s[28:29]
	s_waitcnt lgkmcnt(0)
	v_writelane_b32 v22, s4, 0
	s_and_b64 s[28:29], s[20:21], exec
	s_cselect_b32 s29, s25, 0
	v_writelane_b32 v22, s5, 1
	s_load_dwordx8 s[4:11], s[0:1], 0x58
	s_cselect_b32 s28, s24, 0
	s_and_b64 vcc, exec, s[26:27]
	v_mov_b64_e32 v[2:3], s[28:29]
	s_waitcnt lgkmcnt(0)
	v_writelane_b32 v22, s4, 2
	s_nop 1
	v_writelane_b32 v22, s5, 3
	v_writelane_b32 v22, s6, 4
	;; [unrolled: 1-line block ×7, first 2 shown]
	s_load_dwordx4 s[12:15], s[0:1], 0x40
	s_load_dwordx4 s[16:19], s[0:1], 0x8
	s_load_dwordx8 s[4:11], s[0:1], 0x20
	s_cbranch_vccnz .LBB34_4
; %bb.3:
	v_mov_b64_e32 v[2:3], s[24:25]
	flat_load_dwordx2 v[2:3], v[2:3]
.LBB34_4:
	s_load_dword s33, s[0:1], 0x0
	v_lshl_add_u32 v7, v0, 3, 0
	v_or_b32_e32 v1, 0xfffffc00, v0
	v_mov_b32_e32 v6, 0
	v_add_u32_e32 v14, 0x10000, v7
	v_lshl_add_u32 v15, v0, 2, 0
	s_mov_b64 s[0:1], 0
	s_waitcnt lgkmcnt(0)
	v_mov_b32_e32 v11, s33
	v_mov_b32_e32 v7, v6
	s_movk_i32 s3, 0x3bff
	v_mov_b32_e32 v8, v15
	v_mov_b32_e32 v9, v14
	;; [unrolled: 1-line block ×3, first 2 shown]
.LBB34_5:                               ; =>This Inner Loop Header: Depth=1
	v_add_u32_e32 v10, 0x400, v10
	v_cmp_lt_u32_e32 vcc, s3, v10
	ds_write_b32 v8, v11
	ds_write_b64 v9, v[6:7]
	v_add_u32_e32 v9, 0x2000, v9
	s_or_b64 s[0:1], vcc, s[0:1]
	v_add_u32_e32 v8, 0x1000, v8
	s_andn2_b64 exec, exec, s[0:1]
	s_cbranch_execnz .LBB34_5
; %bb.6:
	s_or_b64 exec, exec, s[0:1]
	s_waitcnt lgkmcnt(0)
	s_barrier
	s_load_dword s0, s[16:17], 0x0
	s_mov_b32 s1, 0
	s_waitcnt lgkmcnt(0)
	s_add_i32 s0, s0, s2
	s_lshl_b64 s[0:1], s[0:1], 2
	s_add_u32 s0, s18, s0
	s_addc_u32 s1, s19, s1
	s_load_dword s0, s[0:1], 0x0
	s_and_b64 vcc, exec, s[22:23]
	s_waitcnt lgkmcnt(0)
	v_writelane_b32 v22, s0, 10
	s_nop 1
	v_writelane_b32 v22, s1, 11
	s_cbranch_vccz .LBB34_24
; %bb.7:
	v_readlane_b32 s0, v22, 10
	v_readlane_b32 s1, v22, 11
	s_mov_b32 s2, s0
	s_ashr_i32 s3, s0, 31
	v_writelane_b32 v22, s0, 10
	v_lshrrev_b32_e32 v6, 6, v0
	v_subrev_u32_e32 v6, s68, v6
	v_writelane_b32 v22, s1, 11
	s_lshl_b64 s[0:1], s[2:3], 2
	s_add_u32 s0, s4, s0
	s_addc_u32 s1, s5, s1
	s_load_dwordx2 s[2:3], s[0:1], 0x0
	s_waitcnt lgkmcnt(0)
	s_sub_i32 s30, s3, s68
	v_add_u32_e32 v6, s2, v6
	v_cmp_gt_i32_e32 vcc, s30, v6
	s_and_saveexec_b64 s[0:1], vcc
	s_cbranch_execz .LBB34_23
; %bb.8:
	v_and_b32_e32 v7, 63, v0
	v_subrev_u32_e32 v16, s69, v7
	s_mov_b64 s[2:3], 0
	s_movk_i32 s31, 0x89
	s_branch .LBB34_10
.LBB34_9:                               ;   in Loop: Header=BB34_10 Depth=1
	s_or_b64 exec, exec, s[4:5]
	v_add_u32_e32 v6, 16, v6
	v_cmp_le_i32_e32 vcc, s30, v6
	s_or_b64 s[2:3], vcc, s[2:3]
	s_andn2_b64 exec, exec, s[2:3]
	s_cbranch_execz .LBB34_23
.LBB34_10:                              ; =>This Loop Header: Depth=1
                                        ;     Child Loop BB34_14 Depth 2
                                        ;       Child Loop BB34_17 Depth 3
	v_ashrrev_i32_e32 v7, 31, v6
	v_lshl_add_u64 v[8:9], v[6:7], 2, s[6:7]
	global_load_dword v8, v[8:9], off
	s_waitcnt vmcnt(0)
	v_subrev_u32_e32 v8, s68, v8
	v_ashrrev_i32_e32 v9, 31, v8
	v_lshl_add_u64 v[8:9], v[8:9], 2, s[10:11]
	global_load_dwordx2 v[8:9], v[8:9], off
	s_waitcnt vmcnt(0)
	v_subrev_u32_e32 v17, s69, v9
	v_add_u32_e32 v8, v8, v16
	v_cmp_lt_i32_e32 vcc, v8, v17
	s_and_saveexec_b64 s[4:5], vcc
	s_cbranch_execz .LBB34_9
; %bb.11:                               ;   in Loop: Header=BB34_10 Depth=1
	v_lshl_add_u64 v[10:11], v[6:7], 3, s[8:9]
	global_load_dwordx2 v[10:11], v[10:11], off
	s_mov_b64 s[16:17], 0
	s_waitcnt vmcnt(0)
	v_mul_f64 v[10:11], v[4:5], v[10:11]
	s_branch .LBB34_14
.LBB34_12:                              ;   in Loop: Header=BB34_14 Depth=2
	s_or_b64 exec, exec, s[22:23]
.LBB34_13:                              ;   in Loop: Header=BB34_14 Depth=2
	s_or_b64 exec, exec, s[18:19]
	v_lshl_add_u32 v7, v7, 3, 0
	s_waitcnt vmcnt(0)
	v_mul_f64 v[12:13], v[10:11], v[12:13]
	v_add_u32_e32 v7, 0x10000, v7
	ds_add_f64 v7, v[12:13]
	v_add_u32_e32 v8, 64, v8
	v_cmp_ge_i32_e32 vcc, v8, v17
	s_or_b64 s[16:17], vcc, s[16:17]
	s_andn2_b64 exec, exec, s[16:17]
	s_cbranch_execz .LBB34_9
.LBB34_14:                              ;   Parent Loop BB34_10 Depth=1
                                        ; =>  This Loop Header: Depth=2
                                        ;       Child Loop BB34_17 Depth 3
	v_ashrrev_i32_e32 v9, 31, v8
	v_lshl_add_u64 v[12:13], v[8:9], 2, s[12:13]
	global_load_dword v7, v[12:13], off
	v_lshl_add_u64 v[12:13], v[8:9], 3, s[14:15]
	global_load_dwordx2 v[12:13], v[12:13], off
	s_waitcnt vmcnt(1)
	v_subrev_u32_e32 v9, s69, v7
	v_mul_lo_u32 v7, v9, s31
	v_and_b32_e32 v7, 0x3fff, v7
	v_lshl_add_u32 v18, v7, 2, 0
	ds_read_b32 v19, v18
	s_waitcnt lgkmcnt(0)
	v_cmp_ne_u32_e32 vcc, v19, v9
	s_and_saveexec_b64 s[18:19], vcc
	s_cbranch_execz .LBB34_13
; %bb.15:                               ;   in Loop: Header=BB34_14 Depth=2
	s_mov_b64 s[22:23], 0
	s_branch .LBB34_17
.LBB34_16:                              ;   in Loop: Header=BB34_17 Depth=3
	s_or_b64 exec, exec, s[28:29]
	s_and_b64 s[24:25], exec, s[26:27]
	s_or_b64 s[22:23], s[24:25], s[22:23]
	s_andn2_b64 exec, exec, s[22:23]
	s_cbranch_execz .LBB34_12
.LBB34_17:                              ;   Parent Loop BB34_10 Depth=1
                                        ;     Parent Loop BB34_14 Depth=2
                                        ; =>    This Inner Loop Header: Depth=3
	v_cmp_ne_u32_e32 vcc, s33, v19
	s_mov_b64 s[24:25], 0
	s_and_saveexec_b64 s[26:27], vcc
	s_xor_b64 s[26:27], exec, s[26:27]
	s_cbranch_execz .LBB34_19
; %bb.18:                               ;   in Loop: Header=BB34_17 Depth=3
	v_add_u32_e32 v7, 1, v7
	s_mov_b64 s[24:25], exec
	v_and_b32_e32 v7, 0x3fff, v7
                                        ; implicit-def: $vgpr18
	s_andn2_saveexec_b64 s[26:27], s[26:27]
	s_cbranch_execz .LBB34_21
	s_branch .LBB34_20
.LBB34_19:                              ;   in Loop: Header=BB34_17 Depth=3
	s_andn2_saveexec_b64 s[26:27], s[26:27]
	s_cbranch_execz .LBB34_21
.LBB34_20:                              ;   in Loop: Header=BB34_17 Depth=3
	v_mov_b32_e32 v19, s33
	ds_cmpst_rtn_b32 v18, v18, v19, v9
	s_andn2_b64 s[24:25], s[24:25], exec
	s_waitcnt lgkmcnt(0)
	v_cmp_ne_u32_e32 vcc, s33, v18
	s_and_b64 s[28:29], vcc, exec
	s_or_b64 s[24:25], s[24:25], s[28:29]
.LBB34_21:                              ;   in Loop: Header=BB34_17 Depth=3
	s_or_b64 exec, exec, s[26:27]
	s_mov_b64 s[26:27], -1
                                        ; implicit-def: $vgpr18
                                        ; implicit-def: $vgpr19
	s_and_saveexec_b64 s[28:29], s[24:25]
	s_cbranch_execz .LBB34_16
; %bb.22:                               ;   in Loop: Header=BB34_17 Depth=3
	v_lshl_add_u32 v18, v7, 2, 0
	ds_read_b32 v19, v18
	s_waitcnt lgkmcnt(0)
	v_cmp_eq_u32_e32 vcc, v19, v9
	s_orn2_b64 s[26:27], vcc, exec
	s_branch .LBB34_16
.LBB34_23:
	s_or_b64 exec, exec, s[0:1]
.LBB34_24:
	s_andn2_b64 vcc, exec, s[20:21]
	s_cbranch_vccnz .LBB34_39
; %bb.25:
	v_readlane_b32 s0, v22, 10
	v_readlane_b32 s1, v22, 11
	s_mov_b32 s2, s0
	s_ashr_i32 s3, s0, 31
	v_writelane_b32 v22, s0, 10
	s_waitcnt vmcnt(0)
	v_subrev_u32_e32 v4, s71, v0
	v_writelane_b32 v22, s1, 11
	s_lshl_b64 s[0:1], s[2:3], 2
	v_readlane_b32 s4, v22, 2
	v_readlane_b32 s5, v22, 3
	s_add_u32 s0, s4, s0
	s_addc_u32 s1, s5, s1
	s_load_dwordx2 s[2:3], s[0:1], 0x0
	v_readlane_b32 s6, v22, 4
	v_readlane_b32 s7, v22, 5
	;; [unrolled: 1-line block ×4, first 2 shown]
	s_waitcnt lgkmcnt(0)
	s_sub_i32 s14, s3, s71
	v_add_u32_e32 v4, s2, v4
	v_cmp_gt_i32_e32 vcc, s14, v4
	v_readlane_b32 s10, v22, 8
	v_readlane_b32 s11, v22, 9
	s_and_saveexec_b64 s[0:1], vcc
	s_cbranch_execz .LBB34_38
; %bb.26:
	s_mov_b64 s[2:3], 0
	s_movk_i32 s15, 0x89
	s_branch .LBB34_29
.LBB34_27:                              ;   in Loop: Header=BB34_29 Depth=1
	s_or_b64 exec, exec, s[6:7]
.LBB34_28:                              ;   in Loop: Header=BB34_29 Depth=1
	s_or_b64 exec, exec, s[4:5]
	v_lshl_add_u32 v5, v5, 3, 0
	s_waitcnt vmcnt(0)
	v_mul_f64 v[6:7], v[2:3], v[6:7]
	v_add_u32_e32 v5, 0x10000, v5
	ds_add_f64 v5, v[6:7]
	v_add_u32_e32 v4, 0x400, v4
	v_cmp_le_i32_e32 vcc, s14, v4
	s_or_b64 s[2:3], vcc, s[2:3]
	s_andn2_b64 exec, exec, s[2:3]
	s_cbranch_execz .LBB34_38
.LBB34_29:                              ; =>This Loop Header: Depth=1
                                        ;     Child Loop BB34_32 Depth 2
	v_readlane_b32 s4, v22, 2
	v_ashrrev_i32_e32 v5, 31, v4
	v_readlane_b32 s6, v22, 4
	v_readlane_b32 s7, v22, 5
	;; [unrolled: 1-line block ×4, first 2 shown]
	v_lshl_add_u64 v[6:7], v[4:5], 2, s[6:7]
	global_load_dword v8, v[6:7], off
	v_lshl_add_u64 v[6:7], v[4:5], 3, s[8:9]
	global_load_dwordx2 v[6:7], v[6:7], off
	v_readlane_b32 s5, v22, 3
	v_readlane_b32 s10, v22, 8
	;; [unrolled: 1-line block ×3, first 2 shown]
	s_waitcnt vmcnt(1)
	v_subrev_u32_e32 v8, s71, v8
	v_mul_lo_u32 v5, v8, s15
	v_and_b32_e32 v5, 0x3fff, v5
	v_lshl_add_u32 v9, v5, 2, 0
	ds_read_b32 v10, v9
	s_waitcnt lgkmcnt(0)
	v_cmp_ne_u32_e32 vcc, v10, v8
	s_and_saveexec_b64 s[4:5], vcc
	s_cbranch_execz .LBB34_28
; %bb.30:                               ;   in Loop: Header=BB34_29 Depth=1
	s_mov_b64 s[6:7], 0
	s_branch .LBB34_32
.LBB34_31:                              ;   in Loop: Header=BB34_32 Depth=2
	s_or_b64 exec, exec, s[12:13]
	s_and_b64 s[8:9], exec, s[10:11]
	s_or_b64 s[6:7], s[8:9], s[6:7]
	s_andn2_b64 exec, exec, s[6:7]
	s_cbranch_execz .LBB34_27
.LBB34_32:                              ;   Parent Loop BB34_29 Depth=1
                                        ; =>  This Inner Loop Header: Depth=2
	v_cmp_ne_u32_e32 vcc, s33, v10
	s_mov_b64 s[8:9], 0
	s_and_saveexec_b64 s[10:11], vcc
	s_xor_b64 s[10:11], exec, s[10:11]
	s_cbranch_execz .LBB34_34
; %bb.33:                               ;   in Loop: Header=BB34_32 Depth=2
	v_add_u32_e32 v5, 1, v5
	s_mov_b64 s[8:9], exec
	v_and_b32_e32 v5, 0x3fff, v5
                                        ; implicit-def: $vgpr9
	s_andn2_saveexec_b64 s[10:11], s[10:11]
	s_cbranch_execz .LBB34_36
	s_branch .LBB34_35
.LBB34_34:                              ;   in Loop: Header=BB34_32 Depth=2
	s_andn2_saveexec_b64 s[10:11], s[10:11]
	s_cbranch_execz .LBB34_36
.LBB34_35:                              ;   in Loop: Header=BB34_32 Depth=2
	v_mov_b32_e32 v10, s33
	ds_cmpst_rtn_b32 v9, v9, v10, v8
	s_andn2_b64 s[8:9], s[8:9], exec
	s_waitcnt lgkmcnt(0)
	v_cmp_ne_u32_e32 vcc, s33, v9
	s_and_b64 s[12:13], vcc, exec
	s_or_b64 s[8:9], s[8:9], s[12:13]
.LBB34_36:                              ;   in Loop: Header=BB34_32 Depth=2
	s_or_b64 exec, exec, s[10:11]
	s_mov_b64 s[10:11], -1
                                        ; implicit-def: $vgpr9
                                        ; implicit-def: $vgpr10
	s_and_saveexec_b64 s[12:13], s[8:9]
	s_cbranch_execz .LBB34_31
; %bb.37:                               ;   in Loop: Header=BB34_32 Depth=2
	v_lshl_add_u32 v9, v5, 2, 0
	ds_read_b32 v10, v9
	s_waitcnt lgkmcnt(0)
	v_cmp_eq_u32_e32 vcc, v10, v8
	s_orn2_b64 s[10:11], vcc, exec
	s_branch .LBB34_31
.LBB34_38:
	s_or_b64 exec, exec, s[0:1]
.LBB34_39:
	s_add_i32 s0, 0, 0x30000
	s_waitcnt vmcnt(0)
	v_lshrrev_b32_e32 v4, 3, v0
	v_writelane_b32 v22, s0, 12
	s_add_i32 s60, 0, 0x30004
	v_mbcnt_lo_u32_b32 v2, -1, 0
	v_and_b32_e32 v4, 0x7c, v4
	v_writelane_b32 v22, s60, 13
	s_add_i32 s60, 0, 0x30008
	v_mbcnt_hi_u32_b32 v2, -1, v2
	v_add_u32_e32 v6, s0, v4
	s_movk_i32 s0, 0x3ff
	v_writelane_b32 v22, s60, 14
	s_add_i32 s60, 0, 0x3000c
	v_sub_u32_e32 v2, 63, v2
	v_cmp_eq_u32_e32 vcc, s0, v0
	s_movk_i32 s0, 0x5f
	s_movk_i32 s2, 0x7f
	;; [unrolled: 1-line block ×29, first 2 shown]
	v_writelane_b32 v22, s60, 15
	s_add_i32 s60, 0, 0x30014
	v_lshrrev_b64 v[2:3], v2, -1
	v_cmp_lt_u32_e64 s[0:1], s0, v0
	v_cmp_lt_u32_e64 s[2:3], s2, v0
	;; [unrolled: 1-line block ×29, first 2 shown]
	v_mov_b32_e32 v7, 0
	s_add_i32 s79, 0, 0x30010
	v_writelane_b32 v22, s60, 16
	s_add_i32 s82, 0, 0x30018
	s_add_i32 s83, 0, 0x3001c
	;; [unrolled: 1-line block ×26, first 2 shown]
	v_cmp_lt_u32_e64 s[60:61], 31, v0
	v_cmp_lt_u32_e64 s[62:63], 63, v0
	s_mov_b64 s[68:69], 0
	s_waitcnt lgkmcnt(0)
	s_barrier
	s_branch .LBB34_41
.LBB34_40:                              ;   in Loop: Header=BB34_41 Depth=1
	s_or_b64 exec, exec, s[64:65]
	v_mov_b32_e32 v4, s78
	s_waitcnt lgkmcnt(0)
	s_barrier
	ds_read_b32 v4, v4
	v_add_u32_e32 v1, 0x400, v1
	s_movk_i32 s64, 0x3bff
	v_cmp_lt_u32_e64 s[64:65], s64, v1
	v_add_u32_e32 v14, 0x2000, v14
	s_waitcnt lgkmcnt(0)
	v_add_u32_e32 v7, v4, v7
	s_or_b64 s[68:69], s[64:65], s[68:69]
	v_add_u32_e32 v15, 0x1000, v15
	s_andn2_b64 exec, exec, s[68:69]
	s_cbranch_execz .LBB34_107
.LBB34_41:                              ; =>This Inner Loop Header: Depth=1
	ds_read_b32 v8, v15
	ds_read_b64 v[4:5], v14
	s_waitcnt lgkmcnt(0)
	s_barrier
	v_cmp_gt_i32_e64 s[64:65], s33, v8
	s_bcnt1_i32_b64 s76, s[64:65]
	s_nop 0
	v_and_b32_e32 v10, s64, v2
	v_and_b32_e32 v9, s65, v3
	v_bcnt_u32_b32 v10, v10, 0
	v_bcnt_u32_b32 v9, v9, v10
	v_mov_b32_e32 v10, s76
	ds_write_b32 v6, v10
	s_waitcnt lgkmcnt(0)
	s_barrier
	s_and_saveexec_b64 s[76:77], s[60:61]
	s_cbranch_execz .LBB34_74
; %bb.42:                               ;   in Loop: Header=BB34_41 Depth=1
	v_readlane_b32 s80, v22, 12
	s_nop 1
	v_mov_b32_e32 v10, s80
	ds_read_b32 v10, v10
	s_waitcnt lgkmcnt(0)
	v_add_u32_e32 v9, v10, v9
	s_or_b64 exec, exec, s[76:77]
	s_and_saveexec_b64 s[76:77], s[62:63]
	s_cbranch_execnz .LBB34_75
.LBB34_43:                              ;   in Loop: Header=BB34_41 Depth=1
	s_or_b64 exec, exec, s[76:77]
	s_and_saveexec_b64 s[76:77], s[0:1]
	s_cbranch_execz .LBB34_76
.LBB34_44:                              ;   in Loop: Header=BB34_41 Depth=1
	v_readlane_b32 s80, v22, 14
	s_nop 1
	v_mov_b32_e32 v10, s80
	ds_read_b32 v10, v10
	s_waitcnt lgkmcnt(0)
	v_add_u32_e32 v9, v10, v9
	s_or_b64 exec, exec, s[76:77]
	s_and_saveexec_b64 s[76:77], s[2:3]
	s_cbranch_execnz .LBB34_77
.LBB34_45:                              ;   in Loop: Header=BB34_41 Depth=1
	s_or_b64 exec, exec, s[76:77]
	s_and_saveexec_b64 s[76:77], s[4:5]
	s_cbranch_execz .LBB34_78
.LBB34_46:                              ;   in Loop: Header=BB34_41 Depth=1
	v_mov_b32_e32 v10, s79
	ds_read_b32 v10, v10
	s_waitcnt lgkmcnt(0)
	v_add_u32_e32 v9, v10, v9
	s_or_b64 exec, exec, s[76:77]
	s_and_saveexec_b64 s[76:77], s[6:7]
	s_cbranch_execnz .LBB34_79
.LBB34_47:                              ;   in Loop: Header=BB34_41 Depth=1
	s_or_b64 exec, exec, s[76:77]
	s_and_saveexec_b64 s[76:77], s[8:9]
	s_cbranch_execz .LBB34_80
.LBB34_48:                              ;   in Loop: Header=BB34_41 Depth=1
	v_mov_b32_e32 v10, s82
	ds_read_b32 v10, v10
	s_waitcnt lgkmcnt(0)
	v_add_u32_e32 v9, v10, v9
	s_or_b64 exec, exec, s[76:77]
	s_and_saveexec_b64 s[76:77], s[10:11]
	s_cbranch_execnz .LBB34_81
.LBB34_49:                              ;   in Loop: Header=BB34_41 Depth=1
	s_or_b64 exec, exec, s[76:77]
	s_and_saveexec_b64 s[76:77], s[12:13]
	s_cbranch_execz .LBB34_82
.LBB34_50:                              ;   in Loop: Header=BB34_41 Depth=1
	v_mov_b32_e32 v10, s84
	ds_read_b32 v10, v10
	s_waitcnt lgkmcnt(0)
	v_add_u32_e32 v9, v10, v9
	s_or_b64 exec, exec, s[76:77]
	s_and_saveexec_b64 s[76:77], s[14:15]
	s_cbranch_execnz .LBB34_83
.LBB34_51:                              ;   in Loop: Header=BB34_41 Depth=1
	s_or_b64 exec, exec, s[76:77]
	s_and_saveexec_b64 s[76:77], s[16:17]
	s_cbranch_execz .LBB34_84
.LBB34_52:                              ;   in Loop: Header=BB34_41 Depth=1
	v_mov_b32_e32 v10, s86
	ds_read_b32 v10, v10
	s_waitcnt lgkmcnt(0)
	v_add_u32_e32 v9, v10, v9
	s_or_b64 exec, exec, s[76:77]
	s_and_saveexec_b64 s[76:77], s[18:19]
	s_cbranch_execnz .LBB34_85
.LBB34_53:                              ;   in Loop: Header=BB34_41 Depth=1
	s_or_b64 exec, exec, s[76:77]
	s_and_saveexec_b64 s[76:77], s[20:21]
	s_cbranch_execz .LBB34_86
.LBB34_54:                              ;   in Loop: Header=BB34_41 Depth=1
	v_mov_b32_e32 v10, s88
	ds_read_b32 v10, v10
	s_waitcnt lgkmcnt(0)
	v_add_u32_e32 v9, v10, v9
	s_or_b64 exec, exec, s[76:77]
	s_and_saveexec_b64 s[76:77], s[22:23]
	s_cbranch_execnz .LBB34_87
.LBB34_55:                              ;   in Loop: Header=BB34_41 Depth=1
	s_or_b64 exec, exec, s[76:77]
	s_and_saveexec_b64 s[76:77], s[24:25]
	s_cbranch_execz .LBB34_88
.LBB34_56:                              ;   in Loop: Header=BB34_41 Depth=1
	v_mov_b32_e32 v10, s90
	ds_read_b32 v10, v10
	s_waitcnt lgkmcnt(0)
	v_add_u32_e32 v9, v10, v9
	s_or_b64 exec, exec, s[76:77]
	s_and_saveexec_b64 s[76:77], s[26:27]
	s_cbranch_execnz .LBB34_89
.LBB34_57:                              ;   in Loop: Header=BB34_41 Depth=1
	s_or_b64 exec, exec, s[76:77]
	s_and_saveexec_b64 s[76:77], s[28:29]
	s_cbranch_execz .LBB34_90
.LBB34_58:                              ;   in Loop: Header=BB34_41 Depth=1
	v_mov_b32_e32 v10, s92
	ds_read_b32 v10, v10
	s_waitcnt lgkmcnt(0)
	v_add_u32_e32 v9, v10, v9
	s_or_b64 exec, exec, s[76:77]
	s_and_saveexec_b64 s[76:77], s[30:31]
	s_cbranch_execnz .LBB34_91
.LBB34_59:                              ;   in Loop: Header=BB34_41 Depth=1
	s_or_b64 exec, exec, s[76:77]
	s_and_saveexec_b64 s[76:77], s[34:35]
	s_cbranch_execz .LBB34_92
.LBB34_60:                              ;   in Loop: Header=BB34_41 Depth=1
	v_mov_b32_e32 v10, s94
	ds_read_b32 v10, v10
	s_waitcnt lgkmcnt(0)
	v_add_u32_e32 v9, v10, v9
	s_or_b64 exec, exec, s[76:77]
	s_and_saveexec_b64 s[76:77], s[36:37]
	s_cbranch_execnz .LBB34_93
.LBB34_61:                              ;   in Loop: Header=BB34_41 Depth=1
	s_or_b64 exec, exec, s[76:77]
	s_and_saveexec_b64 s[76:77], s[38:39]
	s_cbranch_execz .LBB34_94
.LBB34_62:                              ;   in Loop: Header=BB34_41 Depth=1
	v_mov_b32_e32 v10, s96
	ds_read_b32 v10, v10
	s_waitcnt lgkmcnt(0)
	v_add_u32_e32 v9, v10, v9
	s_or_b64 exec, exec, s[76:77]
	s_and_saveexec_b64 s[76:77], s[40:41]
	s_cbranch_execnz .LBB34_95
.LBB34_63:                              ;   in Loop: Header=BB34_41 Depth=1
	s_or_b64 exec, exec, s[76:77]
	s_and_saveexec_b64 s[76:77], s[42:43]
	s_cbranch_execz .LBB34_96
.LBB34_64:                              ;   in Loop: Header=BB34_41 Depth=1
	v_mov_b32_e32 v10, s98
	ds_read_b32 v10, v10
	s_waitcnt lgkmcnt(0)
	v_add_u32_e32 v9, v10, v9
	s_or_b64 exec, exec, s[76:77]
	s_and_saveexec_b64 s[76:77], s[44:45]
	s_cbranch_execnz .LBB34_97
.LBB34_65:                              ;   in Loop: Header=BB34_41 Depth=1
	s_or_b64 exec, exec, s[76:77]
	s_and_saveexec_b64 s[76:77], s[46:47]
	s_cbranch_execz .LBB34_98
.LBB34_66:                              ;   in Loop: Header=BB34_41 Depth=1
	v_mov_b32_e32 v10, s74
	ds_read_b32 v10, v10
	s_waitcnt lgkmcnt(0)
	v_add_u32_e32 v9, v10, v9
	s_or_b64 exec, exec, s[76:77]
	s_and_saveexec_b64 s[76:77], s[48:49]
	s_cbranch_execnz .LBB34_99
.LBB34_67:                              ;   in Loop: Header=BB34_41 Depth=1
	s_or_b64 exec, exec, s[76:77]
	s_and_saveexec_b64 s[76:77], s[50:51]
	s_cbranch_execz .LBB34_100
.LBB34_68:                              ;   in Loop: Header=BB34_41 Depth=1
	v_mov_b32_e32 v10, s73
	ds_read_b32 v10, v10
	s_waitcnt lgkmcnt(0)
	v_add_u32_e32 v9, v10, v9
	s_or_b64 exec, exec, s[76:77]
	s_and_saveexec_b64 s[76:77], s[52:53]
	s_cbranch_execnz .LBB34_101
.LBB34_69:                              ;   in Loop: Header=BB34_41 Depth=1
	s_or_b64 exec, exec, s[76:77]
	s_and_saveexec_b64 s[76:77], s[54:55]
	s_cbranch_execz .LBB34_102
.LBB34_70:                              ;   in Loop: Header=BB34_41 Depth=1
	v_mov_b32_e32 v10, s67
	ds_read_b32 v10, v10
	s_waitcnt lgkmcnt(0)
	v_add_u32_e32 v9, v10, v9
	s_or_b64 exec, exec, s[76:77]
	s_and_saveexec_b64 s[76:77], s[56:57]
	s_cbranch_execnz .LBB34_103
.LBB34_71:                              ;   in Loop: Header=BB34_41 Depth=1
	s_or_b64 exec, exec, s[76:77]
	s_and_saveexec_b64 s[76:77], s[58:59]
	s_cbranch_execz .LBB34_104
.LBB34_72:                              ;   in Loop: Header=BB34_41 Depth=1
	v_mov_b32_e32 v10, s75
	ds_read_b32 v10, v10
	s_waitcnt lgkmcnt(0)
	v_add_u32_e32 v9, v10, v9
	s_or_b64 exec, exec, s[76:77]
	s_and_saveexec_b64 s[76:77], s[64:65]
	s_cbranch_execnz .LBB34_105
.LBB34_73:                              ;   in Loop: Header=BB34_41 Depth=1
	s_or_b64 exec, exec, s[76:77]
	s_and_saveexec_b64 s[64:65], vcc
	s_cbranch_execz .LBB34_40
	s_branch .LBB34_106
.LBB34_74:                              ;   in Loop: Header=BB34_41 Depth=1
	s_or_b64 exec, exec, s[76:77]
	s_and_saveexec_b64 s[76:77], s[62:63]
	s_cbranch_execz .LBB34_43
.LBB34_75:                              ;   in Loop: Header=BB34_41 Depth=1
	v_readlane_b32 s80, v22, 13
	s_nop 1
	v_mov_b32_e32 v10, s80
	ds_read_b32 v10, v10
	s_waitcnt lgkmcnt(0)
	v_add_u32_e32 v9, v10, v9
	s_or_b64 exec, exec, s[76:77]
	s_and_saveexec_b64 s[76:77], s[0:1]
	s_cbranch_execnz .LBB34_44
.LBB34_76:                              ;   in Loop: Header=BB34_41 Depth=1
	s_or_b64 exec, exec, s[76:77]
	s_and_saveexec_b64 s[76:77], s[2:3]
	s_cbranch_execz .LBB34_45
.LBB34_77:                              ;   in Loop: Header=BB34_41 Depth=1
	v_readlane_b32 s80, v22, 15
	s_nop 1
	v_mov_b32_e32 v10, s80
	ds_read_b32 v10, v10
	s_waitcnt lgkmcnt(0)
	v_add_u32_e32 v9, v10, v9
	s_or_b64 exec, exec, s[76:77]
	s_and_saveexec_b64 s[76:77], s[4:5]
	s_cbranch_execnz .LBB34_46
.LBB34_78:                              ;   in Loop: Header=BB34_41 Depth=1
	s_or_b64 exec, exec, s[76:77]
	s_and_saveexec_b64 s[76:77], s[6:7]
	s_cbranch_execz .LBB34_47
.LBB34_79:                              ;   in Loop: Header=BB34_41 Depth=1
	v_readlane_b32 s80, v22, 16
	s_nop 1
	v_mov_b32_e32 v10, s80
	ds_read_b32 v10, v10
	s_waitcnt lgkmcnt(0)
	v_add_u32_e32 v9, v10, v9
	s_or_b64 exec, exec, s[76:77]
	s_and_saveexec_b64 s[76:77], s[8:9]
	s_cbranch_execnz .LBB34_48
.LBB34_80:                              ;   in Loop: Header=BB34_41 Depth=1
	s_or_b64 exec, exec, s[76:77]
	s_and_saveexec_b64 s[76:77], s[10:11]
	s_cbranch_execz .LBB34_49
.LBB34_81:                              ;   in Loop: Header=BB34_41 Depth=1
	v_mov_b32_e32 v10, s83
	ds_read_b32 v10, v10
	s_waitcnt lgkmcnt(0)
	v_add_u32_e32 v9, v10, v9
	s_or_b64 exec, exec, s[76:77]
	s_and_saveexec_b64 s[76:77], s[12:13]
	s_cbranch_execnz .LBB34_50
.LBB34_82:                              ;   in Loop: Header=BB34_41 Depth=1
	s_or_b64 exec, exec, s[76:77]
	s_and_saveexec_b64 s[76:77], s[14:15]
	s_cbranch_execz .LBB34_51
.LBB34_83:                              ;   in Loop: Header=BB34_41 Depth=1
	v_mov_b32_e32 v10, s85
	ds_read_b32 v10, v10
	s_waitcnt lgkmcnt(0)
	v_add_u32_e32 v9, v10, v9
	s_or_b64 exec, exec, s[76:77]
	s_and_saveexec_b64 s[76:77], s[16:17]
	s_cbranch_execnz .LBB34_52
.LBB34_84:                              ;   in Loop: Header=BB34_41 Depth=1
	s_or_b64 exec, exec, s[76:77]
	s_and_saveexec_b64 s[76:77], s[18:19]
	s_cbranch_execz .LBB34_53
.LBB34_85:                              ;   in Loop: Header=BB34_41 Depth=1
	v_mov_b32_e32 v10, s87
	ds_read_b32 v10, v10
	s_waitcnt lgkmcnt(0)
	v_add_u32_e32 v9, v10, v9
	s_or_b64 exec, exec, s[76:77]
	s_and_saveexec_b64 s[76:77], s[20:21]
	s_cbranch_execnz .LBB34_54
.LBB34_86:                              ;   in Loop: Header=BB34_41 Depth=1
	s_or_b64 exec, exec, s[76:77]
	s_and_saveexec_b64 s[76:77], s[22:23]
	s_cbranch_execz .LBB34_55
.LBB34_87:                              ;   in Loop: Header=BB34_41 Depth=1
	v_mov_b32_e32 v10, s89
	ds_read_b32 v10, v10
	s_waitcnt lgkmcnt(0)
	v_add_u32_e32 v9, v10, v9
	s_or_b64 exec, exec, s[76:77]
	s_and_saveexec_b64 s[76:77], s[24:25]
	s_cbranch_execnz .LBB34_56
.LBB34_88:                              ;   in Loop: Header=BB34_41 Depth=1
	s_or_b64 exec, exec, s[76:77]
	s_and_saveexec_b64 s[76:77], s[26:27]
	s_cbranch_execz .LBB34_57
.LBB34_89:                              ;   in Loop: Header=BB34_41 Depth=1
	v_mov_b32_e32 v10, s91
	ds_read_b32 v10, v10
	s_waitcnt lgkmcnt(0)
	v_add_u32_e32 v9, v10, v9
	s_or_b64 exec, exec, s[76:77]
	s_and_saveexec_b64 s[76:77], s[28:29]
	s_cbranch_execnz .LBB34_58
.LBB34_90:                              ;   in Loop: Header=BB34_41 Depth=1
	s_or_b64 exec, exec, s[76:77]
	s_and_saveexec_b64 s[76:77], s[30:31]
	s_cbranch_execz .LBB34_59
.LBB34_91:                              ;   in Loop: Header=BB34_41 Depth=1
	v_mov_b32_e32 v10, s93
	ds_read_b32 v10, v10
	s_waitcnt lgkmcnt(0)
	v_add_u32_e32 v9, v10, v9
	s_or_b64 exec, exec, s[76:77]
	s_and_saveexec_b64 s[76:77], s[34:35]
	s_cbranch_execnz .LBB34_60
.LBB34_92:                              ;   in Loop: Header=BB34_41 Depth=1
	s_or_b64 exec, exec, s[76:77]
	s_and_saveexec_b64 s[76:77], s[36:37]
	s_cbranch_execz .LBB34_61
.LBB34_93:                              ;   in Loop: Header=BB34_41 Depth=1
	v_mov_b32_e32 v10, s95
	ds_read_b32 v10, v10
	s_waitcnt lgkmcnt(0)
	v_add_u32_e32 v9, v10, v9
	s_or_b64 exec, exec, s[76:77]
	s_and_saveexec_b64 s[76:77], s[38:39]
	s_cbranch_execnz .LBB34_62
.LBB34_94:                              ;   in Loop: Header=BB34_41 Depth=1
	s_or_b64 exec, exec, s[76:77]
	s_and_saveexec_b64 s[76:77], s[40:41]
	s_cbranch_execz .LBB34_63
.LBB34_95:                              ;   in Loop: Header=BB34_41 Depth=1
	v_mov_b32_e32 v10, s97
	ds_read_b32 v10, v10
	s_waitcnt lgkmcnt(0)
	v_add_u32_e32 v9, v10, v9
	s_or_b64 exec, exec, s[76:77]
	s_and_saveexec_b64 s[76:77], s[42:43]
	s_cbranch_execnz .LBB34_64
.LBB34_96:                              ;   in Loop: Header=BB34_41 Depth=1
	s_or_b64 exec, exec, s[76:77]
	s_and_saveexec_b64 s[76:77], s[44:45]
	s_cbranch_execz .LBB34_65
.LBB34_97:                              ;   in Loop: Header=BB34_41 Depth=1
	v_mov_b32_e32 v10, s99
	ds_read_b32 v10, v10
	s_waitcnt lgkmcnt(0)
	v_add_u32_e32 v9, v10, v9
	s_or_b64 exec, exec, s[76:77]
	s_and_saveexec_b64 s[76:77], s[46:47]
	s_cbranch_execnz .LBB34_66
.LBB34_98:                              ;   in Loop: Header=BB34_41 Depth=1
	s_or_b64 exec, exec, s[76:77]
	s_and_saveexec_b64 s[76:77], s[48:49]
	s_cbranch_execz .LBB34_67
.LBB34_99:                              ;   in Loop: Header=BB34_41 Depth=1
	v_mov_b32_e32 v10, s72
	ds_read_b32 v10, v10
	s_waitcnt lgkmcnt(0)
	v_add_u32_e32 v9, v10, v9
	s_or_b64 exec, exec, s[76:77]
	s_and_saveexec_b64 s[76:77], s[50:51]
	s_cbranch_execnz .LBB34_68
.LBB34_100:                             ;   in Loop: Header=BB34_41 Depth=1
	s_or_b64 exec, exec, s[76:77]
	s_and_saveexec_b64 s[76:77], s[52:53]
	s_cbranch_execz .LBB34_69
.LBB34_101:                             ;   in Loop: Header=BB34_41 Depth=1
	v_mov_b32_e32 v10, s66
	ds_read_b32 v10, v10
	s_waitcnt lgkmcnt(0)
	v_add_u32_e32 v9, v10, v9
	s_or_b64 exec, exec, s[76:77]
	s_and_saveexec_b64 s[76:77], s[54:55]
	s_cbranch_execnz .LBB34_70
.LBB34_102:                             ;   in Loop: Header=BB34_41 Depth=1
	s_or_b64 exec, exec, s[76:77]
	s_and_saveexec_b64 s[76:77], s[56:57]
	s_cbranch_execz .LBB34_71
.LBB34_103:                             ;   in Loop: Header=BB34_41 Depth=1
	v_mov_b32_e32 v10, s71
	ds_read_b32 v10, v10
	s_waitcnt lgkmcnt(0)
	v_add_u32_e32 v9, v10, v9
	s_or_b64 exec, exec, s[76:77]
	s_and_saveexec_b64 s[76:77], s[58:59]
	s_cbranch_execnz .LBB34_72
.LBB34_104:                             ;   in Loop: Header=BB34_41 Depth=1
	s_or_b64 exec, exec, s[76:77]
	s_and_saveexec_b64 s[76:77], s[64:65]
	s_cbranch_execz .LBB34_73
.LBB34_105:                             ;   in Loop: Header=BB34_41 Depth=1
	v_add3_u32 v10, v7, -1, v9
	v_lshl_add_u32 v10, v10, 2, 0
	v_add_u32_e32 v11, v7, v9
	v_lshl_add_u32 v11, v11, 3, 0
	ds_write_b32 v10, v8
	ds_write_b64 v11, v[4:5] offset:65528
	s_or_b64 exec, exec, s[76:77]
	s_and_saveexec_b64 s[64:65], vcc
	s_cbranch_execz .LBB34_40
.LBB34_106:                             ;   in Loop: Header=BB34_41 Depth=1
	v_mov_b32_e32 v4, s78
	ds_write_b32 v4, v9
	s_branch .LBB34_40
.LBB34_107:
	s_or_b64 exec, exec, s[68:69]
	v_readlane_b32 s0, v22, 10
	v_readlane_b32 s1, v22, 11
	;; [unrolled: 1-line block ×3, first 2 shown]
	s_ashr_i32 s1, s0, 31
	v_readlane_b32 s6, v22, 4
	v_readlane_b32 s7, v22, 5
	;; [unrolled: 1-line block ×4, first 2 shown]
	s_lshl_b64 s[0:1], s[0:1], 2
	s_mov_b64 s[6:7], s[10:11]
	s_add_u32 s2, s6, s0
	s_addc_u32 s3, s7, s1
	s_load_dwordx2 s[0:1], s[2:3], 0x0
	v_readlane_b32 s5, v22, 3
	v_readlane_b32 s8, v22, 6
	;; [unrolled: 1-line block ×3, first 2 shown]
	s_waitcnt lgkmcnt(0)
	s_sub_i32 s14, s1, s0
	v_cmp_gt_i32_e32 vcc, s14, v0
	s_and_saveexec_b64 s[2:3], vcc
	s_cbranch_execz .LBB34_121
; %bb.108:
	s_sub_i32 s8, s0, s70
	v_sub_co_u32_e64 v1, s[0:1], s14, 2
	s_nop 0
	v_readfirstlane_b32 s2, v1
	s_lshr_b32 s2, s2, 1
	s_add_i32 s2, s2, 1
	s_xor_b64 s[0:1], s[0:1], -1
	s_and_b32 s15, s14, -2
	s_and_b32 s3, s2, 7
	s_and_b32 s16, s2, -8
	s_cmp_lg_u32 s3, 0
	v_cmp_lt_u32_e32 vcc, 13, v1
	s_cselect_b64 s[4:5], -1, 0
	s_cmp_lg_u32 s14, s15
	v_cndmask_b32_e64 v1, 0, 1, vcc
	s_cselect_b64 s[10:11], -1, 0
	s_lshl_b32 s17, s3, 3
	v_cndmask_b32_e64 v2, 0, 1, s[0:1]
	v_cmp_ne_u32_e64 s[2:3], 1, v1
	v_cndmask_b32_e64 v1, 0, 1, s[4:5]
	s_mov_b32 s9, 0
	s_mov_b64 s[12:13], 0
	v_cmp_ne_u32_e64 s[0:1], 1, v2
	v_cmp_ne_u32_e64 s[4:5], 1, v1
	s_branch .LBB34_110
.LBB34_109:                             ;   in Loop: Header=BB34_110 Depth=1
	v_readlane_b32 s6, v22, 0
	v_add_u32_e32 v0, 0x400, v0
	v_ashrrev_i32_e32 v5, 31, v4
	v_readlane_b32 s7, v22, 1
	v_cmp_le_i32_e32 vcc, s14, v0
	s_or_b64 s[12:13], vcc, s[12:13]
	v_lshl_add_u64 v[4:5], v[4:5], 3, s[6:7]
	s_waitcnt lgkmcnt(0)
	global_store_dwordx2 v[4:5], v[2:3], off
	s_andn2_b64 exec, exec, s[12:13]
	s_cbranch_execz .LBB34_121
.LBB34_110:                             ; =>This Loop Header: Depth=1
                                        ;     Child Loop BB34_113 Depth 2
                                        ;     Child Loop BB34_116 Depth 2
	;; [unrolled: 1-line block ×3, first 2 shown]
	v_lshl_add_u32 v2, v0, 3, 0
	v_lshl_add_u32 v1, v0, 2, 0
	v_add_u32_e32 v2, 0x10000, v2
	ds_read_b32 v1, v1
	ds_read_b64 v[2:3], v2
	s_and_b64 vcc, exec, s[0:1]
	v_mov_b32_e32 v4, s8
	s_mov_b32 s18, 0
	s_mov_b64 s[6:7], -1
	s_cbranch_vccnz .LBB34_118
; %bb.111:                              ;   in Loop: Header=BB34_110 Depth=1
	s_and_b64 vcc, exec, s[2:3]
	v_mov_b64_e32 v[4:5], s[8:9]
	s_cbranch_vccnz .LBB34_114
; %bb.112:                              ;   in Loop: Header=BB34_110 Depth=1
	s_mov_b32 s19, 0
	v_mov_b32_e32 v4, s8
	v_mov_b32_e32 v5, 0
	s_mov_b32 s20, s16
.LBB34_113:                             ;   Parent Loop BB34_110 Depth=1
                                        ; =>  This Inner Loop Header: Depth=2
	v_mov_b32_e32 v20, s19
	ds_read2_b32 v[6:7], v20 offset1:1
	ds_read2_b32 v[8:9], v20 offset0:2 offset1:3
	ds_read2_b32 v[10:11], v20 offset0:4 offset1:5
	;; [unrolled: 1-line block ×7, first 2 shown]
	s_waitcnt lgkmcnt(7)
	v_cmp_gt_i32_e32 vcc, v1, v7
	s_waitcnt lgkmcnt(5)
	v_cmp_gt_i32_e64 s[6:7], v1, v10
	s_add_i32 s18, s18, 16
	v_cndmask_b32_e64 v7, 0, 1, vcc
	v_cmp_gt_i32_e32 vcc, v1, v6
	s_add_i32 s19, s19, 64
	s_add_i32 s20, s20, -8
	v_cndmask_b32_e64 v6, 0, 1, vcc
	v_cmp_gt_i32_e32 vcc, v1, v9
	v_cndmask_b32_e64 v9, 0, 1, s[6:7]
	v_cmp_gt_i32_e64 s[6:7], v1, v11
	v_addc_co_u32_e32 v5, vcc, v5, v7, vcc
	s_nop 0
	v_cndmask_b32_e64 v10, 0, 1, s[6:7]
	s_waitcnt lgkmcnt(3)
	v_cmp_gt_i32_e64 s[6:7], v1, v15
	v_cmp_gt_i32_e32 vcc, v1, v12
	s_cmp_lg_u32 s20, 0
	v_cndmask_b32_e64 v11, 0, 1, s[6:7]
	v_cmp_gt_i32_e64 s[6:7], v1, v14
	s_nop 1
	v_cndmask_b32_e64 v14, 0, 1, s[6:7]
	s_waitcnt lgkmcnt(1)
	v_cmp_gt_i32_e64 s[6:7], v1, v18
	s_nop 1
	v_cndmask_b32_e64 v15, 0, 1, s[6:7]
	v_cmp_gt_i32_e64 s[6:7], v1, v19
	s_nop 1
	v_cndmask_b32_e64 v18, 0, 1, s[6:7]
	v_cmp_gt_i32_e64 s[6:7], v1, v8
	s_nop 1
	v_addc_co_u32_e64 v4, s[6:7], v4, v6, s[6:7]
	v_cmp_gt_i32_e64 s[6:7], v1, v13
	v_addc_co_u32_e32 v4, vcc, v4, v9, vcc
	s_nop 0
	v_addc_co_u32_e64 v5, s[6:7], v5, v10, s[6:7]
	v_cmp_gt_i32_e32 vcc, v1, v17
	v_cmp_gt_i32_e64 s[6:7], v1, v16
	s_nop 0
	v_addc_co_u32_e32 v5, vcc, v5, v11, vcc
	v_addc_co_u32_e64 v4, s[6:7], v4, v14, s[6:7]
	s_waitcnt lgkmcnt(0)
	v_cmp_gt_i32_e32 vcc, v1, v20
	v_cmp_gt_i32_e64 s[6:7], v1, v21
	s_nop 0
	v_addc_co_u32_e32 v4, vcc, v4, v15, vcc
	v_addc_co_u32_e64 v5, s[6:7], v5, v18, s[6:7]
	s_cbranch_scc1 .LBB34_113
.LBB34_114:                             ;   in Loop: Header=BB34_110 Depth=1
	s_and_b64 vcc, exec, s[4:5]
	s_cbranch_vccnz .LBB34_117
; %bb.115:                              ;   in Loop: Header=BB34_110 Depth=1
	s_lshl_b32 s6, s18, 2
	s_add_i32 s6, s6, 0
	s_mov_b32 s7, s17
.LBB34_116:                             ;   Parent Loop BB34_110 Depth=1
                                        ; =>  This Inner Loop Header: Depth=2
	v_mov_b32_e32 v6, s6
	ds_read2_b32 v[6:7], v6 offset1:1
	s_add_i32 s6, s6, 8
	s_add_i32 s7, s7, -8
	s_cmp_lg_u32 s7, 0
	s_waitcnt lgkmcnt(0)
	v_cmp_gt_i32_e32 vcc, v1, v7
	s_nop 1
	v_addc_co_u32_e32 v5, vcc, 0, v5, vcc
	v_cmp_gt_i32_e32 vcc, v1, v6
	s_nop 1
	v_addc_co_u32_e32 v4, vcc, 0, v4, vcc
	s_cbranch_scc1 .LBB34_116
.LBB34_117:                             ;   in Loop: Header=BB34_110 Depth=1
	v_add_u32_e32 v4, v4, v5
	s_mov_b32 s18, s15
	s_mov_b64 s[6:7], s[10:11]
.LBB34_118:                             ;   in Loop: Header=BB34_110 Depth=1
	s_and_b64 vcc, exec, s[6:7]
	s_cbranch_vccz .LBB34_109
; %bb.119:                              ;   in Loop: Header=BB34_110 Depth=1
	s_lshl_b32 s6, s18, 2
	s_add_i32 s6, s6, 0
.LBB34_120:                             ;   Parent Loop BB34_110 Depth=1
                                        ; =>  This Inner Loop Header: Depth=2
	v_mov_b32_e32 v5, s6
	ds_read_b32 v5, v5
	s_add_i32 s18, s18, 1
	s_add_i32 s6, s6, 4
	s_cmp_ge_i32 s18, s14
	s_waitcnt lgkmcnt(0)
	v_cmp_gt_i32_e32 vcc, v1, v5
	s_nop 1
	v_addc_co_u32_e32 v4, vcc, 0, v4, vcc
	s_cbranch_scc0 .LBB34_120
	s_branch .LBB34_109
.LBB34_121:
	s_endpgm
	.section	.rodata,"a",@progbits
	.p2align	6, 0x0
	.amdhsa_kernel _ZN9rocsparseL41csrgemm_numeric_fill_block_per_row_kernelILj1024ELj64ELj16384ELj137ELj32EiidEEvT5_PKS1_S3_NS_24const_host_device_scalarIT6_EEPKT4_S3_PKS5_S9_S3_SB_S6_S9_S3_SB_S9_S3_PS5_21rocsparse_index_base_SD_SD_SD_bbb
		.amdhsa_group_segment_fixed_size 0
		.amdhsa_private_segment_fixed_size 0
		.amdhsa_kernarg_size 156
		.amdhsa_user_sgpr_count 2
		.amdhsa_user_sgpr_dispatch_ptr 0
		.amdhsa_user_sgpr_queue_ptr 0
		.amdhsa_user_sgpr_kernarg_segment_ptr 1
		.amdhsa_user_sgpr_dispatch_id 0
		.amdhsa_user_sgpr_kernarg_preload_length 0
		.amdhsa_user_sgpr_kernarg_preload_offset 0
		.amdhsa_user_sgpr_private_segment_size 0
		.amdhsa_uses_dynamic_stack 0
		.amdhsa_enable_private_segment 0
		.amdhsa_system_sgpr_workgroup_id_x 1
		.amdhsa_system_sgpr_workgroup_id_y 0
		.amdhsa_system_sgpr_workgroup_id_z 0
		.amdhsa_system_sgpr_workgroup_info 0
		.amdhsa_system_vgpr_workitem_id 0
		.amdhsa_next_free_vgpr 23
		.amdhsa_next_free_sgpr 100
		.amdhsa_accum_offset 24
		.amdhsa_reserve_vcc 1
		.amdhsa_float_round_mode_32 0
		.amdhsa_float_round_mode_16_64 0
		.amdhsa_float_denorm_mode_32 3
		.amdhsa_float_denorm_mode_16_64 3
		.amdhsa_dx10_clamp 1
		.amdhsa_ieee_mode 1
		.amdhsa_fp16_overflow 0
		.amdhsa_tg_split 0
		.amdhsa_exception_fp_ieee_invalid_op 0
		.amdhsa_exception_fp_denorm_src 0
		.amdhsa_exception_fp_ieee_div_zero 0
		.amdhsa_exception_fp_ieee_overflow 0
		.amdhsa_exception_fp_ieee_underflow 0
		.amdhsa_exception_fp_ieee_inexact 0
		.amdhsa_exception_int_div_zero 0
	.end_amdhsa_kernel
	.section	.text._ZN9rocsparseL41csrgemm_numeric_fill_block_per_row_kernelILj1024ELj64ELj16384ELj137ELj32EiidEEvT5_PKS1_S3_NS_24const_host_device_scalarIT6_EEPKT4_S3_PKS5_S9_S3_SB_S6_S9_S3_SB_S9_S3_PS5_21rocsparse_index_base_SD_SD_SD_bbb,"axG",@progbits,_ZN9rocsparseL41csrgemm_numeric_fill_block_per_row_kernelILj1024ELj64ELj16384ELj137ELj32EiidEEvT5_PKS1_S3_NS_24const_host_device_scalarIT6_EEPKT4_S3_PKS5_S9_S3_SB_S6_S9_S3_SB_S9_S3_PS5_21rocsparse_index_base_SD_SD_SD_bbb,comdat
.Lfunc_end34:
	.size	_ZN9rocsparseL41csrgemm_numeric_fill_block_per_row_kernelILj1024ELj64ELj16384ELj137ELj32EiidEEvT5_PKS1_S3_NS_24const_host_device_scalarIT6_EEPKT4_S3_PKS5_S9_S3_SB_S6_S9_S3_SB_S9_S3_PS5_21rocsparse_index_base_SD_SD_SD_bbb, .Lfunc_end34-_ZN9rocsparseL41csrgemm_numeric_fill_block_per_row_kernelILj1024ELj64ELj16384ELj137ELj32EiidEEvT5_PKS1_S3_NS_24const_host_device_scalarIT6_EEPKT4_S3_PKS5_S9_S3_SB_S6_S9_S3_SB_S9_S3_PS5_21rocsparse_index_base_SD_SD_SD_bbb
                                        ; -- End function
	.set _ZN9rocsparseL41csrgemm_numeric_fill_block_per_row_kernelILj1024ELj64ELj16384ELj137ELj32EiidEEvT5_PKS1_S3_NS_24const_host_device_scalarIT6_EEPKT4_S3_PKS5_S9_S3_SB_S6_S9_S3_SB_S9_S3_PS5_21rocsparse_index_base_SD_SD_SD_bbb.num_vgpr, 23
	.set _ZN9rocsparseL41csrgemm_numeric_fill_block_per_row_kernelILj1024ELj64ELj16384ELj137ELj32EiidEEvT5_PKS1_S3_NS_24const_host_device_scalarIT6_EEPKT4_S3_PKS5_S9_S3_SB_S6_S9_S3_SB_S9_S3_PS5_21rocsparse_index_base_SD_SD_SD_bbb.num_agpr, 0
	.set _ZN9rocsparseL41csrgemm_numeric_fill_block_per_row_kernelILj1024ELj64ELj16384ELj137ELj32EiidEEvT5_PKS1_S3_NS_24const_host_device_scalarIT6_EEPKT4_S3_PKS5_S9_S3_SB_S6_S9_S3_SB_S9_S3_PS5_21rocsparse_index_base_SD_SD_SD_bbb.numbered_sgpr, 100
	.set _ZN9rocsparseL41csrgemm_numeric_fill_block_per_row_kernelILj1024ELj64ELj16384ELj137ELj32EiidEEvT5_PKS1_S3_NS_24const_host_device_scalarIT6_EEPKT4_S3_PKS5_S9_S3_SB_S6_S9_S3_SB_S9_S3_PS5_21rocsparse_index_base_SD_SD_SD_bbb.num_named_barrier, 0
	.set _ZN9rocsparseL41csrgemm_numeric_fill_block_per_row_kernelILj1024ELj64ELj16384ELj137ELj32EiidEEvT5_PKS1_S3_NS_24const_host_device_scalarIT6_EEPKT4_S3_PKS5_S9_S3_SB_S6_S9_S3_SB_S9_S3_PS5_21rocsparse_index_base_SD_SD_SD_bbb.private_seg_size, 0
	.set _ZN9rocsparseL41csrgemm_numeric_fill_block_per_row_kernelILj1024ELj64ELj16384ELj137ELj32EiidEEvT5_PKS1_S3_NS_24const_host_device_scalarIT6_EEPKT4_S3_PKS5_S9_S3_SB_S6_S9_S3_SB_S9_S3_PS5_21rocsparse_index_base_SD_SD_SD_bbb.uses_vcc, 1
	.set _ZN9rocsparseL41csrgemm_numeric_fill_block_per_row_kernelILj1024ELj64ELj16384ELj137ELj32EiidEEvT5_PKS1_S3_NS_24const_host_device_scalarIT6_EEPKT4_S3_PKS5_S9_S3_SB_S6_S9_S3_SB_S9_S3_PS5_21rocsparse_index_base_SD_SD_SD_bbb.uses_flat_scratch, 0
	.set _ZN9rocsparseL41csrgemm_numeric_fill_block_per_row_kernelILj1024ELj64ELj16384ELj137ELj32EiidEEvT5_PKS1_S3_NS_24const_host_device_scalarIT6_EEPKT4_S3_PKS5_S9_S3_SB_S6_S9_S3_SB_S9_S3_PS5_21rocsparse_index_base_SD_SD_SD_bbb.has_dyn_sized_stack, 0
	.set _ZN9rocsparseL41csrgemm_numeric_fill_block_per_row_kernelILj1024ELj64ELj16384ELj137ELj32EiidEEvT5_PKS1_S3_NS_24const_host_device_scalarIT6_EEPKT4_S3_PKS5_S9_S3_SB_S6_S9_S3_SB_S9_S3_PS5_21rocsparse_index_base_SD_SD_SD_bbb.has_recursion, 0
	.set _ZN9rocsparseL41csrgemm_numeric_fill_block_per_row_kernelILj1024ELj64ELj16384ELj137ELj32EiidEEvT5_PKS1_S3_NS_24const_host_device_scalarIT6_EEPKT4_S3_PKS5_S9_S3_SB_S6_S9_S3_SB_S9_S3_PS5_21rocsparse_index_base_SD_SD_SD_bbb.has_indirect_call, 0
	.section	.AMDGPU.csdata,"",@progbits
; Kernel info:
; codeLenInByte = 4976
; TotalNumSgprs: 106
; NumVgprs: 23
; NumAgprs: 0
; TotalNumVgprs: 23
; ScratchSize: 0
; MemoryBound: 0
; FloatMode: 240
; IeeeMode: 1
; LDSByteSize: 0 bytes/workgroup (compile time only)
; SGPRBlocks: 13
; VGPRBlocks: 2
; NumSGPRsForWavesPerEU: 106
; NumVGPRsForWavesPerEU: 23
; AccumOffset: 24
; Occupancy: 7
; WaveLimiterHint : 1
; COMPUTE_PGM_RSRC2:SCRATCH_EN: 0
; COMPUTE_PGM_RSRC2:USER_SGPR: 2
; COMPUTE_PGM_RSRC2:TRAP_HANDLER: 0
; COMPUTE_PGM_RSRC2:TGID_X_EN: 1
; COMPUTE_PGM_RSRC2:TGID_Y_EN: 0
; COMPUTE_PGM_RSRC2:TGID_Z_EN: 0
; COMPUTE_PGM_RSRC2:TIDIG_COMP_CNT: 0
; COMPUTE_PGM_RSRC3_GFX90A:ACCUM_OFFSET: 5
; COMPUTE_PGM_RSRC3_GFX90A:TG_SPLIT: 0
	.section	.text._ZN9rocsparseL41csrgemm_numeric_fill_block_per_row_kernelILj1024ELj64ELj16384ELj137ELj64EiidEEvT5_PKS1_S3_NS_24const_host_device_scalarIT6_EEPKT4_S3_PKS5_S9_S3_SB_S6_S9_S3_SB_S9_S3_PS5_21rocsparse_index_base_SD_SD_SD_bbb,"axG",@progbits,_ZN9rocsparseL41csrgemm_numeric_fill_block_per_row_kernelILj1024ELj64ELj16384ELj137ELj64EiidEEvT5_PKS1_S3_NS_24const_host_device_scalarIT6_EEPKT4_S3_PKS5_S9_S3_SB_S6_S9_S3_SB_S9_S3_PS5_21rocsparse_index_base_SD_SD_SD_bbb,comdat
	.globl	_ZN9rocsparseL41csrgemm_numeric_fill_block_per_row_kernelILj1024ELj64ELj16384ELj137ELj64EiidEEvT5_PKS1_S3_NS_24const_host_device_scalarIT6_EEPKT4_S3_PKS5_S9_S3_SB_S6_S9_S3_SB_S9_S3_PS5_21rocsparse_index_base_SD_SD_SD_bbb ; -- Begin function _ZN9rocsparseL41csrgemm_numeric_fill_block_per_row_kernelILj1024ELj64ELj16384ELj137ELj64EiidEEvT5_PKS1_S3_NS_24const_host_device_scalarIT6_EEPKT4_S3_PKS5_S9_S3_SB_S6_S9_S3_SB_S9_S3_PS5_21rocsparse_index_base_SD_SD_SD_bbb
	.p2align	8
	.type	_ZN9rocsparseL41csrgemm_numeric_fill_block_per_row_kernelILj1024ELj64ELj16384ELj137ELj64EiidEEvT5_PKS1_S3_NS_24const_host_device_scalarIT6_EEPKT4_S3_PKS5_S9_S3_SB_S6_S9_S3_SB_S9_S3_PS5_21rocsparse_index_base_SD_SD_SD_bbb,@function
_ZN9rocsparseL41csrgemm_numeric_fill_block_per_row_kernelILj1024ELj64ELj16384ELj137ELj64EiidEEvT5_PKS1_S3_NS_24const_host_device_scalarIT6_EEPKT4_S3_PKS5_S9_S3_SB_S6_S9_S3_SB_S9_S3_PS5_21rocsparse_index_base_SD_SD_SD_bbb: ; @_ZN9rocsparseL41csrgemm_numeric_fill_block_per_row_kernelILj1024ELj64ELj16384ELj137ELj64EiidEEvT5_PKS1_S3_NS_24const_host_device_scalarIT6_EEPKT4_S3_PKS5_S9_S3_SB_S6_S9_S3_SB_S9_S3_PS5_21rocsparse_index_base_SD_SD_SD_bbb
; %bb.0:
	s_load_dword s3, s[0:1], 0x98
	s_load_dwordx4 s[44:47], s[0:1], 0x88
	s_load_dwordx2 s[4:5], s[0:1], 0x18
	s_load_dwordx2 s[24:25], s[0:1], 0x50
	s_waitcnt lgkmcnt(0)
	s_bitcmp1_b32 s3, 0
	s_cselect_b64 s[22:23], -1, 0
	s_bitcmp1_b32 s3, 16
	s_cselect_b64 s[26:27], -1, 0
	s_xor_b64 s[6:7], s[22:23], -1
	s_or_b64 s[6:7], s[26:27], s[6:7]
	s_and_b64 s[8:9], s[22:23], exec
	s_cselect_b32 s9, s5, 0
	s_cselect_b32 s8, s4, 0
	s_and_b64 vcc, exec, s[6:7]
	v_mov_b64_e32 v[4:5], s[8:9]
	s_cbranch_vccnz .LBB35_2
; %bb.1:
	v_mov_b64_e32 v[2:3], s[4:5]
	flat_load_dwordx2 v[4:5], v[2:3]
.LBB35_2:
	s_load_dwordx2 s[34:35], s[0:1], 0x80
	s_load_dwordx8 s[36:43], s[0:1], 0x58
	s_load_dwordx4 s[12:15], s[0:1], 0x40
	s_load_dwordx4 s[16:19], s[0:1], 0x8
	s_load_dwordx8 s[4:11], s[0:1], 0x20
	s_bitcmp1_b32 s3, 8
	s_cselect_b64 s[20:21], -1, 0
	s_xor_b64 s[28:29], s[20:21], -1
	s_or_b64 s[26:27], s[26:27], s[28:29]
	s_and_b64 s[28:29], s[20:21], exec
	s_cselect_b32 s29, s25, 0
	s_cselect_b32 s28, s24, 0
	s_and_b64 vcc, exec, s[26:27]
	v_mov_b64_e32 v[2:3], s[28:29]
	s_cbranch_vccnz .LBB35_4
; %bb.3:
	v_mov_b64_e32 v[2:3], s[24:25]
	flat_load_dwordx2 v[2:3], v[2:3]
.LBB35_4:
	s_load_dword s33, s[0:1], 0x0
	v_lshl_add_u32 v7, v0, 3, 0
	v_or_b32_e32 v1, 0xfffffc00, v0
	v_mov_b32_e32 v6, 0
	v_add_u32_e32 v14, 0x10000, v7
	v_lshl_add_u32 v15, v0, 2, 0
	s_mov_b64 s[0:1], 0
	s_waitcnt lgkmcnt(0)
	v_mov_b32_e32 v11, s33
	v_mov_b32_e32 v7, v6
	s_movk_i32 s3, 0x3bff
	v_mov_b32_e32 v8, v15
	v_mov_b32_e32 v9, v14
	;; [unrolled: 1-line block ×3, first 2 shown]
.LBB35_5:                               ; =>This Inner Loop Header: Depth=1
	v_add_u32_e32 v10, 0x400, v10
	v_cmp_lt_u32_e32 vcc, s3, v10
	ds_write_b32 v8, v11
	ds_write_b64 v9, v[6:7]
	v_add_u32_e32 v9, 0x2000, v9
	s_or_b64 s[0:1], vcc, s[0:1]
	v_add_u32_e32 v8, 0x1000, v8
	s_andn2_b64 exec, exec, s[0:1]
	s_cbranch_execnz .LBB35_5
; %bb.6:
	s_or_b64 exec, exec, s[0:1]
	s_waitcnt lgkmcnt(0)
	s_barrier
	s_load_dword s0, s[16:17], 0x0
	s_mov_b32 s1, 0
	v_lshrrev_b32_e32 v16, 6, v0
	s_waitcnt lgkmcnt(0)
	s_add_i32 s0, s0, s2
	s_lshl_b64 s[0:1], s[0:1], 2
	s_add_u32 s0, s18, s0
	s_addc_u32 s1, s19, s1
	s_load_dword s48, s[0:1], 0x0
	s_and_b64 vcc, exec, s[22:23]
	s_cbranch_vccz .LBB35_24
; %bb.7:
	s_waitcnt lgkmcnt(0)
	s_ashr_i32 s49, s48, 31
	s_lshl_b64 s[0:1], s[48:49], 2
	s_add_u32 s0, s4, s0
	s_addc_u32 s1, s5, s1
	s_load_dwordx2 s[2:3], s[0:1], 0x0
	v_subrev_u32_e32 v6, s44, v16
	s_waitcnt lgkmcnt(0)
	s_sub_i32 s30, s3, s44
	v_add_u32_e32 v6, s2, v6
	v_cmp_gt_i32_e32 vcc, s30, v6
	s_and_saveexec_b64 s[0:1], vcc
	s_cbranch_execz .LBB35_23
; %bb.8:
	v_and_b32_e32 v7, 63, v0
	v_subrev_u32_e32 v17, s45, v7
	s_mov_b64 s[2:3], 0
	s_movk_i32 s31, 0x89
	s_branch .LBB35_10
.LBB35_9:                               ;   in Loop: Header=BB35_10 Depth=1
	s_or_b64 exec, exec, s[4:5]
	v_add_u32_e32 v6, 16, v6
	v_cmp_le_i32_e32 vcc, s30, v6
	s_or_b64 s[2:3], vcc, s[2:3]
	s_andn2_b64 exec, exec, s[2:3]
	s_cbranch_execz .LBB35_23
.LBB35_10:                              ; =>This Loop Header: Depth=1
                                        ;     Child Loop BB35_14 Depth 2
                                        ;       Child Loop BB35_17 Depth 3
	v_ashrrev_i32_e32 v7, 31, v6
	v_lshl_add_u64 v[8:9], v[6:7], 2, s[6:7]
	global_load_dword v8, v[8:9], off
	s_waitcnt vmcnt(0)
	v_subrev_u32_e32 v8, s44, v8
	v_ashrrev_i32_e32 v9, 31, v8
	v_lshl_add_u64 v[8:9], v[8:9], 2, s[10:11]
	global_load_dwordx2 v[8:9], v[8:9], off
	s_waitcnt vmcnt(0)
	v_subrev_u32_e32 v18, s45, v9
	v_add_u32_e32 v8, v8, v17
	v_cmp_lt_i32_e32 vcc, v8, v18
	s_and_saveexec_b64 s[4:5], vcc
	s_cbranch_execz .LBB35_9
; %bb.11:                               ;   in Loop: Header=BB35_10 Depth=1
	v_lshl_add_u64 v[10:11], v[6:7], 3, s[8:9]
	global_load_dwordx2 v[10:11], v[10:11], off
	s_mov_b64 s[16:17], 0
	s_waitcnt vmcnt(0)
	v_mul_f64 v[10:11], v[4:5], v[10:11]
	s_branch .LBB35_14
.LBB35_12:                              ;   in Loop: Header=BB35_14 Depth=2
	s_or_b64 exec, exec, s[22:23]
.LBB35_13:                              ;   in Loop: Header=BB35_14 Depth=2
	s_or_b64 exec, exec, s[18:19]
	v_lshl_add_u32 v7, v7, 3, 0
	s_waitcnt vmcnt(0)
	v_mul_f64 v[12:13], v[10:11], v[12:13]
	v_add_u32_e32 v7, 0x10000, v7
	ds_add_f64 v7, v[12:13]
	v_add_u32_e32 v8, 64, v8
	v_cmp_ge_i32_e32 vcc, v8, v18
	s_or_b64 s[16:17], vcc, s[16:17]
	s_andn2_b64 exec, exec, s[16:17]
	s_cbranch_execz .LBB35_9
.LBB35_14:                              ;   Parent Loop BB35_10 Depth=1
                                        ; =>  This Loop Header: Depth=2
                                        ;       Child Loop BB35_17 Depth 3
	v_ashrrev_i32_e32 v9, 31, v8
	v_lshl_add_u64 v[12:13], v[8:9], 2, s[12:13]
	global_load_dword v7, v[12:13], off
	v_lshl_add_u64 v[12:13], v[8:9], 3, s[14:15]
	global_load_dwordx2 v[12:13], v[12:13], off
	s_waitcnt vmcnt(1)
	v_subrev_u32_e32 v9, s45, v7
	v_mul_lo_u32 v7, v9, s31
	v_and_b32_e32 v7, 0x3fff, v7
	v_lshl_add_u32 v19, v7, 2, 0
	ds_read_b32 v20, v19
	s_waitcnt lgkmcnt(0)
	v_cmp_ne_u32_e32 vcc, v20, v9
	s_and_saveexec_b64 s[18:19], vcc
	s_cbranch_execz .LBB35_13
; %bb.15:                               ;   in Loop: Header=BB35_14 Depth=2
	s_mov_b64 s[22:23], 0
	s_branch .LBB35_17
.LBB35_16:                              ;   in Loop: Header=BB35_17 Depth=3
	s_or_b64 exec, exec, s[28:29]
	s_and_b64 s[24:25], exec, s[26:27]
	s_or_b64 s[22:23], s[24:25], s[22:23]
	s_andn2_b64 exec, exec, s[22:23]
	s_cbranch_execz .LBB35_12
.LBB35_17:                              ;   Parent Loop BB35_10 Depth=1
                                        ;     Parent Loop BB35_14 Depth=2
                                        ; =>    This Inner Loop Header: Depth=3
	v_cmp_ne_u32_e32 vcc, s33, v20
	s_mov_b64 s[24:25], 0
	s_and_saveexec_b64 s[26:27], vcc
	s_xor_b64 s[26:27], exec, s[26:27]
	s_cbranch_execz .LBB35_19
; %bb.18:                               ;   in Loop: Header=BB35_17 Depth=3
	v_add_u32_e32 v7, 1, v7
	s_mov_b64 s[24:25], exec
	v_and_b32_e32 v7, 0x3fff, v7
                                        ; implicit-def: $vgpr19
	s_andn2_saveexec_b64 s[26:27], s[26:27]
	s_cbranch_execz .LBB35_21
	s_branch .LBB35_20
.LBB35_19:                              ;   in Loop: Header=BB35_17 Depth=3
	s_andn2_saveexec_b64 s[26:27], s[26:27]
	s_cbranch_execz .LBB35_21
.LBB35_20:                              ;   in Loop: Header=BB35_17 Depth=3
	v_mov_b32_e32 v20, s33
	ds_cmpst_rtn_b32 v19, v19, v20, v9
	s_andn2_b64 s[24:25], s[24:25], exec
	s_waitcnt lgkmcnt(0)
	v_cmp_ne_u32_e32 vcc, s33, v19
	s_and_b64 s[28:29], vcc, exec
	s_or_b64 s[24:25], s[24:25], s[28:29]
.LBB35_21:                              ;   in Loop: Header=BB35_17 Depth=3
	s_or_b64 exec, exec, s[26:27]
	s_mov_b64 s[26:27], -1
                                        ; implicit-def: $vgpr19
                                        ; implicit-def: $vgpr20
	s_and_saveexec_b64 s[28:29], s[24:25]
	s_cbranch_execz .LBB35_16
; %bb.22:                               ;   in Loop: Header=BB35_17 Depth=3
	v_lshl_add_u32 v19, v7, 2, 0
	ds_read_b32 v20, v19
	s_waitcnt lgkmcnt(0)
	v_cmp_eq_u32_e32 vcc, v20, v9
	s_orn2_b64 s[26:27], vcc, exec
	s_branch .LBB35_16
.LBB35_23:
	s_or_b64 exec, exec, s[0:1]
.LBB35_24:
	s_andn2_b64 vcc, exec, s[20:21]
	s_cbranch_vccnz .LBB35_39
; %bb.25:
	s_waitcnt lgkmcnt(0)
	s_ashr_i32 s49, s48, 31
	s_lshl_b64 s[0:1], s[48:49], 2
	s_add_u32 s0, s36, s0
	s_addc_u32 s1, s37, s1
	s_load_dwordx2 s[2:3], s[0:1], 0x0
	s_waitcnt vmcnt(0)
	v_subrev_u32_e32 v4, s47, v0
	s_waitcnt lgkmcnt(0)
	s_sub_i32 s14, s3, s47
	v_add_u32_e32 v4, s2, v4
	v_cmp_gt_i32_e32 vcc, s14, v4
	s_and_saveexec_b64 s[0:1], vcc
	s_cbranch_execz .LBB35_38
; %bb.26:
	s_mov_b64 s[2:3], 0
	s_movk_i32 s15, 0x89
	s_branch .LBB35_29
.LBB35_27:                              ;   in Loop: Header=BB35_29 Depth=1
	s_or_b64 exec, exec, s[6:7]
.LBB35_28:                              ;   in Loop: Header=BB35_29 Depth=1
	s_or_b64 exec, exec, s[4:5]
	v_lshl_add_u32 v5, v5, 3, 0
	s_waitcnt vmcnt(0)
	v_mul_f64 v[6:7], v[2:3], v[6:7]
	v_add_u32_e32 v5, 0x10000, v5
	ds_add_f64 v5, v[6:7]
	v_add_u32_e32 v4, 0x400, v4
	v_cmp_le_i32_e32 vcc, s14, v4
	s_or_b64 s[2:3], vcc, s[2:3]
	s_andn2_b64 exec, exec, s[2:3]
	s_cbranch_execz .LBB35_38
.LBB35_29:                              ; =>This Loop Header: Depth=1
                                        ;     Child Loop BB35_32 Depth 2
	v_ashrrev_i32_e32 v5, 31, v4
	v_lshl_add_u64 v[6:7], v[4:5], 2, s[38:39]
	global_load_dword v8, v[6:7], off
	v_lshl_add_u64 v[6:7], v[4:5], 3, s[40:41]
	global_load_dwordx2 v[6:7], v[6:7], off
	s_waitcnt vmcnt(1)
	v_subrev_u32_e32 v8, s47, v8
	v_mul_lo_u32 v5, v8, s15
	v_and_b32_e32 v5, 0x3fff, v5
	v_lshl_add_u32 v9, v5, 2, 0
	ds_read_b32 v10, v9
	s_waitcnt lgkmcnt(0)
	v_cmp_ne_u32_e32 vcc, v10, v8
	s_and_saveexec_b64 s[4:5], vcc
	s_cbranch_execz .LBB35_28
; %bb.30:                               ;   in Loop: Header=BB35_29 Depth=1
	s_mov_b64 s[6:7], 0
	s_branch .LBB35_32
.LBB35_31:                              ;   in Loop: Header=BB35_32 Depth=2
	s_or_b64 exec, exec, s[12:13]
	s_and_b64 s[8:9], exec, s[10:11]
	s_or_b64 s[6:7], s[8:9], s[6:7]
	s_andn2_b64 exec, exec, s[6:7]
	s_cbranch_execz .LBB35_27
.LBB35_32:                              ;   Parent Loop BB35_29 Depth=1
                                        ; =>  This Inner Loop Header: Depth=2
	v_cmp_ne_u32_e32 vcc, s33, v10
	s_mov_b64 s[8:9], 0
	s_and_saveexec_b64 s[10:11], vcc
	s_xor_b64 s[10:11], exec, s[10:11]
	s_cbranch_execz .LBB35_34
; %bb.33:                               ;   in Loop: Header=BB35_32 Depth=2
	v_add_u32_e32 v5, 1, v5
	s_mov_b64 s[8:9], exec
	v_and_b32_e32 v5, 0x3fff, v5
                                        ; implicit-def: $vgpr9
	s_andn2_saveexec_b64 s[10:11], s[10:11]
	s_cbranch_execz .LBB35_36
	s_branch .LBB35_35
.LBB35_34:                              ;   in Loop: Header=BB35_32 Depth=2
	s_andn2_saveexec_b64 s[10:11], s[10:11]
	s_cbranch_execz .LBB35_36
.LBB35_35:                              ;   in Loop: Header=BB35_32 Depth=2
	v_mov_b32_e32 v10, s33
	ds_cmpst_rtn_b32 v9, v9, v10, v8
	s_andn2_b64 s[8:9], s[8:9], exec
	s_waitcnt lgkmcnt(0)
	v_cmp_ne_u32_e32 vcc, s33, v9
	s_and_b64 s[12:13], vcc, exec
	s_or_b64 s[8:9], s[8:9], s[12:13]
.LBB35_36:                              ;   in Loop: Header=BB35_32 Depth=2
	s_or_b64 exec, exec, s[10:11]
	s_mov_b64 s[10:11], -1
                                        ; implicit-def: $vgpr9
                                        ; implicit-def: $vgpr10
	s_and_saveexec_b64 s[12:13], s[8:9]
	s_cbranch_execz .LBB35_31
; %bb.37:                               ;   in Loop: Header=BB35_32 Depth=2
	v_lshl_add_u32 v9, v5, 2, 0
	ds_read_b32 v10, v9
	s_waitcnt lgkmcnt(0)
	v_cmp_eq_u32_e32 vcc, v10, v8
	s_orn2_b64 s[10:11], vcc, exec
	s_branch .LBB35_31
.LBB35_38:
	s_or_b64 exec, exec, s[0:1]
.LBB35_39:
	s_waitcnt vmcnt(0)
	v_mbcnt_lo_u32_b32 v2, -1, 0
	v_mbcnt_hi_u32_b32 v2, -1, v2
	v_sub_u32_e32 v2, 63, v2
	s_add_i32 s40, 0, 0x30000
	s_movk_i32 s0, 0x3ff
	s_movk_i32 s2, 0x7f
	;; [unrolled: 1-line block ×15, first 2 shown]
	s_add_i32 s59, 0, 0x3003c
	v_lshrrev_b64 v[2:3], v2, -1
	v_lshl_add_u32 v6, v16, 2, s40
	v_cmp_eq_u32_e32 vcc, s0, v0
	v_cmp_lt_u32_e64 s[0:1], 63, v0
	v_cmp_lt_u32_e64 s[2:3], s2, v0
	;; [unrolled: 1-line block ×15, first 2 shown]
	s_mov_b64 s[36:37], 0
	v_mov_b32_e32 v7, 0
	s_add_i32 s41, 0, 0x30004
	s_add_i32 s44, 0, 0x30008
	;; [unrolled: 1-line block ×14, first 2 shown]
	v_mov_b32_e32 v8, s59
	s_movk_i32 s60, 0x3bff
	s_waitcnt lgkmcnt(0)
	s_barrier
	s_branch .LBB35_41
.LBB35_40:                              ;   in Loop: Header=BB35_41 Depth=1
	s_or_b64 exec, exec, s[30:31]
	s_waitcnt lgkmcnt(0)
	s_barrier
	ds_read_b32 v4, v8
	v_add_u32_e32 v1, 0x400, v1
	v_cmp_lt_u32_e64 s[30:31], s60, v1
	v_add_u32_e32 v14, 0x2000, v14
	s_or_b64 s[36:37], s[30:31], s[36:37]
	s_waitcnt lgkmcnt(0)
	v_add_u32_e32 v7, v4, v7
	v_add_u32_e32 v15, 0x1000, v15
	s_andn2_b64 exec, exec, s[36:37]
	s_cbranch_execz .LBB35_75
.LBB35_41:                              ; =>This Inner Loop Header: Depth=1
	ds_read_b32 v9, v15
	ds_read_b64 v[4:5], v14
	s_waitcnt lgkmcnt(0)
	s_barrier
	v_cmp_gt_i32_e64 s[30:31], s33, v9
	s_bcnt1_i32_b64 s38, s[30:31]
	s_nop 0
	v_and_b32_e32 v11, s30, v2
	v_and_b32_e32 v10, s31, v3
	v_bcnt_u32_b32 v11, v11, 0
	v_bcnt_u32_b32 v10, v10, v11
	v_mov_b32_e32 v11, s38
	ds_write_b32 v6, v11
	s_waitcnt lgkmcnt(0)
	s_barrier
	s_and_saveexec_b64 s[38:39], s[0:1]
	s_cbranch_execz .LBB35_58
; %bb.42:                               ;   in Loop: Header=BB35_41 Depth=1
	v_mov_b32_e32 v11, s40
	ds_read_b32 v11, v11
	s_waitcnt lgkmcnt(0)
	v_add_u32_e32 v10, v11, v10
	s_or_b64 exec, exec, s[38:39]
	s_and_saveexec_b64 s[38:39], s[2:3]
	s_cbranch_execnz .LBB35_59
.LBB35_43:                              ;   in Loop: Header=BB35_41 Depth=1
	s_or_b64 exec, exec, s[38:39]
	s_and_saveexec_b64 s[38:39], s[4:5]
	s_cbranch_execz .LBB35_60
.LBB35_44:                              ;   in Loop: Header=BB35_41 Depth=1
	v_mov_b32_e32 v11, s44
	ds_read_b32 v11, v11
	s_waitcnt lgkmcnt(0)
	v_add_u32_e32 v10, v11, v10
	s_or_b64 exec, exec, s[38:39]
	s_and_saveexec_b64 s[38:39], s[6:7]
	s_cbranch_execnz .LBB35_61
.LBB35_45:                              ;   in Loop: Header=BB35_41 Depth=1
	s_or_b64 exec, exec, s[38:39]
	s_and_saveexec_b64 s[38:39], s[8:9]
	s_cbranch_execz .LBB35_62
.LBB35_46:                              ;   in Loop: Header=BB35_41 Depth=1
	v_mov_b32_e32 v11, s47
	ds_read_b32 v11, v11
	s_waitcnt lgkmcnt(0)
	v_add_u32_e32 v10, v11, v10
	s_or_b64 exec, exec, s[38:39]
	s_and_saveexec_b64 s[38:39], s[10:11]
	s_cbranch_execnz .LBB35_63
.LBB35_47:                              ;   in Loop: Header=BB35_41 Depth=1
	s_or_b64 exec, exec, s[38:39]
	s_and_saveexec_b64 s[38:39], s[12:13]
	s_cbranch_execz .LBB35_64
.LBB35_48:                              ;   in Loop: Header=BB35_41 Depth=1
	v_mov_b32_e32 v11, s50
	ds_read_b32 v11, v11
	s_waitcnt lgkmcnt(0)
	v_add_u32_e32 v10, v11, v10
	s_or_b64 exec, exec, s[38:39]
	s_and_saveexec_b64 s[38:39], s[14:15]
	s_cbranch_execnz .LBB35_65
.LBB35_49:                              ;   in Loop: Header=BB35_41 Depth=1
	s_or_b64 exec, exec, s[38:39]
	s_and_saveexec_b64 s[38:39], s[16:17]
	s_cbranch_execz .LBB35_66
.LBB35_50:                              ;   in Loop: Header=BB35_41 Depth=1
	v_mov_b32_e32 v11, s52
	ds_read_b32 v11, v11
	s_waitcnt lgkmcnt(0)
	v_add_u32_e32 v10, v11, v10
	s_or_b64 exec, exec, s[38:39]
	s_and_saveexec_b64 s[38:39], s[18:19]
	s_cbranch_execnz .LBB35_67
.LBB35_51:                              ;   in Loop: Header=BB35_41 Depth=1
	s_or_b64 exec, exec, s[38:39]
	s_and_saveexec_b64 s[38:39], s[20:21]
	s_cbranch_execz .LBB35_68
.LBB35_52:                              ;   in Loop: Header=BB35_41 Depth=1
	v_mov_b32_e32 v11, s54
	ds_read_b32 v11, v11
	s_waitcnt lgkmcnt(0)
	v_add_u32_e32 v10, v11, v10
	s_or_b64 exec, exec, s[38:39]
	s_and_saveexec_b64 s[38:39], s[22:23]
	s_cbranch_execnz .LBB35_69
.LBB35_53:                              ;   in Loop: Header=BB35_41 Depth=1
	s_or_b64 exec, exec, s[38:39]
	s_and_saveexec_b64 s[38:39], s[24:25]
	s_cbranch_execz .LBB35_70
.LBB35_54:                              ;   in Loop: Header=BB35_41 Depth=1
	v_mov_b32_e32 v11, s56
	ds_read_b32 v11, v11
	s_waitcnt lgkmcnt(0)
	v_add_u32_e32 v10, v11, v10
	s_or_b64 exec, exec, s[38:39]
	s_and_saveexec_b64 s[38:39], s[26:27]
	s_cbranch_execnz .LBB35_71
.LBB35_55:                              ;   in Loop: Header=BB35_41 Depth=1
	s_or_b64 exec, exec, s[38:39]
	s_and_saveexec_b64 s[38:39], s[28:29]
	s_cbranch_execz .LBB35_72
.LBB35_56:                              ;   in Loop: Header=BB35_41 Depth=1
	v_mov_b32_e32 v11, s58
	ds_read_b32 v11, v11
	s_waitcnt lgkmcnt(0)
	v_add_u32_e32 v10, v11, v10
	s_or_b64 exec, exec, s[38:39]
	s_and_saveexec_b64 s[38:39], s[30:31]
	s_cbranch_execnz .LBB35_73
.LBB35_57:                              ;   in Loop: Header=BB35_41 Depth=1
	s_or_b64 exec, exec, s[38:39]
	s_and_saveexec_b64 s[30:31], vcc
	s_cbranch_execz .LBB35_40
	s_branch .LBB35_74
.LBB35_58:                              ;   in Loop: Header=BB35_41 Depth=1
	s_or_b64 exec, exec, s[38:39]
	s_and_saveexec_b64 s[38:39], s[2:3]
	s_cbranch_execz .LBB35_43
.LBB35_59:                              ;   in Loop: Header=BB35_41 Depth=1
	v_mov_b32_e32 v11, s41
	ds_read_b32 v11, v11
	s_waitcnt lgkmcnt(0)
	v_add_u32_e32 v10, v11, v10
	s_or_b64 exec, exec, s[38:39]
	s_and_saveexec_b64 s[38:39], s[4:5]
	s_cbranch_execnz .LBB35_44
.LBB35_60:                              ;   in Loop: Header=BB35_41 Depth=1
	s_or_b64 exec, exec, s[38:39]
	s_and_saveexec_b64 s[38:39], s[6:7]
	s_cbranch_execz .LBB35_45
.LBB35_61:                              ;   in Loop: Header=BB35_41 Depth=1
	v_mov_b32_e32 v11, s45
	ds_read_b32 v11, v11
	s_waitcnt lgkmcnt(0)
	v_add_u32_e32 v10, v11, v10
	s_or_b64 exec, exec, s[38:39]
	s_and_saveexec_b64 s[38:39], s[8:9]
	s_cbranch_execnz .LBB35_46
.LBB35_62:                              ;   in Loop: Header=BB35_41 Depth=1
	s_or_b64 exec, exec, s[38:39]
	s_and_saveexec_b64 s[38:39], s[10:11]
	s_cbranch_execz .LBB35_47
.LBB35_63:                              ;   in Loop: Header=BB35_41 Depth=1
	v_mov_b32_e32 v11, s49
	ds_read_b32 v11, v11
	s_waitcnt lgkmcnt(0)
	v_add_u32_e32 v10, v11, v10
	s_or_b64 exec, exec, s[38:39]
	s_and_saveexec_b64 s[38:39], s[12:13]
	s_cbranch_execnz .LBB35_48
.LBB35_64:                              ;   in Loop: Header=BB35_41 Depth=1
	s_or_b64 exec, exec, s[38:39]
	s_and_saveexec_b64 s[38:39], s[14:15]
	s_cbranch_execz .LBB35_49
.LBB35_65:                              ;   in Loop: Header=BB35_41 Depth=1
	v_mov_b32_e32 v11, s51
	ds_read_b32 v11, v11
	s_waitcnt lgkmcnt(0)
	v_add_u32_e32 v10, v11, v10
	s_or_b64 exec, exec, s[38:39]
	s_and_saveexec_b64 s[38:39], s[16:17]
	s_cbranch_execnz .LBB35_50
.LBB35_66:                              ;   in Loop: Header=BB35_41 Depth=1
	s_or_b64 exec, exec, s[38:39]
	s_and_saveexec_b64 s[38:39], s[18:19]
	s_cbranch_execz .LBB35_51
.LBB35_67:                              ;   in Loop: Header=BB35_41 Depth=1
	v_mov_b32_e32 v11, s53
	ds_read_b32 v11, v11
	s_waitcnt lgkmcnt(0)
	v_add_u32_e32 v10, v11, v10
	s_or_b64 exec, exec, s[38:39]
	s_and_saveexec_b64 s[38:39], s[20:21]
	s_cbranch_execnz .LBB35_52
.LBB35_68:                              ;   in Loop: Header=BB35_41 Depth=1
	s_or_b64 exec, exec, s[38:39]
	s_and_saveexec_b64 s[38:39], s[22:23]
	s_cbranch_execz .LBB35_53
.LBB35_69:                              ;   in Loop: Header=BB35_41 Depth=1
	v_mov_b32_e32 v11, s55
	ds_read_b32 v11, v11
	s_waitcnt lgkmcnt(0)
	v_add_u32_e32 v10, v11, v10
	s_or_b64 exec, exec, s[38:39]
	s_and_saveexec_b64 s[38:39], s[24:25]
	s_cbranch_execnz .LBB35_54
.LBB35_70:                              ;   in Loop: Header=BB35_41 Depth=1
	s_or_b64 exec, exec, s[38:39]
	s_and_saveexec_b64 s[38:39], s[26:27]
	s_cbranch_execz .LBB35_55
.LBB35_71:                              ;   in Loop: Header=BB35_41 Depth=1
	v_mov_b32_e32 v11, s57
	ds_read_b32 v11, v11
	s_waitcnt lgkmcnt(0)
	v_add_u32_e32 v10, v11, v10
	s_or_b64 exec, exec, s[38:39]
	s_and_saveexec_b64 s[38:39], s[28:29]
	s_cbranch_execnz .LBB35_56
.LBB35_72:                              ;   in Loop: Header=BB35_41 Depth=1
	s_or_b64 exec, exec, s[38:39]
	s_and_saveexec_b64 s[38:39], s[30:31]
	s_cbranch_execz .LBB35_57
.LBB35_73:                              ;   in Loop: Header=BB35_41 Depth=1
	v_add3_u32 v11, v7, -1, v10
	v_lshl_add_u32 v11, v11, 2, 0
	v_add_u32_e32 v12, v7, v10
	v_lshl_add_u32 v12, v12, 3, 0
	ds_write_b32 v11, v9
	ds_write_b64 v12, v[4:5] offset:65528
	s_or_b64 exec, exec, s[38:39]
	s_and_saveexec_b64 s[30:31], vcc
	s_cbranch_execz .LBB35_40
.LBB35_74:                              ;   in Loop: Header=BB35_41 Depth=1
	v_mov_b32_e32 v4, s59
	ds_write_b32 v4, v10
	s_branch .LBB35_40
.LBB35_75:
	s_or_b64 exec, exec, s[36:37]
	s_ashr_i32 s49, s48, 31
	s_lshl_b64 s[0:1], s[48:49], 2
	s_add_u32 s2, s42, s0
	s_addc_u32 s3, s43, s1
	s_load_dwordx2 s[0:1], s[2:3], 0x0
	s_waitcnt lgkmcnt(0)
	s_sub_i32 s14, s1, s0
	v_cmp_gt_i32_e32 vcc, s14, v0
	s_and_saveexec_b64 s[2:3], vcc
	s_cbranch_execz .LBB35_89
; %bb.76:
	s_sub_i32 s8, s0, s46
	v_sub_co_u32_e64 v1, s[0:1], s14, 2
	s_nop 0
	v_readfirstlane_b32 s2, v1
	s_lshr_b32 s2, s2, 1
	s_add_i32 s2, s2, 1
	s_xor_b64 s[0:1], s[0:1], -1
	s_and_b32 s15, s14, -2
	s_and_b32 s3, s2, 7
	s_and_b32 s16, s2, -8
	s_cmp_lg_u32 s3, 0
	v_cmp_lt_u32_e32 vcc, 13, v1
	s_cselect_b64 s[4:5], -1, 0
	s_cmp_lg_u32 s14, s15
	v_cndmask_b32_e64 v1, 0, 1, vcc
	s_cselect_b64 s[10:11], -1, 0
	s_lshl_b32 s17, s3, 3
	v_cndmask_b32_e64 v2, 0, 1, s[0:1]
	v_cmp_ne_u32_e64 s[2:3], 1, v1
	v_cndmask_b32_e64 v1, 0, 1, s[4:5]
	s_mov_b32 s9, 0
	s_mov_b64 s[12:13], 0
	v_cmp_ne_u32_e64 s[0:1], 1, v2
	v_cmp_ne_u32_e64 s[4:5], 1, v1
	s_branch .LBB35_78
.LBB35_77:                              ;   in Loop: Header=BB35_78 Depth=1
	v_add_u32_e32 v0, 0x400, v0
	v_ashrrev_i32_e32 v5, 31, v4
	v_cmp_le_i32_e32 vcc, s14, v0
	v_lshl_add_u64 v[4:5], v[4:5], 3, s[34:35]
	s_or_b64 s[12:13], vcc, s[12:13]
	s_waitcnt lgkmcnt(0)
	global_store_dwordx2 v[4:5], v[2:3], off
	s_andn2_b64 exec, exec, s[12:13]
	s_cbranch_execz .LBB35_89
.LBB35_78:                              ; =>This Loop Header: Depth=1
                                        ;     Child Loop BB35_81 Depth 2
                                        ;     Child Loop BB35_84 Depth 2
	;; [unrolled: 1-line block ×3, first 2 shown]
	v_lshl_add_u32 v2, v0, 3, 0
	v_lshl_add_u32 v1, v0, 2, 0
	v_add_u32_e32 v2, 0x10000, v2
	ds_read_b32 v1, v1
	ds_read_b64 v[2:3], v2
	s_and_b64 vcc, exec, s[0:1]
	v_mov_b32_e32 v4, s8
	s_mov_b32 s18, 0
	s_mov_b64 s[6:7], -1
	s_cbranch_vccnz .LBB35_86
; %bb.79:                               ;   in Loop: Header=BB35_78 Depth=1
	s_and_b64 vcc, exec, s[2:3]
	v_mov_b64_e32 v[4:5], s[8:9]
	s_cbranch_vccnz .LBB35_82
; %bb.80:                               ;   in Loop: Header=BB35_78 Depth=1
	s_mov_b32 s19, 0
	v_mov_b32_e32 v4, s8
	v_mov_b32_e32 v5, 0
	s_mov_b32 s20, s16
.LBB35_81:                              ;   Parent Loop BB35_78 Depth=1
                                        ; =>  This Inner Loop Header: Depth=2
	v_mov_b32_e32 v20, s19
	ds_read2_b32 v[6:7], v20 offset1:1
	ds_read2_b32 v[8:9], v20 offset0:2 offset1:3
	ds_read2_b32 v[10:11], v20 offset0:4 offset1:5
	;; [unrolled: 1-line block ×7, first 2 shown]
	s_waitcnt lgkmcnt(7)
	v_cmp_gt_i32_e32 vcc, v1, v7
	s_waitcnt lgkmcnt(5)
	v_cmp_gt_i32_e64 s[6:7], v1, v10
	s_add_i32 s18, s18, 16
	v_cndmask_b32_e64 v7, 0, 1, vcc
	v_cmp_gt_i32_e32 vcc, v1, v6
	s_add_i32 s19, s19, 64
	s_add_i32 s20, s20, -8
	v_cndmask_b32_e64 v6, 0, 1, vcc
	v_cmp_gt_i32_e32 vcc, v1, v9
	v_cndmask_b32_e64 v9, 0, 1, s[6:7]
	v_cmp_gt_i32_e64 s[6:7], v1, v11
	v_addc_co_u32_e32 v5, vcc, v5, v7, vcc
	s_nop 0
	v_cndmask_b32_e64 v10, 0, 1, s[6:7]
	s_waitcnt lgkmcnt(3)
	v_cmp_gt_i32_e64 s[6:7], v1, v15
	v_cmp_gt_i32_e32 vcc, v1, v12
	s_cmp_lg_u32 s20, 0
	v_cndmask_b32_e64 v11, 0, 1, s[6:7]
	v_cmp_gt_i32_e64 s[6:7], v1, v14
	s_nop 1
	v_cndmask_b32_e64 v14, 0, 1, s[6:7]
	s_waitcnt lgkmcnt(1)
	v_cmp_gt_i32_e64 s[6:7], v1, v18
	s_nop 1
	v_cndmask_b32_e64 v15, 0, 1, s[6:7]
	v_cmp_gt_i32_e64 s[6:7], v1, v19
	s_nop 1
	v_cndmask_b32_e64 v18, 0, 1, s[6:7]
	v_cmp_gt_i32_e64 s[6:7], v1, v8
	s_nop 1
	v_addc_co_u32_e64 v4, s[6:7], v4, v6, s[6:7]
	v_cmp_gt_i32_e64 s[6:7], v1, v13
	v_addc_co_u32_e32 v4, vcc, v4, v9, vcc
	s_nop 0
	v_addc_co_u32_e64 v5, s[6:7], v5, v10, s[6:7]
	v_cmp_gt_i32_e32 vcc, v1, v17
	v_cmp_gt_i32_e64 s[6:7], v1, v16
	s_nop 0
	v_addc_co_u32_e32 v5, vcc, v5, v11, vcc
	v_addc_co_u32_e64 v4, s[6:7], v4, v14, s[6:7]
	s_waitcnt lgkmcnt(0)
	v_cmp_gt_i32_e32 vcc, v1, v20
	v_cmp_gt_i32_e64 s[6:7], v1, v21
	s_nop 0
	v_addc_co_u32_e32 v4, vcc, v4, v15, vcc
	v_addc_co_u32_e64 v5, s[6:7], v5, v18, s[6:7]
	s_cbranch_scc1 .LBB35_81
.LBB35_82:                              ;   in Loop: Header=BB35_78 Depth=1
	s_and_b64 vcc, exec, s[4:5]
	s_cbranch_vccnz .LBB35_85
; %bb.83:                               ;   in Loop: Header=BB35_78 Depth=1
	s_lshl_b32 s6, s18, 2
	s_add_i32 s6, s6, 0
	s_mov_b32 s7, s17
.LBB35_84:                              ;   Parent Loop BB35_78 Depth=1
                                        ; =>  This Inner Loop Header: Depth=2
	v_mov_b32_e32 v6, s6
	ds_read2_b32 v[6:7], v6 offset1:1
	s_add_i32 s6, s6, 8
	s_add_i32 s7, s7, -8
	s_cmp_lg_u32 s7, 0
	s_waitcnt lgkmcnt(0)
	v_cmp_gt_i32_e32 vcc, v1, v7
	s_nop 1
	v_addc_co_u32_e32 v5, vcc, 0, v5, vcc
	v_cmp_gt_i32_e32 vcc, v1, v6
	s_nop 1
	v_addc_co_u32_e32 v4, vcc, 0, v4, vcc
	s_cbranch_scc1 .LBB35_84
.LBB35_85:                              ;   in Loop: Header=BB35_78 Depth=1
	v_add_u32_e32 v4, v4, v5
	s_mov_b32 s18, s15
	s_mov_b64 s[6:7], s[10:11]
.LBB35_86:                              ;   in Loop: Header=BB35_78 Depth=1
	s_and_b64 vcc, exec, s[6:7]
	s_cbranch_vccz .LBB35_77
; %bb.87:                               ;   in Loop: Header=BB35_78 Depth=1
	s_lshl_b32 s6, s18, 2
	s_add_i32 s6, s6, 0
.LBB35_88:                              ;   Parent Loop BB35_78 Depth=1
                                        ; =>  This Inner Loop Header: Depth=2
	v_mov_b32_e32 v5, s6
	ds_read_b32 v5, v5
	s_add_i32 s18, s18, 1
	s_add_i32 s6, s6, 4
	s_cmp_ge_i32 s18, s14
	s_waitcnt lgkmcnt(0)
	v_cmp_gt_i32_e32 vcc, v1, v5
	s_nop 1
	v_addc_co_u32_e32 v4, vcc, 0, v4, vcc
	s_cbranch_scc0 .LBB35_88
	s_branch .LBB35_77
.LBB35_89:
	s_endpgm
	.section	.rodata,"a",@progbits
	.p2align	6, 0x0
	.amdhsa_kernel _ZN9rocsparseL41csrgemm_numeric_fill_block_per_row_kernelILj1024ELj64ELj16384ELj137ELj64EiidEEvT5_PKS1_S3_NS_24const_host_device_scalarIT6_EEPKT4_S3_PKS5_S9_S3_SB_S6_S9_S3_SB_S9_S3_PS5_21rocsparse_index_base_SD_SD_SD_bbb
		.amdhsa_group_segment_fixed_size 0
		.amdhsa_private_segment_fixed_size 0
		.amdhsa_kernarg_size 156
		.amdhsa_user_sgpr_count 2
		.amdhsa_user_sgpr_dispatch_ptr 0
		.amdhsa_user_sgpr_queue_ptr 0
		.amdhsa_user_sgpr_kernarg_segment_ptr 1
		.amdhsa_user_sgpr_dispatch_id 0
		.amdhsa_user_sgpr_kernarg_preload_length 0
		.amdhsa_user_sgpr_kernarg_preload_offset 0
		.amdhsa_user_sgpr_private_segment_size 0
		.amdhsa_uses_dynamic_stack 0
		.amdhsa_enable_private_segment 0
		.amdhsa_system_sgpr_workgroup_id_x 1
		.amdhsa_system_sgpr_workgroup_id_y 0
		.amdhsa_system_sgpr_workgroup_id_z 0
		.amdhsa_system_sgpr_workgroup_info 0
		.amdhsa_system_vgpr_workitem_id 0
		.amdhsa_next_free_vgpr 22
		.amdhsa_next_free_sgpr 61
		.amdhsa_accum_offset 24
		.amdhsa_reserve_vcc 1
		.amdhsa_float_round_mode_32 0
		.amdhsa_float_round_mode_16_64 0
		.amdhsa_float_denorm_mode_32 3
		.amdhsa_float_denorm_mode_16_64 3
		.amdhsa_dx10_clamp 1
		.amdhsa_ieee_mode 1
		.amdhsa_fp16_overflow 0
		.amdhsa_tg_split 0
		.amdhsa_exception_fp_ieee_invalid_op 0
		.amdhsa_exception_fp_denorm_src 0
		.amdhsa_exception_fp_ieee_div_zero 0
		.amdhsa_exception_fp_ieee_overflow 0
		.amdhsa_exception_fp_ieee_underflow 0
		.amdhsa_exception_fp_ieee_inexact 0
		.amdhsa_exception_int_div_zero 0
	.end_amdhsa_kernel
	.section	.text._ZN9rocsparseL41csrgemm_numeric_fill_block_per_row_kernelILj1024ELj64ELj16384ELj137ELj64EiidEEvT5_PKS1_S3_NS_24const_host_device_scalarIT6_EEPKT4_S3_PKS5_S9_S3_SB_S6_S9_S3_SB_S9_S3_PS5_21rocsparse_index_base_SD_SD_SD_bbb,"axG",@progbits,_ZN9rocsparseL41csrgemm_numeric_fill_block_per_row_kernelILj1024ELj64ELj16384ELj137ELj64EiidEEvT5_PKS1_S3_NS_24const_host_device_scalarIT6_EEPKT4_S3_PKS5_S9_S3_SB_S6_S9_S3_SB_S9_S3_PS5_21rocsparse_index_base_SD_SD_SD_bbb,comdat
.Lfunc_end35:
	.size	_ZN9rocsparseL41csrgemm_numeric_fill_block_per_row_kernelILj1024ELj64ELj16384ELj137ELj64EiidEEvT5_PKS1_S3_NS_24const_host_device_scalarIT6_EEPKT4_S3_PKS5_S9_S3_SB_S6_S9_S3_SB_S9_S3_PS5_21rocsparse_index_base_SD_SD_SD_bbb, .Lfunc_end35-_ZN9rocsparseL41csrgemm_numeric_fill_block_per_row_kernelILj1024ELj64ELj16384ELj137ELj64EiidEEvT5_PKS1_S3_NS_24const_host_device_scalarIT6_EEPKT4_S3_PKS5_S9_S3_SB_S6_S9_S3_SB_S9_S3_PS5_21rocsparse_index_base_SD_SD_SD_bbb
                                        ; -- End function
	.set _ZN9rocsparseL41csrgemm_numeric_fill_block_per_row_kernelILj1024ELj64ELj16384ELj137ELj64EiidEEvT5_PKS1_S3_NS_24const_host_device_scalarIT6_EEPKT4_S3_PKS5_S9_S3_SB_S6_S9_S3_SB_S9_S3_PS5_21rocsparse_index_base_SD_SD_SD_bbb.num_vgpr, 22
	.set _ZN9rocsparseL41csrgemm_numeric_fill_block_per_row_kernelILj1024ELj64ELj16384ELj137ELj64EiidEEvT5_PKS1_S3_NS_24const_host_device_scalarIT6_EEPKT4_S3_PKS5_S9_S3_SB_S6_S9_S3_SB_S9_S3_PS5_21rocsparse_index_base_SD_SD_SD_bbb.num_agpr, 0
	.set _ZN9rocsparseL41csrgemm_numeric_fill_block_per_row_kernelILj1024ELj64ELj16384ELj137ELj64EiidEEvT5_PKS1_S3_NS_24const_host_device_scalarIT6_EEPKT4_S3_PKS5_S9_S3_SB_S6_S9_S3_SB_S9_S3_PS5_21rocsparse_index_base_SD_SD_SD_bbb.numbered_sgpr, 61
	.set _ZN9rocsparseL41csrgemm_numeric_fill_block_per_row_kernelILj1024ELj64ELj16384ELj137ELj64EiidEEvT5_PKS1_S3_NS_24const_host_device_scalarIT6_EEPKT4_S3_PKS5_S9_S3_SB_S6_S9_S3_SB_S9_S3_PS5_21rocsparse_index_base_SD_SD_SD_bbb.num_named_barrier, 0
	.set _ZN9rocsparseL41csrgemm_numeric_fill_block_per_row_kernelILj1024ELj64ELj16384ELj137ELj64EiidEEvT5_PKS1_S3_NS_24const_host_device_scalarIT6_EEPKT4_S3_PKS5_S9_S3_SB_S6_S9_S3_SB_S9_S3_PS5_21rocsparse_index_base_SD_SD_SD_bbb.private_seg_size, 0
	.set _ZN9rocsparseL41csrgemm_numeric_fill_block_per_row_kernelILj1024ELj64ELj16384ELj137ELj64EiidEEvT5_PKS1_S3_NS_24const_host_device_scalarIT6_EEPKT4_S3_PKS5_S9_S3_SB_S6_S9_S3_SB_S9_S3_PS5_21rocsparse_index_base_SD_SD_SD_bbb.uses_vcc, 1
	.set _ZN9rocsparseL41csrgemm_numeric_fill_block_per_row_kernelILj1024ELj64ELj16384ELj137ELj64EiidEEvT5_PKS1_S3_NS_24const_host_device_scalarIT6_EEPKT4_S3_PKS5_S9_S3_SB_S6_S9_S3_SB_S9_S3_PS5_21rocsparse_index_base_SD_SD_SD_bbb.uses_flat_scratch, 0
	.set _ZN9rocsparseL41csrgemm_numeric_fill_block_per_row_kernelILj1024ELj64ELj16384ELj137ELj64EiidEEvT5_PKS1_S3_NS_24const_host_device_scalarIT6_EEPKT4_S3_PKS5_S9_S3_SB_S6_S9_S3_SB_S9_S3_PS5_21rocsparse_index_base_SD_SD_SD_bbb.has_dyn_sized_stack, 0
	.set _ZN9rocsparseL41csrgemm_numeric_fill_block_per_row_kernelILj1024ELj64ELj16384ELj137ELj64EiidEEvT5_PKS1_S3_NS_24const_host_device_scalarIT6_EEPKT4_S3_PKS5_S9_S3_SB_S6_S9_S3_SB_S9_S3_PS5_21rocsparse_index_base_SD_SD_SD_bbb.has_recursion, 0
	.set _ZN9rocsparseL41csrgemm_numeric_fill_block_per_row_kernelILj1024ELj64ELj16384ELj137ELj64EiidEEvT5_PKS1_S3_NS_24const_host_device_scalarIT6_EEPKT4_S3_PKS5_S9_S3_SB_S6_S9_S3_SB_S9_S3_PS5_21rocsparse_index_base_SD_SD_SD_bbb.has_indirect_call, 0
	.section	.AMDGPU.csdata,"",@progbits
; Kernel info:
; codeLenInByte = 3440
; TotalNumSgprs: 67
; NumVgprs: 22
; NumAgprs: 0
; TotalNumVgprs: 22
; ScratchSize: 0
; MemoryBound: 0
; FloatMode: 240
; IeeeMode: 1
; LDSByteSize: 0 bytes/workgroup (compile time only)
; SGPRBlocks: 8
; VGPRBlocks: 2
; NumSGPRsForWavesPerEU: 67
; NumVGPRsForWavesPerEU: 22
; AccumOffset: 24
; Occupancy: 8
; WaveLimiterHint : 1
; COMPUTE_PGM_RSRC2:SCRATCH_EN: 0
; COMPUTE_PGM_RSRC2:USER_SGPR: 2
; COMPUTE_PGM_RSRC2:TRAP_HANDLER: 0
; COMPUTE_PGM_RSRC2:TGID_X_EN: 1
; COMPUTE_PGM_RSRC2:TGID_Y_EN: 0
; COMPUTE_PGM_RSRC2:TGID_Z_EN: 0
; COMPUTE_PGM_RSRC2:TIDIG_COMP_CNT: 0
; COMPUTE_PGM_RSRC3_GFX90A:ACCUM_OFFSET: 5
; COMPUTE_PGM_RSRC3_GFX90A:TG_SPLIT: 0
	.section	.text._ZN9rocsparseL41csrgemm_numeric_fill_block_per_row_kernelILj1024ELj64ELj32768ELj137ELj32EiidEEvT5_PKS1_S3_NS_24const_host_device_scalarIT6_EEPKT4_S3_PKS5_S9_S3_SB_S6_S9_S3_SB_S9_S3_PS5_21rocsparse_index_base_SD_SD_SD_bbb,"axG",@progbits,_ZN9rocsparseL41csrgemm_numeric_fill_block_per_row_kernelILj1024ELj64ELj32768ELj137ELj32EiidEEvT5_PKS1_S3_NS_24const_host_device_scalarIT6_EEPKT4_S3_PKS5_S9_S3_SB_S6_S9_S3_SB_S9_S3_PS5_21rocsparse_index_base_SD_SD_SD_bbb,comdat
	.globl	_ZN9rocsparseL41csrgemm_numeric_fill_block_per_row_kernelILj1024ELj64ELj32768ELj137ELj32EiidEEvT5_PKS1_S3_NS_24const_host_device_scalarIT6_EEPKT4_S3_PKS5_S9_S3_SB_S6_S9_S3_SB_S9_S3_PS5_21rocsparse_index_base_SD_SD_SD_bbb ; -- Begin function _ZN9rocsparseL41csrgemm_numeric_fill_block_per_row_kernelILj1024ELj64ELj32768ELj137ELj32EiidEEvT5_PKS1_S3_NS_24const_host_device_scalarIT6_EEPKT4_S3_PKS5_S9_S3_SB_S6_S9_S3_SB_S9_S3_PS5_21rocsparse_index_base_SD_SD_SD_bbb
	.p2align	8
	.type	_ZN9rocsparseL41csrgemm_numeric_fill_block_per_row_kernelILj1024ELj64ELj32768ELj137ELj32EiidEEvT5_PKS1_S3_NS_24const_host_device_scalarIT6_EEPKT4_S3_PKS5_S9_S3_SB_S6_S9_S3_SB_S9_S3_PS5_21rocsparse_index_base_SD_SD_SD_bbb,@function
_ZN9rocsparseL41csrgemm_numeric_fill_block_per_row_kernelILj1024ELj64ELj32768ELj137ELj32EiidEEvT5_PKS1_S3_NS_24const_host_device_scalarIT6_EEPKT4_S3_PKS5_S9_S3_SB_S6_S9_S3_SB_S9_S3_PS5_21rocsparse_index_base_SD_SD_SD_bbb: ; @_ZN9rocsparseL41csrgemm_numeric_fill_block_per_row_kernelILj1024ELj64ELj32768ELj137ELj32EiidEEvT5_PKS1_S3_NS_24const_host_device_scalarIT6_EEPKT4_S3_PKS5_S9_S3_SB_S6_S9_S3_SB_S9_S3_PS5_21rocsparse_index_base_SD_SD_SD_bbb
; %bb.0:
	s_load_dword s3, s[0:1], 0x98
	s_load_dwordx4 s[68:71], s[0:1], 0x88
	s_load_dwordx2 s[4:5], s[0:1], 0x18
	s_load_dwordx2 s[24:25], s[0:1], 0x50
	s_waitcnt lgkmcnt(0)
	s_bitcmp1_b32 s3, 0
	s_cselect_b64 s[22:23], -1, 0
	s_bitcmp1_b32 s3, 16
	s_cselect_b64 s[26:27], -1, 0
	s_xor_b64 s[6:7], s[22:23], -1
	s_or_b64 s[6:7], s[26:27], s[6:7]
	s_and_b64 s[8:9], s[22:23], exec
	s_cselect_b32 s9, s5, 0
	s_cselect_b32 s8, s4, 0
	s_and_b64 vcc, exec, s[6:7]
	v_mov_b64_e32 v[4:5], s[8:9]
	s_cbranch_vccnz .LBB36_2
; %bb.1:
	v_mov_b64_e32 v[2:3], s[4:5]
	flat_load_dwordx2 v[4:5], v[2:3]
.LBB36_2:
	s_load_dwordx2 s[4:5], s[0:1], 0x80
                                        ; implicit-def: $vgpr22 : SGPR spill to VGPR lane
	s_bitcmp1_b32 s3, 8
	s_cselect_b64 s[20:21], -1, 0
	s_xor_b64 s[28:29], s[20:21], -1
	s_or_b64 s[26:27], s[26:27], s[28:29]
	s_waitcnt lgkmcnt(0)
	v_writelane_b32 v22, s4, 0
	s_and_b64 s[28:29], s[20:21], exec
	s_cselect_b32 s29, s25, 0
	v_writelane_b32 v22, s5, 1
	s_load_dwordx8 s[4:11], s[0:1], 0x58
	s_cselect_b32 s28, s24, 0
	s_and_b64 vcc, exec, s[26:27]
	v_mov_b64_e32 v[2:3], s[28:29]
	s_waitcnt lgkmcnt(0)
	v_writelane_b32 v22, s4, 2
	s_nop 1
	v_writelane_b32 v22, s5, 3
	v_writelane_b32 v22, s6, 4
	;; [unrolled: 1-line block ×7, first 2 shown]
	s_load_dwordx4 s[12:15], s[0:1], 0x40
	s_load_dwordx4 s[16:19], s[0:1], 0x8
	s_load_dwordx8 s[4:11], s[0:1], 0x20
	s_cbranch_vccnz .LBB36_4
; %bb.3:
	v_mov_b64_e32 v[2:3], s[24:25]
	flat_load_dwordx2 v[2:3], v[2:3]
.LBB36_4:
	s_load_dword s33, s[0:1], 0x0
	v_lshl_add_u32 v7, v0, 3, 0
	v_or_b32_e32 v1, 0xfffffc00, v0
	v_mov_b32_e32 v6, 0
	v_add_u32_e32 v14, 0x20000, v7
	v_lshl_add_u32 v15, v0, 2, 0
	s_mov_b64 s[0:1], 0
	s_waitcnt lgkmcnt(0)
	v_mov_b32_e32 v11, s33
	v_mov_b32_e32 v7, v6
	s_movk_i32 s3, 0x7bff
	v_mov_b32_e32 v8, v15
	v_mov_b32_e32 v9, v14
	;; [unrolled: 1-line block ×3, first 2 shown]
.LBB36_5:                               ; =>This Inner Loop Header: Depth=1
	v_add_u32_e32 v10, 0x400, v10
	v_cmp_lt_u32_e32 vcc, s3, v10
	ds_write_b32 v8, v11
	ds_write_b64 v9, v[6:7]
	v_add_u32_e32 v9, 0x2000, v9
	s_or_b64 s[0:1], vcc, s[0:1]
	v_add_u32_e32 v8, 0x1000, v8
	s_andn2_b64 exec, exec, s[0:1]
	s_cbranch_execnz .LBB36_5
; %bb.6:
	s_or_b64 exec, exec, s[0:1]
	s_waitcnt lgkmcnt(0)
	s_barrier
	s_load_dword s0, s[16:17], 0x0
	s_mov_b32 s1, 0
	s_waitcnt lgkmcnt(0)
	s_add_i32 s0, s0, s2
	s_lshl_b64 s[0:1], s[0:1], 2
	s_add_u32 s0, s18, s0
	s_addc_u32 s1, s19, s1
	s_load_dword s0, s[0:1], 0x0
	s_and_b64 vcc, exec, s[22:23]
	s_waitcnt lgkmcnt(0)
	v_writelane_b32 v22, s0, 10
	s_nop 1
	v_writelane_b32 v22, s1, 11
	s_cbranch_vccz .LBB36_24
; %bb.7:
	v_readlane_b32 s0, v22, 10
	v_readlane_b32 s1, v22, 11
	s_mov_b32 s2, s0
	s_ashr_i32 s3, s0, 31
	v_writelane_b32 v22, s0, 10
	v_lshrrev_b32_e32 v6, 6, v0
	v_subrev_u32_e32 v6, s68, v6
	v_writelane_b32 v22, s1, 11
	s_lshl_b64 s[0:1], s[2:3], 2
	s_add_u32 s0, s4, s0
	s_addc_u32 s1, s5, s1
	s_load_dwordx2 s[2:3], s[0:1], 0x0
	s_waitcnt lgkmcnt(0)
	s_sub_i32 s30, s3, s68
	v_add_u32_e32 v6, s2, v6
	v_cmp_gt_i32_e32 vcc, s30, v6
	s_and_saveexec_b64 s[0:1], vcc
	s_cbranch_execz .LBB36_23
; %bb.8:
	v_and_b32_e32 v7, 63, v0
	v_subrev_u32_e32 v16, s69, v7
	s_mov_b64 s[2:3], 0
	s_movk_i32 s31, 0x89
	s_branch .LBB36_10
.LBB36_9:                               ;   in Loop: Header=BB36_10 Depth=1
	s_or_b64 exec, exec, s[4:5]
	v_add_u32_e32 v6, 16, v6
	v_cmp_le_i32_e32 vcc, s30, v6
	s_or_b64 s[2:3], vcc, s[2:3]
	s_andn2_b64 exec, exec, s[2:3]
	s_cbranch_execz .LBB36_23
.LBB36_10:                              ; =>This Loop Header: Depth=1
                                        ;     Child Loop BB36_14 Depth 2
                                        ;       Child Loop BB36_17 Depth 3
	v_ashrrev_i32_e32 v7, 31, v6
	v_lshl_add_u64 v[8:9], v[6:7], 2, s[6:7]
	global_load_dword v8, v[8:9], off
	s_waitcnt vmcnt(0)
	v_subrev_u32_e32 v8, s68, v8
	v_ashrrev_i32_e32 v9, 31, v8
	v_lshl_add_u64 v[8:9], v[8:9], 2, s[10:11]
	global_load_dwordx2 v[8:9], v[8:9], off
	s_waitcnt vmcnt(0)
	v_subrev_u32_e32 v17, s69, v9
	v_add_u32_e32 v8, v8, v16
	v_cmp_lt_i32_e32 vcc, v8, v17
	s_and_saveexec_b64 s[4:5], vcc
	s_cbranch_execz .LBB36_9
; %bb.11:                               ;   in Loop: Header=BB36_10 Depth=1
	v_lshl_add_u64 v[10:11], v[6:7], 3, s[8:9]
	global_load_dwordx2 v[10:11], v[10:11], off
	s_mov_b64 s[16:17], 0
	s_waitcnt vmcnt(0)
	v_mul_f64 v[10:11], v[4:5], v[10:11]
	s_branch .LBB36_14
.LBB36_12:                              ;   in Loop: Header=BB36_14 Depth=2
	s_or_b64 exec, exec, s[22:23]
.LBB36_13:                              ;   in Loop: Header=BB36_14 Depth=2
	s_or_b64 exec, exec, s[18:19]
	v_lshl_add_u32 v7, v7, 3, 0
	s_waitcnt vmcnt(0)
	v_mul_f64 v[12:13], v[10:11], v[12:13]
	v_add_u32_e32 v7, 0x20000, v7
	ds_add_f64 v7, v[12:13]
	v_add_u32_e32 v8, 64, v8
	v_cmp_ge_i32_e32 vcc, v8, v17
	s_or_b64 s[16:17], vcc, s[16:17]
	s_andn2_b64 exec, exec, s[16:17]
	s_cbranch_execz .LBB36_9
.LBB36_14:                              ;   Parent Loop BB36_10 Depth=1
                                        ; =>  This Loop Header: Depth=2
                                        ;       Child Loop BB36_17 Depth 3
	v_ashrrev_i32_e32 v9, 31, v8
	v_lshl_add_u64 v[12:13], v[8:9], 2, s[12:13]
	global_load_dword v7, v[12:13], off
	v_lshl_add_u64 v[12:13], v[8:9], 3, s[14:15]
	global_load_dwordx2 v[12:13], v[12:13], off
	s_waitcnt vmcnt(1)
	v_subrev_u32_e32 v9, s69, v7
	v_mul_lo_u32 v7, v9, s31
	v_and_b32_e32 v7, 0x7fff, v7
	v_lshl_add_u32 v18, v7, 2, 0
	ds_read_b32 v19, v18
	s_waitcnt lgkmcnt(0)
	v_cmp_ne_u32_e32 vcc, v19, v9
	s_and_saveexec_b64 s[18:19], vcc
	s_cbranch_execz .LBB36_13
; %bb.15:                               ;   in Loop: Header=BB36_14 Depth=2
	s_mov_b64 s[22:23], 0
	s_branch .LBB36_17
.LBB36_16:                              ;   in Loop: Header=BB36_17 Depth=3
	s_or_b64 exec, exec, s[28:29]
	s_and_b64 s[24:25], exec, s[26:27]
	s_or_b64 s[22:23], s[24:25], s[22:23]
	s_andn2_b64 exec, exec, s[22:23]
	s_cbranch_execz .LBB36_12
.LBB36_17:                              ;   Parent Loop BB36_10 Depth=1
                                        ;     Parent Loop BB36_14 Depth=2
                                        ; =>    This Inner Loop Header: Depth=3
	v_cmp_ne_u32_e32 vcc, s33, v19
	s_mov_b64 s[24:25], 0
	s_and_saveexec_b64 s[26:27], vcc
	s_xor_b64 s[26:27], exec, s[26:27]
	s_cbranch_execz .LBB36_19
; %bb.18:                               ;   in Loop: Header=BB36_17 Depth=3
	v_add_u32_e32 v7, 1, v7
	s_mov_b64 s[24:25], exec
	v_and_b32_e32 v7, 0x7fff, v7
                                        ; implicit-def: $vgpr18
	s_andn2_saveexec_b64 s[26:27], s[26:27]
	s_cbranch_execz .LBB36_21
	s_branch .LBB36_20
.LBB36_19:                              ;   in Loop: Header=BB36_17 Depth=3
	s_andn2_saveexec_b64 s[26:27], s[26:27]
	s_cbranch_execz .LBB36_21
.LBB36_20:                              ;   in Loop: Header=BB36_17 Depth=3
	v_mov_b32_e32 v19, s33
	ds_cmpst_rtn_b32 v18, v18, v19, v9
	s_andn2_b64 s[24:25], s[24:25], exec
	s_waitcnt lgkmcnt(0)
	v_cmp_ne_u32_e32 vcc, s33, v18
	s_and_b64 s[28:29], vcc, exec
	s_or_b64 s[24:25], s[24:25], s[28:29]
.LBB36_21:                              ;   in Loop: Header=BB36_17 Depth=3
	s_or_b64 exec, exec, s[26:27]
	s_mov_b64 s[26:27], -1
                                        ; implicit-def: $vgpr18
                                        ; implicit-def: $vgpr19
	s_and_saveexec_b64 s[28:29], s[24:25]
	s_cbranch_execz .LBB36_16
; %bb.22:                               ;   in Loop: Header=BB36_17 Depth=3
	v_lshl_add_u32 v18, v7, 2, 0
	ds_read_b32 v19, v18
	s_waitcnt lgkmcnt(0)
	v_cmp_eq_u32_e32 vcc, v19, v9
	s_orn2_b64 s[26:27], vcc, exec
	s_branch .LBB36_16
.LBB36_23:
	s_or_b64 exec, exec, s[0:1]
.LBB36_24:
	s_andn2_b64 vcc, exec, s[20:21]
	s_cbranch_vccnz .LBB36_39
; %bb.25:
	v_readlane_b32 s0, v22, 10
	v_readlane_b32 s1, v22, 11
	s_mov_b32 s2, s0
	s_ashr_i32 s3, s0, 31
	v_writelane_b32 v22, s0, 10
	s_waitcnt vmcnt(0)
	v_subrev_u32_e32 v4, s71, v0
	v_writelane_b32 v22, s1, 11
	s_lshl_b64 s[0:1], s[2:3], 2
	v_readlane_b32 s4, v22, 2
	v_readlane_b32 s5, v22, 3
	s_add_u32 s0, s4, s0
	s_addc_u32 s1, s5, s1
	s_load_dwordx2 s[2:3], s[0:1], 0x0
	v_readlane_b32 s6, v22, 4
	v_readlane_b32 s7, v22, 5
	;; [unrolled: 1-line block ×4, first 2 shown]
	s_waitcnt lgkmcnt(0)
	s_sub_i32 s14, s3, s71
	v_add_u32_e32 v4, s2, v4
	v_cmp_gt_i32_e32 vcc, s14, v4
	v_readlane_b32 s10, v22, 8
	v_readlane_b32 s11, v22, 9
	s_and_saveexec_b64 s[0:1], vcc
	s_cbranch_execz .LBB36_38
; %bb.26:
	s_mov_b64 s[2:3], 0
	s_movk_i32 s15, 0x89
	s_branch .LBB36_29
.LBB36_27:                              ;   in Loop: Header=BB36_29 Depth=1
	s_or_b64 exec, exec, s[6:7]
.LBB36_28:                              ;   in Loop: Header=BB36_29 Depth=1
	s_or_b64 exec, exec, s[4:5]
	v_lshl_add_u32 v5, v5, 3, 0
	s_waitcnt vmcnt(0)
	v_mul_f64 v[6:7], v[2:3], v[6:7]
	v_add_u32_e32 v5, 0x20000, v5
	ds_add_f64 v5, v[6:7]
	v_add_u32_e32 v4, 0x400, v4
	v_cmp_le_i32_e32 vcc, s14, v4
	s_or_b64 s[2:3], vcc, s[2:3]
	s_andn2_b64 exec, exec, s[2:3]
	s_cbranch_execz .LBB36_38
.LBB36_29:                              ; =>This Loop Header: Depth=1
                                        ;     Child Loop BB36_32 Depth 2
	v_readlane_b32 s4, v22, 2
	v_ashrrev_i32_e32 v5, 31, v4
	v_readlane_b32 s6, v22, 4
	v_readlane_b32 s7, v22, 5
	;; [unrolled: 1-line block ×4, first 2 shown]
	v_lshl_add_u64 v[6:7], v[4:5], 2, s[6:7]
	global_load_dword v8, v[6:7], off
	v_lshl_add_u64 v[6:7], v[4:5], 3, s[8:9]
	global_load_dwordx2 v[6:7], v[6:7], off
	v_readlane_b32 s5, v22, 3
	v_readlane_b32 s10, v22, 8
	;; [unrolled: 1-line block ×3, first 2 shown]
	s_waitcnt vmcnt(1)
	v_subrev_u32_e32 v8, s71, v8
	v_mul_lo_u32 v5, v8, s15
	v_and_b32_e32 v5, 0x7fff, v5
	v_lshl_add_u32 v9, v5, 2, 0
	ds_read_b32 v10, v9
	s_waitcnt lgkmcnt(0)
	v_cmp_ne_u32_e32 vcc, v10, v8
	s_and_saveexec_b64 s[4:5], vcc
	s_cbranch_execz .LBB36_28
; %bb.30:                               ;   in Loop: Header=BB36_29 Depth=1
	s_mov_b64 s[6:7], 0
	s_branch .LBB36_32
.LBB36_31:                              ;   in Loop: Header=BB36_32 Depth=2
	s_or_b64 exec, exec, s[12:13]
	s_and_b64 s[8:9], exec, s[10:11]
	s_or_b64 s[6:7], s[8:9], s[6:7]
	s_andn2_b64 exec, exec, s[6:7]
	s_cbranch_execz .LBB36_27
.LBB36_32:                              ;   Parent Loop BB36_29 Depth=1
                                        ; =>  This Inner Loop Header: Depth=2
	v_cmp_ne_u32_e32 vcc, s33, v10
	s_mov_b64 s[8:9], 0
	s_and_saveexec_b64 s[10:11], vcc
	s_xor_b64 s[10:11], exec, s[10:11]
	s_cbranch_execz .LBB36_34
; %bb.33:                               ;   in Loop: Header=BB36_32 Depth=2
	v_add_u32_e32 v5, 1, v5
	s_mov_b64 s[8:9], exec
	v_and_b32_e32 v5, 0x7fff, v5
                                        ; implicit-def: $vgpr9
	s_andn2_saveexec_b64 s[10:11], s[10:11]
	s_cbranch_execz .LBB36_36
	s_branch .LBB36_35
.LBB36_34:                              ;   in Loop: Header=BB36_32 Depth=2
	s_andn2_saveexec_b64 s[10:11], s[10:11]
	s_cbranch_execz .LBB36_36
.LBB36_35:                              ;   in Loop: Header=BB36_32 Depth=2
	v_mov_b32_e32 v10, s33
	ds_cmpst_rtn_b32 v9, v9, v10, v8
	s_andn2_b64 s[8:9], s[8:9], exec
	s_waitcnt lgkmcnt(0)
	v_cmp_ne_u32_e32 vcc, s33, v9
	s_and_b64 s[12:13], vcc, exec
	s_or_b64 s[8:9], s[8:9], s[12:13]
.LBB36_36:                              ;   in Loop: Header=BB36_32 Depth=2
	s_or_b64 exec, exec, s[10:11]
	s_mov_b64 s[10:11], -1
                                        ; implicit-def: $vgpr9
                                        ; implicit-def: $vgpr10
	s_and_saveexec_b64 s[12:13], s[8:9]
	s_cbranch_execz .LBB36_31
; %bb.37:                               ;   in Loop: Header=BB36_32 Depth=2
	v_lshl_add_u32 v9, v5, 2, 0
	ds_read_b32 v10, v9
	s_waitcnt lgkmcnt(0)
	v_cmp_eq_u32_e32 vcc, v10, v8
	s_orn2_b64 s[10:11], vcc, exec
	s_branch .LBB36_31
.LBB36_38:
	s_or_b64 exec, exec, s[0:1]
.LBB36_39:
	s_add_i32 s0, 0, 0x60000
	s_waitcnt vmcnt(0)
	v_lshrrev_b32_e32 v4, 3, v0
	v_writelane_b32 v22, s0, 12
	s_add_i32 s60, 0, 0x60004
	v_mbcnt_lo_u32_b32 v2, -1, 0
	v_and_b32_e32 v4, 0x7c, v4
	v_writelane_b32 v22, s60, 13
	s_add_i32 s60, 0, 0x60008
	v_mbcnt_hi_u32_b32 v2, -1, v2
	v_add_u32_e32 v6, s0, v4
	s_movk_i32 s0, 0x3ff
	v_writelane_b32 v22, s60, 14
	s_add_i32 s60, 0, 0x6000c
	v_sub_u32_e32 v2, 63, v2
	v_cmp_eq_u32_e32 vcc, s0, v0
	s_movk_i32 s0, 0x5f
	s_movk_i32 s2, 0x7f
	s_movk_i32 s4, 0x9f
	s_movk_i32 s6, 0xbf
	s_movk_i32 s8, 0xdf
	s_movk_i32 s10, 0xff
	s_movk_i32 s12, 0x11f
	s_movk_i32 s14, 0x13f
	s_movk_i32 s16, 0x15f
	s_movk_i32 s18, 0x17f
	s_movk_i32 s20, 0x19f
	s_movk_i32 s22, 0x1bf
	s_movk_i32 s24, 0x1df
	s_movk_i32 s26, 0x1ff
	s_movk_i32 s28, 0x21f
	s_movk_i32 s30, 0x23f
	s_movk_i32 s34, 0x25f
	s_movk_i32 s36, 0x27f
	s_movk_i32 s38, 0x29f
	s_movk_i32 s40, 0x2bf
	s_movk_i32 s42, 0x2df
	s_movk_i32 s44, 0x2ff
	s_movk_i32 s46, 0x31f
	s_movk_i32 s48, 0x33f
	s_movk_i32 s50, 0x35f
	s_movk_i32 s52, 0x37f
	s_movk_i32 s54, 0x39f
	s_movk_i32 s56, 0x3bf
	s_movk_i32 s58, 0x3df
	v_writelane_b32 v22, s60, 15
	s_add_i32 s60, 0, 0x60014
	v_lshrrev_b64 v[2:3], v2, -1
	v_cmp_lt_u32_e64 s[0:1], s0, v0
	v_cmp_lt_u32_e64 s[2:3], s2, v0
	;; [unrolled: 1-line block ×29, first 2 shown]
	v_mov_b32_e32 v7, 0
	s_add_i32 s79, 0, 0x60010
	v_writelane_b32 v22, s60, 16
	s_add_i32 s82, 0, 0x60018
	s_add_i32 s83, 0, 0x6001c
	s_add_i32 s84, 0, 0x60020
	s_add_i32 s85, 0, 0x60024
	s_add_i32 s86, 0, 0x60028
	s_add_i32 s87, 0, 0x6002c
	s_add_i32 s88, 0, 0x60030
	s_add_i32 s89, 0, 0x60034
	s_add_i32 s90, 0, 0x60038
	s_add_i32 s91, 0, 0x6003c
	s_add_i32 s92, 0, 0x60040
	s_add_i32 s93, 0, 0x60044
	s_add_i32 s94, 0, 0x60048
	s_add_i32 s95, 0, 0x6004c
	s_add_i32 s96, 0, 0x60050
	s_add_i32 s97, 0, 0x60054
	s_add_i32 s98, 0, 0x60058
	s_add_i32 s99, 0, 0x6005c
	s_add_i32 s74, 0, 0x60060
	s_add_i32 s72, 0, 0x60064
	s_add_i32 s73, 0, 0x60068
	s_add_i32 s66, 0, 0x6006c
	s_add_i32 s67, 0, 0x60070
	s_add_i32 s71, 0, 0x60074
	s_add_i32 s75, 0, 0x60078
	s_add_i32 s78, 0, 0x6007c
	v_cmp_lt_u32_e64 s[60:61], 31, v0
	v_cmp_lt_u32_e64 s[62:63], 63, v0
	s_mov_b64 s[68:69], 0
	s_waitcnt lgkmcnt(0)
	s_barrier
	s_branch .LBB36_41
.LBB36_40:                              ;   in Loop: Header=BB36_41 Depth=1
	s_or_b64 exec, exec, s[64:65]
	v_mov_b32_e32 v4, s78
	s_waitcnt lgkmcnt(0)
	s_barrier
	ds_read_b32 v4, v4
	v_add_u32_e32 v1, 0x400, v1
	s_movk_i32 s64, 0x7bff
	v_cmp_lt_u32_e64 s[64:65], s64, v1
	v_add_u32_e32 v14, 0x2000, v14
	s_waitcnt lgkmcnt(0)
	v_add_u32_e32 v7, v4, v7
	s_or_b64 s[68:69], s[64:65], s[68:69]
	v_add_u32_e32 v15, 0x1000, v15
	s_andn2_b64 exec, exec, s[68:69]
	s_cbranch_execz .LBB36_107
.LBB36_41:                              ; =>This Inner Loop Header: Depth=1
	ds_read_b32 v8, v15
	ds_read_b64 v[4:5], v14
	s_waitcnt lgkmcnt(0)
	s_barrier
	v_cmp_gt_i32_e64 s[64:65], s33, v8
	s_bcnt1_i32_b64 s76, s[64:65]
	s_nop 0
	v_and_b32_e32 v10, s64, v2
	v_and_b32_e32 v9, s65, v3
	v_bcnt_u32_b32 v10, v10, 0
	v_bcnt_u32_b32 v9, v9, v10
	v_mov_b32_e32 v10, s76
	ds_write_b32 v6, v10
	s_waitcnt lgkmcnt(0)
	s_barrier
	s_and_saveexec_b64 s[76:77], s[60:61]
	s_cbranch_execz .LBB36_74
; %bb.42:                               ;   in Loop: Header=BB36_41 Depth=1
	v_readlane_b32 s80, v22, 12
	s_nop 1
	v_mov_b32_e32 v10, s80
	ds_read_b32 v10, v10
	s_waitcnt lgkmcnt(0)
	v_add_u32_e32 v9, v10, v9
	s_or_b64 exec, exec, s[76:77]
	s_and_saveexec_b64 s[76:77], s[62:63]
	s_cbranch_execnz .LBB36_75
.LBB36_43:                              ;   in Loop: Header=BB36_41 Depth=1
	s_or_b64 exec, exec, s[76:77]
	s_and_saveexec_b64 s[76:77], s[0:1]
	s_cbranch_execz .LBB36_76
.LBB36_44:                              ;   in Loop: Header=BB36_41 Depth=1
	v_readlane_b32 s80, v22, 14
	s_nop 1
	v_mov_b32_e32 v10, s80
	ds_read_b32 v10, v10
	s_waitcnt lgkmcnt(0)
	v_add_u32_e32 v9, v10, v9
	s_or_b64 exec, exec, s[76:77]
	s_and_saveexec_b64 s[76:77], s[2:3]
	s_cbranch_execnz .LBB36_77
.LBB36_45:                              ;   in Loop: Header=BB36_41 Depth=1
	s_or_b64 exec, exec, s[76:77]
	s_and_saveexec_b64 s[76:77], s[4:5]
	s_cbranch_execz .LBB36_78
.LBB36_46:                              ;   in Loop: Header=BB36_41 Depth=1
	v_mov_b32_e32 v10, s79
	ds_read_b32 v10, v10
	s_waitcnt lgkmcnt(0)
	v_add_u32_e32 v9, v10, v9
	s_or_b64 exec, exec, s[76:77]
	s_and_saveexec_b64 s[76:77], s[6:7]
	s_cbranch_execnz .LBB36_79
.LBB36_47:                              ;   in Loop: Header=BB36_41 Depth=1
	s_or_b64 exec, exec, s[76:77]
	s_and_saveexec_b64 s[76:77], s[8:9]
	s_cbranch_execz .LBB36_80
.LBB36_48:                              ;   in Loop: Header=BB36_41 Depth=1
	v_mov_b32_e32 v10, s82
	ds_read_b32 v10, v10
	s_waitcnt lgkmcnt(0)
	v_add_u32_e32 v9, v10, v9
	s_or_b64 exec, exec, s[76:77]
	s_and_saveexec_b64 s[76:77], s[10:11]
	s_cbranch_execnz .LBB36_81
.LBB36_49:                              ;   in Loop: Header=BB36_41 Depth=1
	s_or_b64 exec, exec, s[76:77]
	s_and_saveexec_b64 s[76:77], s[12:13]
	s_cbranch_execz .LBB36_82
.LBB36_50:                              ;   in Loop: Header=BB36_41 Depth=1
	v_mov_b32_e32 v10, s84
	ds_read_b32 v10, v10
	s_waitcnt lgkmcnt(0)
	v_add_u32_e32 v9, v10, v9
	s_or_b64 exec, exec, s[76:77]
	s_and_saveexec_b64 s[76:77], s[14:15]
	s_cbranch_execnz .LBB36_83
.LBB36_51:                              ;   in Loop: Header=BB36_41 Depth=1
	s_or_b64 exec, exec, s[76:77]
	s_and_saveexec_b64 s[76:77], s[16:17]
	s_cbranch_execz .LBB36_84
.LBB36_52:                              ;   in Loop: Header=BB36_41 Depth=1
	v_mov_b32_e32 v10, s86
	ds_read_b32 v10, v10
	s_waitcnt lgkmcnt(0)
	v_add_u32_e32 v9, v10, v9
	s_or_b64 exec, exec, s[76:77]
	s_and_saveexec_b64 s[76:77], s[18:19]
	s_cbranch_execnz .LBB36_85
.LBB36_53:                              ;   in Loop: Header=BB36_41 Depth=1
	s_or_b64 exec, exec, s[76:77]
	s_and_saveexec_b64 s[76:77], s[20:21]
	s_cbranch_execz .LBB36_86
.LBB36_54:                              ;   in Loop: Header=BB36_41 Depth=1
	v_mov_b32_e32 v10, s88
	ds_read_b32 v10, v10
	s_waitcnt lgkmcnt(0)
	v_add_u32_e32 v9, v10, v9
	s_or_b64 exec, exec, s[76:77]
	s_and_saveexec_b64 s[76:77], s[22:23]
	s_cbranch_execnz .LBB36_87
.LBB36_55:                              ;   in Loop: Header=BB36_41 Depth=1
	s_or_b64 exec, exec, s[76:77]
	s_and_saveexec_b64 s[76:77], s[24:25]
	s_cbranch_execz .LBB36_88
.LBB36_56:                              ;   in Loop: Header=BB36_41 Depth=1
	v_mov_b32_e32 v10, s90
	ds_read_b32 v10, v10
	s_waitcnt lgkmcnt(0)
	v_add_u32_e32 v9, v10, v9
	s_or_b64 exec, exec, s[76:77]
	s_and_saveexec_b64 s[76:77], s[26:27]
	s_cbranch_execnz .LBB36_89
.LBB36_57:                              ;   in Loop: Header=BB36_41 Depth=1
	s_or_b64 exec, exec, s[76:77]
	s_and_saveexec_b64 s[76:77], s[28:29]
	s_cbranch_execz .LBB36_90
.LBB36_58:                              ;   in Loop: Header=BB36_41 Depth=1
	v_mov_b32_e32 v10, s92
	ds_read_b32 v10, v10
	s_waitcnt lgkmcnt(0)
	v_add_u32_e32 v9, v10, v9
	s_or_b64 exec, exec, s[76:77]
	s_and_saveexec_b64 s[76:77], s[30:31]
	s_cbranch_execnz .LBB36_91
.LBB36_59:                              ;   in Loop: Header=BB36_41 Depth=1
	s_or_b64 exec, exec, s[76:77]
	s_and_saveexec_b64 s[76:77], s[34:35]
	s_cbranch_execz .LBB36_92
.LBB36_60:                              ;   in Loop: Header=BB36_41 Depth=1
	v_mov_b32_e32 v10, s94
	ds_read_b32 v10, v10
	s_waitcnt lgkmcnt(0)
	v_add_u32_e32 v9, v10, v9
	s_or_b64 exec, exec, s[76:77]
	s_and_saveexec_b64 s[76:77], s[36:37]
	s_cbranch_execnz .LBB36_93
.LBB36_61:                              ;   in Loop: Header=BB36_41 Depth=1
	s_or_b64 exec, exec, s[76:77]
	s_and_saveexec_b64 s[76:77], s[38:39]
	s_cbranch_execz .LBB36_94
.LBB36_62:                              ;   in Loop: Header=BB36_41 Depth=1
	v_mov_b32_e32 v10, s96
	ds_read_b32 v10, v10
	s_waitcnt lgkmcnt(0)
	v_add_u32_e32 v9, v10, v9
	s_or_b64 exec, exec, s[76:77]
	s_and_saveexec_b64 s[76:77], s[40:41]
	s_cbranch_execnz .LBB36_95
.LBB36_63:                              ;   in Loop: Header=BB36_41 Depth=1
	s_or_b64 exec, exec, s[76:77]
	s_and_saveexec_b64 s[76:77], s[42:43]
	s_cbranch_execz .LBB36_96
.LBB36_64:                              ;   in Loop: Header=BB36_41 Depth=1
	v_mov_b32_e32 v10, s98
	ds_read_b32 v10, v10
	s_waitcnt lgkmcnt(0)
	v_add_u32_e32 v9, v10, v9
	s_or_b64 exec, exec, s[76:77]
	s_and_saveexec_b64 s[76:77], s[44:45]
	s_cbranch_execnz .LBB36_97
.LBB36_65:                              ;   in Loop: Header=BB36_41 Depth=1
	s_or_b64 exec, exec, s[76:77]
	s_and_saveexec_b64 s[76:77], s[46:47]
	s_cbranch_execz .LBB36_98
.LBB36_66:                              ;   in Loop: Header=BB36_41 Depth=1
	v_mov_b32_e32 v10, s74
	ds_read_b32 v10, v10
	s_waitcnt lgkmcnt(0)
	v_add_u32_e32 v9, v10, v9
	s_or_b64 exec, exec, s[76:77]
	s_and_saveexec_b64 s[76:77], s[48:49]
	s_cbranch_execnz .LBB36_99
.LBB36_67:                              ;   in Loop: Header=BB36_41 Depth=1
	s_or_b64 exec, exec, s[76:77]
	s_and_saveexec_b64 s[76:77], s[50:51]
	s_cbranch_execz .LBB36_100
.LBB36_68:                              ;   in Loop: Header=BB36_41 Depth=1
	v_mov_b32_e32 v10, s73
	ds_read_b32 v10, v10
	s_waitcnt lgkmcnt(0)
	v_add_u32_e32 v9, v10, v9
	s_or_b64 exec, exec, s[76:77]
	s_and_saveexec_b64 s[76:77], s[52:53]
	s_cbranch_execnz .LBB36_101
.LBB36_69:                              ;   in Loop: Header=BB36_41 Depth=1
	s_or_b64 exec, exec, s[76:77]
	s_and_saveexec_b64 s[76:77], s[54:55]
	s_cbranch_execz .LBB36_102
.LBB36_70:                              ;   in Loop: Header=BB36_41 Depth=1
	v_mov_b32_e32 v10, s67
	ds_read_b32 v10, v10
	s_waitcnt lgkmcnt(0)
	v_add_u32_e32 v9, v10, v9
	s_or_b64 exec, exec, s[76:77]
	s_and_saveexec_b64 s[76:77], s[56:57]
	s_cbranch_execnz .LBB36_103
.LBB36_71:                              ;   in Loop: Header=BB36_41 Depth=1
	s_or_b64 exec, exec, s[76:77]
	s_and_saveexec_b64 s[76:77], s[58:59]
	s_cbranch_execz .LBB36_104
.LBB36_72:                              ;   in Loop: Header=BB36_41 Depth=1
	v_mov_b32_e32 v10, s75
	ds_read_b32 v10, v10
	s_waitcnt lgkmcnt(0)
	v_add_u32_e32 v9, v10, v9
	s_or_b64 exec, exec, s[76:77]
	s_and_saveexec_b64 s[76:77], s[64:65]
	s_cbranch_execnz .LBB36_105
.LBB36_73:                              ;   in Loop: Header=BB36_41 Depth=1
	s_or_b64 exec, exec, s[76:77]
	s_and_saveexec_b64 s[64:65], vcc
	s_cbranch_execz .LBB36_40
	s_branch .LBB36_106
.LBB36_74:                              ;   in Loop: Header=BB36_41 Depth=1
	s_or_b64 exec, exec, s[76:77]
	s_and_saveexec_b64 s[76:77], s[62:63]
	s_cbranch_execz .LBB36_43
.LBB36_75:                              ;   in Loop: Header=BB36_41 Depth=1
	v_readlane_b32 s80, v22, 13
	s_nop 1
	v_mov_b32_e32 v10, s80
	ds_read_b32 v10, v10
	s_waitcnt lgkmcnt(0)
	v_add_u32_e32 v9, v10, v9
	s_or_b64 exec, exec, s[76:77]
	s_and_saveexec_b64 s[76:77], s[0:1]
	s_cbranch_execnz .LBB36_44
.LBB36_76:                              ;   in Loop: Header=BB36_41 Depth=1
	s_or_b64 exec, exec, s[76:77]
	s_and_saveexec_b64 s[76:77], s[2:3]
	s_cbranch_execz .LBB36_45
.LBB36_77:                              ;   in Loop: Header=BB36_41 Depth=1
	v_readlane_b32 s80, v22, 15
	s_nop 1
	v_mov_b32_e32 v10, s80
	ds_read_b32 v10, v10
	s_waitcnt lgkmcnt(0)
	v_add_u32_e32 v9, v10, v9
	s_or_b64 exec, exec, s[76:77]
	s_and_saveexec_b64 s[76:77], s[4:5]
	s_cbranch_execnz .LBB36_46
.LBB36_78:                              ;   in Loop: Header=BB36_41 Depth=1
	s_or_b64 exec, exec, s[76:77]
	s_and_saveexec_b64 s[76:77], s[6:7]
	s_cbranch_execz .LBB36_47
.LBB36_79:                              ;   in Loop: Header=BB36_41 Depth=1
	v_readlane_b32 s80, v22, 16
	s_nop 1
	v_mov_b32_e32 v10, s80
	ds_read_b32 v10, v10
	s_waitcnt lgkmcnt(0)
	v_add_u32_e32 v9, v10, v9
	s_or_b64 exec, exec, s[76:77]
	s_and_saveexec_b64 s[76:77], s[8:9]
	s_cbranch_execnz .LBB36_48
.LBB36_80:                              ;   in Loop: Header=BB36_41 Depth=1
	s_or_b64 exec, exec, s[76:77]
	s_and_saveexec_b64 s[76:77], s[10:11]
	s_cbranch_execz .LBB36_49
.LBB36_81:                              ;   in Loop: Header=BB36_41 Depth=1
	v_mov_b32_e32 v10, s83
	ds_read_b32 v10, v10
	s_waitcnt lgkmcnt(0)
	v_add_u32_e32 v9, v10, v9
	s_or_b64 exec, exec, s[76:77]
	s_and_saveexec_b64 s[76:77], s[12:13]
	s_cbranch_execnz .LBB36_50
.LBB36_82:                              ;   in Loop: Header=BB36_41 Depth=1
	s_or_b64 exec, exec, s[76:77]
	s_and_saveexec_b64 s[76:77], s[14:15]
	s_cbranch_execz .LBB36_51
.LBB36_83:                              ;   in Loop: Header=BB36_41 Depth=1
	v_mov_b32_e32 v10, s85
	ds_read_b32 v10, v10
	s_waitcnt lgkmcnt(0)
	v_add_u32_e32 v9, v10, v9
	s_or_b64 exec, exec, s[76:77]
	s_and_saveexec_b64 s[76:77], s[16:17]
	s_cbranch_execnz .LBB36_52
.LBB36_84:                              ;   in Loop: Header=BB36_41 Depth=1
	s_or_b64 exec, exec, s[76:77]
	s_and_saveexec_b64 s[76:77], s[18:19]
	s_cbranch_execz .LBB36_53
.LBB36_85:                              ;   in Loop: Header=BB36_41 Depth=1
	v_mov_b32_e32 v10, s87
	ds_read_b32 v10, v10
	s_waitcnt lgkmcnt(0)
	v_add_u32_e32 v9, v10, v9
	s_or_b64 exec, exec, s[76:77]
	s_and_saveexec_b64 s[76:77], s[20:21]
	s_cbranch_execnz .LBB36_54
.LBB36_86:                              ;   in Loop: Header=BB36_41 Depth=1
	s_or_b64 exec, exec, s[76:77]
	s_and_saveexec_b64 s[76:77], s[22:23]
	s_cbranch_execz .LBB36_55
.LBB36_87:                              ;   in Loop: Header=BB36_41 Depth=1
	v_mov_b32_e32 v10, s89
	ds_read_b32 v10, v10
	s_waitcnt lgkmcnt(0)
	v_add_u32_e32 v9, v10, v9
	s_or_b64 exec, exec, s[76:77]
	s_and_saveexec_b64 s[76:77], s[24:25]
	s_cbranch_execnz .LBB36_56
.LBB36_88:                              ;   in Loop: Header=BB36_41 Depth=1
	s_or_b64 exec, exec, s[76:77]
	s_and_saveexec_b64 s[76:77], s[26:27]
	s_cbranch_execz .LBB36_57
.LBB36_89:                              ;   in Loop: Header=BB36_41 Depth=1
	v_mov_b32_e32 v10, s91
	ds_read_b32 v10, v10
	s_waitcnt lgkmcnt(0)
	v_add_u32_e32 v9, v10, v9
	s_or_b64 exec, exec, s[76:77]
	s_and_saveexec_b64 s[76:77], s[28:29]
	s_cbranch_execnz .LBB36_58
.LBB36_90:                              ;   in Loop: Header=BB36_41 Depth=1
	s_or_b64 exec, exec, s[76:77]
	s_and_saveexec_b64 s[76:77], s[30:31]
	s_cbranch_execz .LBB36_59
.LBB36_91:                              ;   in Loop: Header=BB36_41 Depth=1
	v_mov_b32_e32 v10, s93
	ds_read_b32 v10, v10
	s_waitcnt lgkmcnt(0)
	v_add_u32_e32 v9, v10, v9
	s_or_b64 exec, exec, s[76:77]
	s_and_saveexec_b64 s[76:77], s[34:35]
	s_cbranch_execnz .LBB36_60
.LBB36_92:                              ;   in Loop: Header=BB36_41 Depth=1
	s_or_b64 exec, exec, s[76:77]
	s_and_saveexec_b64 s[76:77], s[36:37]
	s_cbranch_execz .LBB36_61
.LBB36_93:                              ;   in Loop: Header=BB36_41 Depth=1
	v_mov_b32_e32 v10, s95
	ds_read_b32 v10, v10
	s_waitcnt lgkmcnt(0)
	v_add_u32_e32 v9, v10, v9
	s_or_b64 exec, exec, s[76:77]
	s_and_saveexec_b64 s[76:77], s[38:39]
	s_cbranch_execnz .LBB36_62
.LBB36_94:                              ;   in Loop: Header=BB36_41 Depth=1
	s_or_b64 exec, exec, s[76:77]
	s_and_saveexec_b64 s[76:77], s[40:41]
	s_cbranch_execz .LBB36_63
.LBB36_95:                              ;   in Loop: Header=BB36_41 Depth=1
	v_mov_b32_e32 v10, s97
	ds_read_b32 v10, v10
	s_waitcnt lgkmcnt(0)
	v_add_u32_e32 v9, v10, v9
	s_or_b64 exec, exec, s[76:77]
	s_and_saveexec_b64 s[76:77], s[42:43]
	s_cbranch_execnz .LBB36_64
.LBB36_96:                              ;   in Loop: Header=BB36_41 Depth=1
	s_or_b64 exec, exec, s[76:77]
	s_and_saveexec_b64 s[76:77], s[44:45]
	s_cbranch_execz .LBB36_65
.LBB36_97:                              ;   in Loop: Header=BB36_41 Depth=1
	v_mov_b32_e32 v10, s99
	ds_read_b32 v10, v10
	s_waitcnt lgkmcnt(0)
	v_add_u32_e32 v9, v10, v9
	s_or_b64 exec, exec, s[76:77]
	s_and_saveexec_b64 s[76:77], s[46:47]
	s_cbranch_execnz .LBB36_66
.LBB36_98:                              ;   in Loop: Header=BB36_41 Depth=1
	s_or_b64 exec, exec, s[76:77]
	s_and_saveexec_b64 s[76:77], s[48:49]
	s_cbranch_execz .LBB36_67
.LBB36_99:                              ;   in Loop: Header=BB36_41 Depth=1
	v_mov_b32_e32 v10, s72
	ds_read_b32 v10, v10
	s_waitcnt lgkmcnt(0)
	v_add_u32_e32 v9, v10, v9
	s_or_b64 exec, exec, s[76:77]
	s_and_saveexec_b64 s[76:77], s[50:51]
	s_cbranch_execnz .LBB36_68
.LBB36_100:                             ;   in Loop: Header=BB36_41 Depth=1
	s_or_b64 exec, exec, s[76:77]
	s_and_saveexec_b64 s[76:77], s[52:53]
	s_cbranch_execz .LBB36_69
.LBB36_101:                             ;   in Loop: Header=BB36_41 Depth=1
	v_mov_b32_e32 v10, s66
	ds_read_b32 v10, v10
	s_waitcnt lgkmcnt(0)
	v_add_u32_e32 v9, v10, v9
	s_or_b64 exec, exec, s[76:77]
	s_and_saveexec_b64 s[76:77], s[54:55]
	s_cbranch_execnz .LBB36_70
.LBB36_102:                             ;   in Loop: Header=BB36_41 Depth=1
	s_or_b64 exec, exec, s[76:77]
	s_and_saveexec_b64 s[76:77], s[56:57]
	s_cbranch_execz .LBB36_71
.LBB36_103:                             ;   in Loop: Header=BB36_41 Depth=1
	v_mov_b32_e32 v10, s71
	ds_read_b32 v10, v10
	s_waitcnt lgkmcnt(0)
	v_add_u32_e32 v9, v10, v9
	s_or_b64 exec, exec, s[76:77]
	s_and_saveexec_b64 s[76:77], s[58:59]
	s_cbranch_execnz .LBB36_72
.LBB36_104:                             ;   in Loop: Header=BB36_41 Depth=1
	s_or_b64 exec, exec, s[76:77]
	s_and_saveexec_b64 s[76:77], s[64:65]
	s_cbranch_execz .LBB36_73
.LBB36_105:                             ;   in Loop: Header=BB36_41 Depth=1
	v_add3_u32 v10, v7, -1, v9
	v_lshl_add_u32 v11, v10, 2, 0
	v_lshl_add_u32 v10, v10, 3, 0
	v_add_u32_e32 v10, 0x20000, v10
	ds_write_b32 v11, v8
	ds_write_b64 v10, v[4:5]
	s_or_b64 exec, exec, s[76:77]
	s_and_saveexec_b64 s[64:65], vcc
	s_cbranch_execz .LBB36_40
.LBB36_106:                             ;   in Loop: Header=BB36_41 Depth=1
	v_mov_b32_e32 v4, s78
	ds_write_b32 v4, v9
	s_branch .LBB36_40
.LBB36_107:
	s_or_b64 exec, exec, s[68:69]
	v_readlane_b32 s0, v22, 10
	v_readlane_b32 s1, v22, 11
	;; [unrolled: 1-line block ×3, first 2 shown]
	s_ashr_i32 s1, s0, 31
	v_readlane_b32 s6, v22, 4
	v_readlane_b32 s7, v22, 5
	;; [unrolled: 1-line block ×4, first 2 shown]
	s_lshl_b64 s[0:1], s[0:1], 2
	s_mov_b64 s[6:7], s[10:11]
	s_add_u32 s2, s6, s0
	s_addc_u32 s3, s7, s1
	s_load_dwordx2 s[0:1], s[2:3], 0x0
	v_readlane_b32 s5, v22, 3
	v_readlane_b32 s8, v22, 6
	;; [unrolled: 1-line block ×3, first 2 shown]
	s_waitcnt lgkmcnt(0)
	s_sub_i32 s14, s1, s0
	v_cmp_gt_i32_e32 vcc, s14, v0
	s_and_saveexec_b64 s[2:3], vcc
	s_cbranch_execz .LBB36_121
; %bb.108:
	s_sub_i32 s8, s0, s70
	v_sub_co_u32_e64 v1, s[0:1], s14, 2
	s_nop 0
	v_readfirstlane_b32 s2, v1
	s_lshr_b32 s2, s2, 1
	s_add_i32 s2, s2, 1
	s_xor_b64 s[0:1], s[0:1], -1
	s_and_b32 s15, s14, -2
	s_and_b32 s3, s2, 7
	s_and_b32 s16, s2, -8
	s_cmp_lg_u32 s3, 0
	v_cmp_lt_u32_e32 vcc, 13, v1
	s_cselect_b64 s[4:5], -1, 0
	s_cmp_lg_u32 s14, s15
	v_cndmask_b32_e64 v1, 0, 1, vcc
	s_cselect_b64 s[10:11], -1, 0
	s_lshl_b32 s17, s3, 3
	v_cndmask_b32_e64 v2, 0, 1, s[0:1]
	v_cmp_ne_u32_e64 s[2:3], 1, v1
	v_cndmask_b32_e64 v1, 0, 1, s[4:5]
	s_mov_b32 s9, 0
	s_mov_b64 s[12:13], 0
	v_cmp_ne_u32_e64 s[0:1], 1, v2
	v_cmp_ne_u32_e64 s[4:5], 1, v1
	s_branch .LBB36_110
.LBB36_109:                             ;   in Loop: Header=BB36_110 Depth=1
	v_readlane_b32 s6, v22, 0
	v_add_u32_e32 v0, 0x400, v0
	v_ashrrev_i32_e32 v5, 31, v4
	v_readlane_b32 s7, v22, 1
	v_cmp_le_i32_e32 vcc, s14, v0
	s_or_b64 s[12:13], vcc, s[12:13]
	v_lshl_add_u64 v[4:5], v[4:5], 3, s[6:7]
	s_waitcnt lgkmcnt(0)
	global_store_dwordx2 v[4:5], v[2:3], off
	s_andn2_b64 exec, exec, s[12:13]
	s_cbranch_execz .LBB36_121
.LBB36_110:                             ; =>This Loop Header: Depth=1
                                        ;     Child Loop BB36_113 Depth 2
                                        ;     Child Loop BB36_116 Depth 2
	;; [unrolled: 1-line block ×3, first 2 shown]
	v_lshl_add_u32 v2, v0, 3, 0
	v_lshl_add_u32 v1, v0, 2, 0
	v_add_u32_e32 v2, 0x20000, v2
	ds_read_b32 v1, v1
	ds_read_b64 v[2:3], v2
	s_and_b64 vcc, exec, s[0:1]
	v_mov_b32_e32 v4, s8
	s_mov_b32 s18, 0
	s_mov_b64 s[6:7], -1
	s_cbranch_vccnz .LBB36_118
; %bb.111:                              ;   in Loop: Header=BB36_110 Depth=1
	s_and_b64 vcc, exec, s[2:3]
	v_mov_b64_e32 v[4:5], s[8:9]
	s_cbranch_vccnz .LBB36_114
; %bb.112:                              ;   in Loop: Header=BB36_110 Depth=1
	s_mov_b32 s19, 0
	v_mov_b32_e32 v4, s8
	v_mov_b32_e32 v5, 0
	s_mov_b32 s20, s16
.LBB36_113:                             ;   Parent Loop BB36_110 Depth=1
                                        ; =>  This Inner Loop Header: Depth=2
	v_mov_b32_e32 v20, s19
	ds_read2_b32 v[6:7], v20 offset1:1
	ds_read2_b32 v[8:9], v20 offset0:2 offset1:3
	ds_read2_b32 v[10:11], v20 offset0:4 offset1:5
	ds_read2_b32 v[12:13], v20 offset0:6 offset1:7
	ds_read2_b32 v[14:15], v20 offset0:8 offset1:9
	ds_read2_b32 v[16:17], v20 offset0:10 offset1:11
	ds_read2_b32 v[18:19], v20 offset0:12 offset1:13
	ds_read2_b32 v[20:21], v20 offset0:14 offset1:15
	s_waitcnt lgkmcnt(7)
	v_cmp_gt_i32_e32 vcc, v1, v7
	s_waitcnt lgkmcnt(5)
	v_cmp_gt_i32_e64 s[6:7], v1, v10
	s_add_i32 s18, s18, 16
	v_cndmask_b32_e64 v7, 0, 1, vcc
	v_cmp_gt_i32_e32 vcc, v1, v6
	s_add_i32 s19, s19, 64
	s_add_i32 s20, s20, -8
	v_cndmask_b32_e64 v6, 0, 1, vcc
	v_cmp_gt_i32_e32 vcc, v1, v9
	v_cndmask_b32_e64 v9, 0, 1, s[6:7]
	v_cmp_gt_i32_e64 s[6:7], v1, v11
	v_addc_co_u32_e32 v5, vcc, v5, v7, vcc
	s_nop 0
	v_cndmask_b32_e64 v10, 0, 1, s[6:7]
	s_waitcnt lgkmcnt(3)
	v_cmp_gt_i32_e64 s[6:7], v1, v15
	v_cmp_gt_i32_e32 vcc, v1, v12
	s_cmp_lg_u32 s20, 0
	v_cndmask_b32_e64 v11, 0, 1, s[6:7]
	v_cmp_gt_i32_e64 s[6:7], v1, v14
	s_nop 1
	v_cndmask_b32_e64 v14, 0, 1, s[6:7]
	s_waitcnt lgkmcnt(1)
	v_cmp_gt_i32_e64 s[6:7], v1, v18
	s_nop 1
	v_cndmask_b32_e64 v15, 0, 1, s[6:7]
	v_cmp_gt_i32_e64 s[6:7], v1, v19
	s_nop 1
	v_cndmask_b32_e64 v18, 0, 1, s[6:7]
	v_cmp_gt_i32_e64 s[6:7], v1, v8
	s_nop 1
	v_addc_co_u32_e64 v4, s[6:7], v4, v6, s[6:7]
	v_cmp_gt_i32_e64 s[6:7], v1, v13
	v_addc_co_u32_e32 v4, vcc, v4, v9, vcc
	s_nop 0
	v_addc_co_u32_e64 v5, s[6:7], v5, v10, s[6:7]
	v_cmp_gt_i32_e32 vcc, v1, v17
	v_cmp_gt_i32_e64 s[6:7], v1, v16
	s_nop 0
	v_addc_co_u32_e32 v5, vcc, v5, v11, vcc
	v_addc_co_u32_e64 v4, s[6:7], v4, v14, s[6:7]
	s_waitcnt lgkmcnt(0)
	v_cmp_gt_i32_e32 vcc, v1, v20
	v_cmp_gt_i32_e64 s[6:7], v1, v21
	s_nop 0
	v_addc_co_u32_e32 v4, vcc, v4, v15, vcc
	v_addc_co_u32_e64 v5, s[6:7], v5, v18, s[6:7]
	s_cbranch_scc1 .LBB36_113
.LBB36_114:                             ;   in Loop: Header=BB36_110 Depth=1
	s_and_b64 vcc, exec, s[4:5]
	s_cbranch_vccnz .LBB36_117
; %bb.115:                              ;   in Loop: Header=BB36_110 Depth=1
	s_lshl_b32 s6, s18, 2
	s_add_i32 s6, s6, 0
	s_mov_b32 s7, s17
.LBB36_116:                             ;   Parent Loop BB36_110 Depth=1
                                        ; =>  This Inner Loop Header: Depth=2
	v_mov_b32_e32 v6, s6
	ds_read2_b32 v[6:7], v6 offset1:1
	s_add_i32 s6, s6, 8
	s_add_i32 s7, s7, -8
	s_cmp_lg_u32 s7, 0
	s_waitcnt lgkmcnt(0)
	v_cmp_gt_i32_e32 vcc, v1, v7
	s_nop 1
	v_addc_co_u32_e32 v5, vcc, 0, v5, vcc
	v_cmp_gt_i32_e32 vcc, v1, v6
	s_nop 1
	v_addc_co_u32_e32 v4, vcc, 0, v4, vcc
	s_cbranch_scc1 .LBB36_116
.LBB36_117:                             ;   in Loop: Header=BB36_110 Depth=1
	v_add_u32_e32 v4, v4, v5
	s_mov_b32 s18, s15
	s_mov_b64 s[6:7], s[10:11]
.LBB36_118:                             ;   in Loop: Header=BB36_110 Depth=1
	s_and_b64 vcc, exec, s[6:7]
	s_cbranch_vccz .LBB36_109
; %bb.119:                              ;   in Loop: Header=BB36_110 Depth=1
	s_lshl_b32 s6, s18, 2
	s_add_i32 s6, s6, 0
.LBB36_120:                             ;   Parent Loop BB36_110 Depth=1
                                        ; =>  This Inner Loop Header: Depth=2
	v_mov_b32_e32 v5, s6
	ds_read_b32 v5, v5
	s_add_i32 s18, s18, 1
	s_add_i32 s6, s6, 4
	s_cmp_ge_i32 s18, s14
	s_waitcnt lgkmcnt(0)
	v_cmp_gt_i32_e32 vcc, v1, v5
	s_nop 1
	v_addc_co_u32_e32 v4, vcc, 0, v4, vcc
	s_cbranch_scc0 .LBB36_120
	s_branch .LBB36_109
.LBB36_121:
	s_endpgm
	.section	.rodata,"a",@progbits
	.p2align	6, 0x0
	.amdhsa_kernel _ZN9rocsparseL41csrgemm_numeric_fill_block_per_row_kernelILj1024ELj64ELj32768ELj137ELj32EiidEEvT5_PKS1_S3_NS_24const_host_device_scalarIT6_EEPKT4_S3_PKS5_S9_S3_SB_S6_S9_S3_SB_S9_S3_PS5_21rocsparse_index_base_SD_SD_SD_bbb
		.amdhsa_group_segment_fixed_size 0
		.amdhsa_private_segment_fixed_size 0
		.amdhsa_kernarg_size 156
		.amdhsa_user_sgpr_count 2
		.amdhsa_user_sgpr_dispatch_ptr 0
		.amdhsa_user_sgpr_queue_ptr 0
		.amdhsa_user_sgpr_kernarg_segment_ptr 1
		.amdhsa_user_sgpr_dispatch_id 0
		.amdhsa_user_sgpr_kernarg_preload_length 0
		.amdhsa_user_sgpr_kernarg_preload_offset 0
		.amdhsa_user_sgpr_private_segment_size 0
		.amdhsa_uses_dynamic_stack 0
		.amdhsa_enable_private_segment 0
		.amdhsa_system_sgpr_workgroup_id_x 1
		.amdhsa_system_sgpr_workgroup_id_y 0
		.amdhsa_system_sgpr_workgroup_id_z 0
		.amdhsa_system_sgpr_workgroup_info 0
		.amdhsa_system_vgpr_workitem_id 0
		.amdhsa_next_free_vgpr 23
		.amdhsa_next_free_sgpr 100
		.amdhsa_accum_offset 24
		.amdhsa_reserve_vcc 1
		.amdhsa_float_round_mode_32 0
		.amdhsa_float_round_mode_16_64 0
		.amdhsa_float_denorm_mode_32 3
		.amdhsa_float_denorm_mode_16_64 3
		.amdhsa_dx10_clamp 1
		.amdhsa_ieee_mode 1
		.amdhsa_fp16_overflow 0
		.amdhsa_tg_split 0
		.amdhsa_exception_fp_ieee_invalid_op 0
		.amdhsa_exception_fp_denorm_src 0
		.amdhsa_exception_fp_ieee_div_zero 0
		.amdhsa_exception_fp_ieee_overflow 0
		.amdhsa_exception_fp_ieee_underflow 0
		.amdhsa_exception_fp_ieee_inexact 0
		.amdhsa_exception_int_div_zero 0
	.end_amdhsa_kernel
	.section	.text._ZN9rocsparseL41csrgemm_numeric_fill_block_per_row_kernelILj1024ELj64ELj32768ELj137ELj32EiidEEvT5_PKS1_S3_NS_24const_host_device_scalarIT6_EEPKT4_S3_PKS5_S9_S3_SB_S6_S9_S3_SB_S9_S3_PS5_21rocsparse_index_base_SD_SD_SD_bbb,"axG",@progbits,_ZN9rocsparseL41csrgemm_numeric_fill_block_per_row_kernelILj1024ELj64ELj32768ELj137ELj32EiidEEvT5_PKS1_S3_NS_24const_host_device_scalarIT6_EEPKT4_S3_PKS5_S9_S3_SB_S6_S9_S3_SB_S9_S3_PS5_21rocsparse_index_base_SD_SD_SD_bbb,comdat
.Lfunc_end36:
	.size	_ZN9rocsparseL41csrgemm_numeric_fill_block_per_row_kernelILj1024ELj64ELj32768ELj137ELj32EiidEEvT5_PKS1_S3_NS_24const_host_device_scalarIT6_EEPKT4_S3_PKS5_S9_S3_SB_S6_S9_S3_SB_S9_S3_PS5_21rocsparse_index_base_SD_SD_SD_bbb, .Lfunc_end36-_ZN9rocsparseL41csrgemm_numeric_fill_block_per_row_kernelILj1024ELj64ELj32768ELj137ELj32EiidEEvT5_PKS1_S3_NS_24const_host_device_scalarIT6_EEPKT4_S3_PKS5_S9_S3_SB_S6_S9_S3_SB_S9_S3_PS5_21rocsparse_index_base_SD_SD_SD_bbb
                                        ; -- End function
	.set _ZN9rocsparseL41csrgemm_numeric_fill_block_per_row_kernelILj1024ELj64ELj32768ELj137ELj32EiidEEvT5_PKS1_S3_NS_24const_host_device_scalarIT6_EEPKT4_S3_PKS5_S9_S3_SB_S6_S9_S3_SB_S9_S3_PS5_21rocsparse_index_base_SD_SD_SD_bbb.num_vgpr, 23
	.set _ZN9rocsparseL41csrgemm_numeric_fill_block_per_row_kernelILj1024ELj64ELj32768ELj137ELj32EiidEEvT5_PKS1_S3_NS_24const_host_device_scalarIT6_EEPKT4_S3_PKS5_S9_S3_SB_S6_S9_S3_SB_S9_S3_PS5_21rocsparse_index_base_SD_SD_SD_bbb.num_agpr, 0
	.set _ZN9rocsparseL41csrgemm_numeric_fill_block_per_row_kernelILj1024ELj64ELj32768ELj137ELj32EiidEEvT5_PKS1_S3_NS_24const_host_device_scalarIT6_EEPKT4_S3_PKS5_S9_S3_SB_S6_S9_S3_SB_S9_S3_PS5_21rocsparse_index_base_SD_SD_SD_bbb.numbered_sgpr, 100
	.set _ZN9rocsparseL41csrgemm_numeric_fill_block_per_row_kernelILj1024ELj64ELj32768ELj137ELj32EiidEEvT5_PKS1_S3_NS_24const_host_device_scalarIT6_EEPKT4_S3_PKS5_S9_S3_SB_S6_S9_S3_SB_S9_S3_PS5_21rocsparse_index_base_SD_SD_SD_bbb.num_named_barrier, 0
	.set _ZN9rocsparseL41csrgemm_numeric_fill_block_per_row_kernelILj1024ELj64ELj32768ELj137ELj32EiidEEvT5_PKS1_S3_NS_24const_host_device_scalarIT6_EEPKT4_S3_PKS5_S9_S3_SB_S6_S9_S3_SB_S9_S3_PS5_21rocsparse_index_base_SD_SD_SD_bbb.private_seg_size, 0
	.set _ZN9rocsparseL41csrgemm_numeric_fill_block_per_row_kernelILj1024ELj64ELj32768ELj137ELj32EiidEEvT5_PKS1_S3_NS_24const_host_device_scalarIT6_EEPKT4_S3_PKS5_S9_S3_SB_S6_S9_S3_SB_S9_S3_PS5_21rocsparse_index_base_SD_SD_SD_bbb.uses_vcc, 1
	.set _ZN9rocsparseL41csrgemm_numeric_fill_block_per_row_kernelILj1024ELj64ELj32768ELj137ELj32EiidEEvT5_PKS1_S3_NS_24const_host_device_scalarIT6_EEPKT4_S3_PKS5_S9_S3_SB_S6_S9_S3_SB_S9_S3_PS5_21rocsparse_index_base_SD_SD_SD_bbb.uses_flat_scratch, 0
	.set _ZN9rocsparseL41csrgemm_numeric_fill_block_per_row_kernelILj1024ELj64ELj32768ELj137ELj32EiidEEvT5_PKS1_S3_NS_24const_host_device_scalarIT6_EEPKT4_S3_PKS5_S9_S3_SB_S6_S9_S3_SB_S9_S3_PS5_21rocsparse_index_base_SD_SD_SD_bbb.has_dyn_sized_stack, 0
	.set _ZN9rocsparseL41csrgemm_numeric_fill_block_per_row_kernelILj1024ELj64ELj32768ELj137ELj32EiidEEvT5_PKS1_S3_NS_24const_host_device_scalarIT6_EEPKT4_S3_PKS5_S9_S3_SB_S6_S9_S3_SB_S9_S3_PS5_21rocsparse_index_base_SD_SD_SD_bbb.has_recursion, 0
	.set _ZN9rocsparseL41csrgemm_numeric_fill_block_per_row_kernelILj1024ELj64ELj32768ELj137ELj32EiidEEvT5_PKS1_S3_NS_24const_host_device_scalarIT6_EEPKT4_S3_PKS5_S9_S3_SB_S6_S9_S3_SB_S9_S3_PS5_21rocsparse_index_base_SD_SD_SD_bbb.has_indirect_call, 0
	.section	.AMDGPU.csdata,"",@progbits
; Kernel info:
; codeLenInByte = 4980
; TotalNumSgprs: 106
; NumVgprs: 23
; NumAgprs: 0
; TotalNumVgprs: 23
; ScratchSize: 0
; MemoryBound: 0
; FloatMode: 240
; IeeeMode: 1
; LDSByteSize: 0 bytes/workgroup (compile time only)
; SGPRBlocks: 13
; VGPRBlocks: 2
; NumSGPRsForWavesPerEU: 106
; NumVGPRsForWavesPerEU: 23
; AccumOffset: 24
; Occupancy: 7
; WaveLimiterHint : 1
; COMPUTE_PGM_RSRC2:SCRATCH_EN: 0
; COMPUTE_PGM_RSRC2:USER_SGPR: 2
; COMPUTE_PGM_RSRC2:TRAP_HANDLER: 0
; COMPUTE_PGM_RSRC2:TGID_X_EN: 1
; COMPUTE_PGM_RSRC2:TGID_Y_EN: 0
; COMPUTE_PGM_RSRC2:TGID_Z_EN: 0
; COMPUTE_PGM_RSRC2:TIDIG_COMP_CNT: 0
; COMPUTE_PGM_RSRC3_GFX90A:ACCUM_OFFSET: 5
; COMPUTE_PGM_RSRC3_GFX90A:TG_SPLIT: 0
	.section	.text._ZN9rocsparseL41csrgemm_numeric_fill_block_per_row_kernelILj1024ELj64ELj32768ELj137ELj64EiidEEvT5_PKS1_S3_NS_24const_host_device_scalarIT6_EEPKT4_S3_PKS5_S9_S3_SB_S6_S9_S3_SB_S9_S3_PS5_21rocsparse_index_base_SD_SD_SD_bbb,"axG",@progbits,_ZN9rocsparseL41csrgemm_numeric_fill_block_per_row_kernelILj1024ELj64ELj32768ELj137ELj64EiidEEvT5_PKS1_S3_NS_24const_host_device_scalarIT6_EEPKT4_S3_PKS5_S9_S3_SB_S6_S9_S3_SB_S9_S3_PS5_21rocsparse_index_base_SD_SD_SD_bbb,comdat
	.globl	_ZN9rocsparseL41csrgemm_numeric_fill_block_per_row_kernelILj1024ELj64ELj32768ELj137ELj64EiidEEvT5_PKS1_S3_NS_24const_host_device_scalarIT6_EEPKT4_S3_PKS5_S9_S3_SB_S6_S9_S3_SB_S9_S3_PS5_21rocsparse_index_base_SD_SD_SD_bbb ; -- Begin function _ZN9rocsparseL41csrgemm_numeric_fill_block_per_row_kernelILj1024ELj64ELj32768ELj137ELj64EiidEEvT5_PKS1_S3_NS_24const_host_device_scalarIT6_EEPKT4_S3_PKS5_S9_S3_SB_S6_S9_S3_SB_S9_S3_PS5_21rocsparse_index_base_SD_SD_SD_bbb
	.p2align	8
	.type	_ZN9rocsparseL41csrgemm_numeric_fill_block_per_row_kernelILj1024ELj64ELj32768ELj137ELj64EiidEEvT5_PKS1_S3_NS_24const_host_device_scalarIT6_EEPKT4_S3_PKS5_S9_S3_SB_S6_S9_S3_SB_S9_S3_PS5_21rocsparse_index_base_SD_SD_SD_bbb,@function
_ZN9rocsparseL41csrgemm_numeric_fill_block_per_row_kernelILj1024ELj64ELj32768ELj137ELj64EiidEEvT5_PKS1_S3_NS_24const_host_device_scalarIT6_EEPKT4_S3_PKS5_S9_S3_SB_S6_S9_S3_SB_S9_S3_PS5_21rocsparse_index_base_SD_SD_SD_bbb: ; @_ZN9rocsparseL41csrgemm_numeric_fill_block_per_row_kernelILj1024ELj64ELj32768ELj137ELj64EiidEEvT5_PKS1_S3_NS_24const_host_device_scalarIT6_EEPKT4_S3_PKS5_S9_S3_SB_S6_S9_S3_SB_S9_S3_PS5_21rocsparse_index_base_SD_SD_SD_bbb
; %bb.0:
	s_load_dword s3, s[0:1], 0x98
	s_load_dwordx4 s[44:47], s[0:1], 0x88
	s_load_dwordx2 s[4:5], s[0:1], 0x18
	s_load_dwordx2 s[24:25], s[0:1], 0x50
	s_waitcnt lgkmcnt(0)
	s_bitcmp1_b32 s3, 0
	s_cselect_b64 s[22:23], -1, 0
	s_bitcmp1_b32 s3, 16
	s_cselect_b64 s[26:27], -1, 0
	s_xor_b64 s[6:7], s[22:23], -1
	s_or_b64 s[6:7], s[26:27], s[6:7]
	s_and_b64 s[8:9], s[22:23], exec
	s_cselect_b32 s9, s5, 0
	s_cselect_b32 s8, s4, 0
	s_and_b64 vcc, exec, s[6:7]
	v_mov_b64_e32 v[4:5], s[8:9]
	s_cbranch_vccnz .LBB37_2
; %bb.1:
	v_mov_b64_e32 v[2:3], s[4:5]
	flat_load_dwordx2 v[4:5], v[2:3]
.LBB37_2:
	s_load_dwordx2 s[34:35], s[0:1], 0x80
	s_load_dwordx8 s[36:43], s[0:1], 0x58
	s_load_dwordx4 s[12:15], s[0:1], 0x40
	s_load_dwordx4 s[16:19], s[0:1], 0x8
	s_load_dwordx8 s[4:11], s[0:1], 0x20
	s_bitcmp1_b32 s3, 8
	s_cselect_b64 s[20:21], -1, 0
	s_xor_b64 s[28:29], s[20:21], -1
	s_or_b64 s[26:27], s[26:27], s[28:29]
	s_and_b64 s[28:29], s[20:21], exec
	s_cselect_b32 s29, s25, 0
	s_cselect_b32 s28, s24, 0
	s_and_b64 vcc, exec, s[26:27]
	v_mov_b64_e32 v[2:3], s[28:29]
	s_cbranch_vccnz .LBB37_4
; %bb.3:
	v_mov_b64_e32 v[2:3], s[24:25]
	flat_load_dwordx2 v[2:3], v[2:3]
.LBB37_4:
	s_load_dword s33, s[0:1], 0x0
	v_lshl_add_u32 v7, v0, 3, 0
	v_or_b32_e32 v1, 0xfffffc00, v0
	v_mov_b32_e32 v6, 0
	v_add_u32_e32 v14, 0x20000, v7
	v_lshl_add_u32 v15, v0, 2, 0
	s_mov_b64 s[0:1], 0
	s_waitcnt lgkmcnt(0)
	v_mov_b32_e32 v11, s33
	v_mov_b32_e32 v7, v6
	s_movk_i32 s3, 0x7bff
	v_mov_b32_e32 v8, v15
	v_mov_b32_e32 v9, v14
	;; [unrolled: 1-line block ×3, first 2 shown]
.LBB37_5:                               ; =>This Inner Loop Header: Depth=1
	v_add_u32_e32 v10, 0x400, v10
	v_cmp_lt_u32_e32 vcc, s3, v10
	ds_write_b32 v8, v11
	ds_write_b64 v9, v[6:7]
	v_add_u32_e32 v9, 0x2000, v9
	s_or_b64 s[0:1], vcc, s[0:1]
	v_add_u32_e32 v8, 0x1000, v8
	s_andn2_b64 exec, exec, s[0:1]
	s_cbranch_execnz .LBB37_5
; %bb.6:
	s_or_b64 exec, exec, s[0:1]
	s_waitcnt lgkmcnt(0)
	s_barrier
	s_load_dword s0, s[16:17], 0x0
	s_mov_b32 s1, 0
	v_lshrrev_b32_e32 v16, 6, v0
	s_waitcnt lgkmcnt(0)
	s_add_i32 s0, s0, s2
	s_lshl_b64 s[0:1], s[0:1], 2
	s_add_u32 s0, s18, s0
	s_addc_u32 s1, s19, s1
	s_load_dword s48, s[0:1], 0x0
	s_and_b64 vcc, exec, s[22:23]
	s_cbranch_vccz .LBB37_24
; %bb.7:
	s_waitcnt lgkmcnt(0)
	s_ashr_i32 s49, s48, 31
	s_lshl_b64 s[0:1], s[48:49], 2
	s_add_u32 s0, s4, s0
	s_addc_u32 s1, s5, s1
	s_load_dwordx2 s[2:3], s[0:1], 0x0
	v_subrev_u32_e32 v6, s44, v16
	s_waitcnt lgkmcnt(0)
	s_sub_i32 s30, s3, s44
	v_add_u32_e32 v6, s2, v6
	v_cmp_gt_i32_e32 vcc, s30, v6
	s_and_saveexec_b64 s[0:1], vcc
	s_cbranch_execz .LBB37_23
; %bb.8:
	v_and_b32_e32 v7, 63, v0
	v_subrev_u32_e32 v17, s45, v7
	s_mov_b64 s[2:3], 0
	s_movk_i32 s31, 0x89
	s_branch .LBB37_10
.LBB37_9:                               ;   in Loop: Header=BB37_10 Depth=1
	s_or_b64 exec, exec, s[4:5]
	v_add_u32_e32 v6, 16, v6
	v_cmp_le_i32_e32 vcc, s30, v6
	s_or_b64 s[2:3], vcc, s[2:3]
	s_andn2_b64 exec, exec, s[2:3]
	s_cbranch_execz .LBB37_23
.LBB37_10:                              ; =>This Loop Header: Depth=1
                                        ;     Child Loop BB37_14 Depth 2
                                        ;       Child Loop BB37_17 Depth 3
	v_ashrrev_i32_e32 v7, 31, v6
	v_lshl_add_u64 v[8:9], v[6:7], 2, s[6:7]
	global_load_dword v8, v[8:9], off
	s_waitcnt vmcnt(0)
	v_subrev_u32_e32 v8, s44, v8
	v_ashrrev_i32_e32 v9, 31, v8
	v_lshl_add_u64 v[8:9], v[8:9], 2, s[10:11]
	global_load_dwordx2 v[8:9], v[8:9], off
	s_waitcnt vmcnt(0)
	v_subrev_u32_e32 v18, s45, v9
	v_add_u32_e32 v8, v8, v17
	v_cmp_lt_i32_e32 vcc, v8, v18
	s_and_saveexec_b64 s[4:5], vcc
	s_cbranch_execz .LBB37_9
; %bb.11:                               ;   in Loop: Header=BB37_10 Depth=1
	v_lshl_add_u64 v[10:11], v[6:7], 3, s[8:9]
	global_load_dwordx2 v[10:11], v[10:11], off
	s_mov_b64 s[16:17], 0
	s_waitcnt vmcnt(0)
	v_mul_f64 v[10:11], v[4:5], v[10:11]
	s_branch .LBB37_14
.LBB37_12:                              ;   in Loop: Header=BB37_14 Depth=2
	s_or_b64 exec, exec, s[22:23]
.LBB37_13:                              ;   in Loop: Header=BB37_14 Depth=2
	s_or_b64 exec, exec, s[18:19]
	v_lshl_add_u32 v7, v7, 3, 0
	s_waitcnt vmcnt(0)
	v_mul_f64 v[12:13], v[10:11], v[12:13]
	v_add_u32_e32 v7, 0x20000, v7
	ds_add_f64 v7, v[12:13]
	v_add_u32_e32 v8, 64, v8
	v_cmp_ge_i32_e32 vcc, v8, v18
	s_or_b64 s[16:17], vcc, s[16:17]
	s_andn2_b64 exec, exec, s[16:17]
	s_cbranch_execz .LBB37_9
.LBB37_14:                              ;   Parent Loop BB37_10 Depth=1
                                        ; =>  This Loop Header: Depth=2
                                        ;       Child Loop BB37_17 Depth 3
	v_ashrrev_i32_e32 v9, 31, v8
	v_lshl_add_u64 v[12:13], v[8:9], 2, s[12:13]
	global_load_dword v7, v[12:13], off
	v_lshl_add_u64 v[12:13], v[8:9], 3, s[14:15]
	global_load_dwordx2 v[12:13], v[12:13], off
	s_waitcnt vmcnt(1)
	v_subrev_u32_e32 v9, s45, v7
	v_mul_lo_u32 v7, v9, s31
	v_and_b32_e32 v7, 0x7fff, v7
	v_lshl_add_u32 v19, v7, 2, 0
	ds_read_b32 v20, v19
	s_waitcnt lgkmcnt(0)
	v_cmp_ne_u32_e32 vcc, v20, v9
	s_and_saveexec_b64 s[18:19], vcc
	s_cbranch_execz .LBB37_13
; %bb.15:                               ;   in Loop: Header=BB37_14 Depth=2
	s_mov_b64 s[22:23], 0
	s_branch .LBB37_17
.LBB37_16:                              ;   in Loop: Header=BB37_17 Depth=3
	s_or_b64 exec, exec, s[28:29]
	s_and_b64 s[24:25], exec, s[26:27]
	s_or_b64 s[22:23], s[24:25], s[22:23]
	s_andn2_b64 exec, exec, s[22:23]
	s_cbranch_execz .LBB37_12
.LBB37_17:                              ;   Parent Loop BB37_10 Depth=1
                                        ;     Parent Loop BB37_14 Depth=2
                                        ; =>    This Inner Loop Header: Depth=3
	v_cmp_ne_u32_e32 vcc, s33, v20
	s_mov_b64 s[24:25], 0
	s_and_saveexec_b64 s[26:27], vcc
	s_xor_b64 s[26:27], exec, s[26:27]
	s_cbranch_execz .LBB37_19
; %bb.18:                               ;   in Loop: Header=BB37_17 Depth=3
	v_add_u32_e32 v7, 1, v7
	s_mov_b64 s[24:25], exec
	v_and_b32_e32 v7, 0x7fff, v7
                                        ; implicit-def: $vgpr19
	s_andn2_saveexec_b64 s[26:27], s[26:27]
	s_cbranch_execz .LBB37_21
	s_branch .LBB37_20
.LBB37_19:                              ;   in Loop: Header=BB37_17 Depth=3
	s_andn2_saveexec_b64 s[26:27], s[26:27]
	s_cbranch_execz .LBB37_21
.LBB37_20:                              ;   in Loop: Header=BB37_17 Depth=3
	v_mov_b32_e32 v20, s33
	ds_cmpst_rtn_b32 v19, v19, v20, v9
	s_andn2_b64 s[24:25], s[24:25], exec
	s_waitcnt lgkmcnt(0)
	v_cmp_ne_u32_e32 vcc, s33, v19
	s_and_b64 s[28:29], vcc, exec
	s_or_b64 s[24:25], s[24:25], s[28:29]
.LBB37_21:                              ;   in Loop: Header=BB37_17 Depth=3
	s_or_b64 exec, exec, s[26:27]
	s_mov_b64 s[26:27], -1
                                        ; implicit-def: $vgpr19
                                        ; implicit-def: $vgpr20
	s_and_saveexec_b64 s[28:29], s[24:25]
	s_cbranch_execz .LBB37_16
; %bb.22:                               ;   in Loop: Header=BB37_17 Depth=3
	v_lshl_add_u32 v19, v7, 2, 0
	ds_read_b32 v20, v19
	s_waitcnt lgkmcnt(0)
	v_cmp_eq_u32_e32 vcc, v20, v9
	s_orn2_b64 s[26:27], vcc, exec
	s_branch .LBB37_16
.LBB37_23:
	s_or_b64 exec, exec, s[0:1]
.LBB37_24:
	s_andn2_b64 vcc, exec, s[20:21]
	s_cbranch_vccnz .LBB37_39
; %bb.25:
	s_waitcnt lgkmcnt(0)
	s_ashr_i32 s49, s48, 31
	s_lshl_b64 s[0:1], s[48:49], 2
	s_add_u32 s0, s36, s0
	s_addc_u32 s1, s37, s1
	s_load_dwordx2 s[2:3], s[0:1], 0x0
	s_waitcnt vmcnt(0)
	v_subrev_u32_e32 v4, s47, v0
	s_waitcnt lgkmcnt(0)
	s_sub_i32 s14, s3, s47
	v_add_u32_e32 v4, s2, v4
	v_cmp_gt_i32_e32 vcc, s14, v4
	s_and_saveexec_b64 s[0:1], vcc
	s_cbranch_execz .LBB37_38
; %bb.26:
	s_mov_b64 s[2:3], 0
	s_movk_i32 s15, 0x89
	s_branch .LBB37_29
.LBB37_27:                              ;   in Loop: Header=BB37_29 Depth=1
	s_or_b64 exec, exec, s[6:7]
.LBB37_28:                              ;   in Loop: Header=BB37_29 Depth=1
	s_or_b64 exec, exec, s[4:5]
	v_lshl_add_u32 v5, v5, 3, 0
	s_waitcnt vmcnt(0)
	v_mul_f64 v[6:7], v[2:3], v[6:7]
	v_add_u32_e32 v5, 0x20000, v5
	ds_add_f64 v5, v[6:7]
	v_add_u32_e32 v4, 0x400, v4
	v_cmp_le_i32_e32 vcc, s14, v4
	s_or_b64 s[2:3], vcc, s[2:3]
	s_andn2_b64 exec, exec, s[2:3]
	s_cbranch_execz .LBB37_38
.LBB37_29:                              ; =>This Loop Header: Depth=1
                                        ;     Child Loop BB37_32 Depth 2
	v_ashrrev_i32_e32 v5, 31, v4
	v_lshl_add_u64 v[6:7], v[4:5], 2, s[38:39]
	global_load_dword v8, v[6:7], off
	v_lshl_add_u64 v[6:7], v[4:5], 3, s[40:41]
	global_load_dwordx2 v[6:7], v[6:7], off
	s_waitcnt vmcnt(1)
	v_subrev_u32_e32 v8, s47, v8
	v_mul_lo_u32 v5, v8, s15
	v_and_b32_e32 v5, 0x7fff, v5
	v_lshl_add_u32 v9, v5, 2, 0
	ds_read_b32 v10, v9
	s_waitcnt lgkmcnt(0)
	v_cmp_ne_u32_e32 vcc, v10, v8
	s_and_saveexec_b64 s[4:5], vcc
	s_cbranch_execz .LBB37_28
; %bb.30:                               ;   in Loop: Header=BB37_29 Depth=1
	s_mov_b64 s[6:7], 0
	s_branch .LBB37_32
.LBB37_31:                              ;   in Loop: Header=BB37_32 Depth=2
	s_or_b64 exec, exec, s[12:13]
	s_and_b64 s[8:9], exec, s[10:11]
	s_or_b64 s[6:7], s[8:9], s[6:7]
	s_andn2_b64 exec, exec, s[6:7]
	s_cbranch_execz .LBB37_27
.LBB37_32:                              ;   Parent Loop BB37_29 Depth=1
                                        ; =>  This Inner Loop Header: Depth=2
	v_cmp_ne_u32_e32 vcc, s33, v10
	s_mov_b64 s[8:9], 0
	s_and_saveexec_b64 s[10:11], vcc
	s_xor_b64 s[10:11], exec, s[10:11]
	s_cbranch_execz .LBB37_34
; %bb.33:                               ;   in Loop: Header=BB37_32 Depth=2
	v_add_u32_e32 v5, 1, v5
	s_mov_b64 s[8:9], exec
	v_and_b32_e32 v5, 0x7fff, v5
                                        ; implicit-def: $vgpr9
	s_andn2_saveexec_b64 s[10:11], s[10:11]
	s_cbranch_execz .LBB37_36
	s_branch .LBB37_35
.LBB37_34:                              ;   in Loop: Header=BB37_32 Depth=2
	s_andn2_saveexec_b64 s[10:11], s[10:11]
	s_cbranch_execz .LBB37_36
.LBB37_35:                              ;   in Loop: Header=BB37_32 Depth=2
	v_mov_b32_e32 v10, s33
	ds_cmpst_rtn_b32 v9, v9, v10, v8
	s_andn2_b64 s[8:9], s[8:9], exec
	s_waitcnt lgkmcnt(0)
	v_cmp_ne_u32_e32 vcc, s33, v9
	s_and_b64 s[12:13], vcc, exec
	s_or_b64 s[8:9], s[8:9], s[12:13]
.LBB37_36:                              ;   in Loop: Header=BB37_32 Depth=2
	s_or_b64 exec, exec, s[10:11]
	s_mov_b64 s[10:11], -1
                                        ; implicit-def: $vgpr9
                                        ; implicit-def: $vgpr10
	s_and_saveexec_b64 s[12:13], s[8:9]
	s_cbranch_execz .LBB37_31
; %bb.37:                               ;   in Loop: Header=BB37_32 Depth=2
	v_lshl_add_u32 v9, v5, 2, 0
	ds_read_b32 v10, v9
	s_waitcnt lgkmcnt(0)
	v_cmp_eq_u32_e32 vcc, v10, v8
	s_orn2_b64 s[10:11], vcc, exec
	s_branch .LBB37_31
.LBB37_38:
	s_or_b64 exec, exec, s[0:1]
.LBB37_39:
	s_waitcnt vmcnt(0)
	v_mbcnt_lo_u32_b32 v2, -1, 0
	v_mbcnt_hi_u32_b32 v2, -1, v2
	v_sub_u32_e32 v2, 63, v2
	s_add_i32 s40, 0, 0x60000
	s_movk_i32 s0, 0x3ff
	s_movk_i32 s2, 0x7f
	;; [unrolled: 1-line block ×15, first 2 shown]
	s_add_i32 s59, 0, 0x6003c
	v_lshrrev_b64 v[2:3], v2, -1
	v_lshl_add_u32 v6, v16, 2, s40
	v_cmp_eq_u32_e32 vcc, s0, v0
	v_cmp_lt_u32_e64 s[0:1], 63, v0
	v_cmp_lt_u32_e64 s[2:3], s2, v0
	;; [unrolled: 1-line block ×15, first 2 shown]
	s_mov_b64 s[36:37], 0
	v_mov_b32_e32 v7, 0
	s_add_i32 s41, 0, 0x60004
	s_add_i32 s44, 0, 0x60008
	;; [unrolled: 1-line block ×14, first 2 shown]
	v_mov_b32_e32 v8, s59
	s_movk_i32 s60, 0x7bff
	s_waitcnt lgkmcnt(0)
	s_barrier
	s_branch .LBB37_41
.LBB37_40:                              ;   in Loop: Header=BB37_41 Depth=1
	s_or_b64 exec, exec, s[30:31]
	s_waitcnt lgkmcnt(0)
	s_barrier
	ds_read_b32 v4, v8
	v_add_u32_e32 v1, 0x400, v1
	v_cmp_lt_u32_e64 s[30:31], s60, v1
	v_add_u32_e32 v14, 0x2000, v14
	s_or_b64 s[36:37], s[30:31], s[36:37]
	s_waitcnt lgkmcnt(0)
	v_add_u32_e32 v7, v4, v7
	v_add_u32_e32 v15, 0x1000, v15
	s_andn2_b64 exec, exec, s[36:37]
	s_cbranch_execz .LBB37_75
.LBB37_41:                              ; =>This Inner Loop Header: Depth=1
	ds_read_b32 v9, v15
	ds_read_b64 v[4:5], v14
	s_waitcnt lgkmcnt(0)
	s_barrier
	v_cmp_gt_i32_e64 s[30:31], s33, v9
	s_bcnt1_i32_b64 s38, s[30:31]
	s_nop 0
	v_and_b32_e32 v11, s30, v2
	v_and_b32_e32 v10, s31, v3
	v_bcnt_u32_b32 v11, v11, 0
	v_bcnt_u32_b32 v10, v10, v11
	v_mov_b32_e32 v11, s38
	ds_write_b32 v6, v11
	s_waitcnt lgkmcnt(0)
	s_barrier
	s_and_saveexec_b64 s[38:39], s[0:1]
	s_cbranch_execz .LBB37_58
; %bb.42:                               ;   in Loop: Header=BB37_41 Depth=1
	v_mov_b32_e32 v11, s40
	ds_read_b32 v11, v11
	s_waitcnt lgkmcnt(0)
	v_add_u32_e32 v10, v11, v10
	s_or_b64 exec, exec, s[38:39]
	s_and_saveexec_b64 s[38:39], s[2:3]
	s_cbranch_execnz .LBB37_59
.LBB37_43:                              ;   in Loop: Header=BB37_41 Depth=1
	s_or_b64 exec, exec, s[38:39]
	s_and_saveexec_b64 s[38:39], s[4:5]
	s_cbranch_execz .LBB37_60
.LBB37_44:                              ;   in Loop: Header=BB37_41 Depth=1
	v_mov_b32_e32 v11, s44
	ds_read_b32 v11, v11
	s_waitcnt lgkmcnt(0)
	v_add_u32_e32 v10, v11, v10
	s_or_b64 exec, exec, s[38:39]
	s_and_saveexec_b64 s[38:39], s[6:7]
	s_cbranch_execnz .LBB37_61
.LBB37_45:                              ;   in Loop: Header=BB37_41 Depth=1
	s_or_b64 exec, exec, s[38:39]
	s_and_saveexec_b64 s[38:39], s[8:9]
	s_cbranch_execz .LBB37_62
.LBB37_46:                              ;   in Loop: Header=BB37_41 Depth=1
	v_mov_b32_e32 v11, s47
	ds_read_b32 v11, v11
	s_waitcnt lgkmcnt(0)
	v_add_u32_e32 v10, v11, v10
	s_or_b64 exec, exec, s[38:39]
	s_and_saveexec_b64 s[38:39], s[10:11]
	s_cbranch_execnz .LBB37_63
.LBB37_47:                              ;   in Loop: Header=BB37_41 Depth=1
	s_or_b64 exec, exec, s[38:39]
	s_and_saveexec_b64 s[38:39], s[12:13]
	s_cbranch_execz .LBB37_64
.LBB37_48:                              ;   in Loop: Header=BB37_41 Depth=1
	v_mov_b32_e32 v11, s50
	ds_read_b32 v11, v11
	s_waitcnt lgkmcnt(0)
	v_add_u32_e32 v10, v11, v10
	s_or_b64 exec, exec, s[38:39]
	s_and_saveexec_b64 s[38:39], s[14:15]
	s_cbranch_execnz .LBB37_65
.LBB37_49:                              ;   in Loop: Header=BB37_41 Depth=1
	s_or_b64 exec, exec, s[38:39]
	s_and_saveexec_b64 s[38:39], s[16:17]
	s_cbranch_execz .LBB37_66
.LBB37_50:                              ;   in Loop: Header=BB37_41 Depth=1
	v_mov_b32_e32 v11, s52
	ds_read_b32 v11, v11
	s_waitcnt lgkmcnt(0)
	v_add_u32_e32 v10, v11, v10
	s_or_b64 exec, exec, s[38:39]
	s_and_saveexec_b64 s[38:39], s[18:19]
	s_cbranch_execnz .LBB37_67
.LBB37_51:                              ;   in Loop: Header=BB37_41 Depth=1
	s_or_b64 exec, exec, s[38:39]
	s_and_saveexec_b64 s[38:39], s[20:21]
	s_cbranch_execz .LBB37_68
.LBB37_52:                              ;   in Loop: Header=BB37_41 Depth=1
	v_mov_b32_e32 v11, s54
	ds_read_b32 v11, v11
	s_waitcnt lgkmcnt(0)
	v_add_u32_e32 v10, v11, v10
	s_or_b64 exec, exec, s[38:39]
	s_and_saveexec_b64 s[38:39], s[22:23]
	s_cbranch_execnz .LBB37_69
.LBB37_53:                              ;   in Loop: Header=BB37_41 Depth=1
	s_or_b64 exec, exec, s[38:39]
	s_and_saveexec_b64 s[38:39], s[24:25]
	s_cbranch_execz .LBB37_70
.LBB37_54:                              ;   in Loop: Header=BB37_41 Depth=1
	v_mov_b32_e32 v11, s56
	ds_read_b32 v11, v11
	s_waitcnt lgkmcnt(0)
	v_add_u32_e32 v10, v11, v10
	s_or_b64 exec, exec, s[38:39]
	s_and_saveexec_b64 s[38:39], s[26:27]
	s_cbranch_execnz .LBB37_71
.LBB37_55:                              ;   in Loop: Header=BB37_41 Depth=1
	s_or_b64 exec, exec, s[38:39]
	s_and_saveexec_b64 s[38:39], s[28:29]
	s_cbranch_execz .LBB37_72
.LBB37_56:                              ;   in Loop: Header=BB37_41 Depth=1
	v_mov_b32_e32 v11, s58
	ds_read_b32 v11, v11
	s_waitcnt lgkmcnt(0)
	v_add_u32_e32 v10, v11, v10
	s_or_b64 exec, exec, s[38:39]
	s_and_saveexec_b64 s[38:39], s[30:31]
	s_cbranch_execnz .LBB37_73
.LBB37_57:                              ;   in Loop: Header=BB37_41 Depth=1
	s_or_b64 exec, exec, s[38:39]
	s_and_saveexec_b64 s[30:31], vcc
	s_cbranch_execz .LBB37_40
	s_branch .LBB37_74
.LBB37_58:                              ;   in Loop: Header=BB37_41 Depth=1
	s_or_b64 exec, exec, s[38:39]
	s_and_saveexec_b64 s[38:39], s[2:3]
	s_cbranch_execz .LBB37_43
.LBB37_59:                              ;   in Loop: Header=BB37_41 Depth=1
	v_mov_b32_e32 v11, s41
	ds_read_b32 v11, v11
	s_waitcnt lgkmcnt(0)
	v_add_u32_e32 v10, v11, v10
	s_or_b64 exec, exec, s[38:39]
	s_and_saveexec_b64 s[38:39], s[4:5]
	s_cbranch_execnz .LBB37_44
.LBB37_60:                              ;   in Loop: Header=BB37_41 Depth=1
	s_or_b64 exec, exec, s[38:39]
	s_and_saveexec_b64 s[38:39], s[6:7]
	s_cbranch_execz .LBB37_45
.LBB37_61:                              ;   in Loop: Header=BB37_41 Depth=1
	v_mov_b32_e32 v11, s45
	ds_read_b32 v11, v11
	s_waitcnt lgkmcnt(0)
	v_add_u32_e32 v10, v11, v10
	s_or_b64 exec, exec, s[38:39]
	s_and_saveexec_b64 s[38:39], s[8:9]
	s_cbranch_execnz .LBB37_46
.LBB37_62:                              ;   in Loop: Header=BB37_41 Depth=1
	s_or_b64 exec, exec, s[38:39]
	s_and_saveexec_b64 s[38:39], s[10:11]
	s_cbranch_execz .LBB37_47
.LBB37_63:                              ;   in Loop: Header=BB37_41 Depth=1
	v_mov_b32_e32 v11, s49
	ds_read_b32 v11, v11
	s_waitcnt lgkmcnt(0)
	v_add_u32_e32 v10, v11, v10
	s_or_b64 exec, exec, s[38:39]
	s_and_saveexec_b64 s[38:39], s[12:13]
	s_cbranch_execnz .LBB37_48
.LBB37_64:                              ;   in Loop: Header=BB37_41 Depth=1
	s_or_b64 exec, exec, s[38:39]
	s_and_saveexec_b64 s[38:39], s[14:15]
	s_cbranch_execz .LBB37_49
.LBB37_65:                              ;   in Loop: Header=BB37_41 Depth=1
	v_mov_b32_e32 v11, s51
	ds_read_b32 v11, v11
	s_waitcnt lgkmcnt(0)
	v_add_u32_e32 v10, v11, v10
	s_or_b64 exec, exec, s[38:39]
	s_and_saveexec_b64 s[38:39], s[16:17]
	s_cbranch_execnz .LBB37_50
.LBB37_66:                              ;   in Loop: Header=BB37_41 Depth=1
	s_or_b64 exec, exec, s[38:39]
	s_and_saveexec_b64 s[38:39], s[18:19]
	s_cbranch_execz .LBB37_51
.LBB37_67:                              ;   in Loop: Header=BB37_41 Depth=1
	v_mov_b32_e32 v11, s53
	ds_read_b32 v11, v11
	s_waitcnt lgkmcnt(0)
	v_add_u32_e32 v10, v11, v10
	s_or_b64 exec, exec, s[38:39]
	s_and_saveexec_b64 s[38:39], s[20:21]
	s_cbranch_execnz .LBB37_52
.LBB37_68:                              ;   in Loop: Header=BB37_41 Depth=1
	s_or_b64 exec, exec, s[38:39]
	s_and_saveexec_b64 s[38:39], s[22:23]
	s_cbranch_execz .LBB37_53
.LBB37_69:                              ;   in Loop: Header=BB37_41 Depth=1
	v_mov_b32_e32 v11, s55
	ds_read_b32 v11, v11
	s_waitcnt lgkmcnt(0)
	v_add_u32_e32 v10, v11, v10
	s_or_b64 exec, exec, s[38:39]
	s_and_saveexec_b64 s[38:39], s[24:25]
	s_cbranch_execnz .LBB37_54
.LBB37_70:                              ;   in Loop: Header=BB37_41 Depth=1
	s_or_b64 exec, exec, s[38:39]
	s_and_saveexec_b64 s[38:39], s[26:27]
	s_cbranch_execz .LBB37_55
.LBB37_71:                              ;   in Loop: Header=BB37_41 Depth=1
	v_mov_b32_e32 v11, s57
	ds_read_b32 v11, v11
	s_waitcnt lgkmcnt(0)
	v_add_u32_e32 v10, v11, v10
	s_or_b64 exec, exec, s[38:39]
	s_and_saveexec_b64 s[38:39], s[28:29]
	s_cbranch_execnz .LBB37_56
.LBB37_72:                              ;   in Loop: Header=BB37_41 Depth=1
	s_or_b64 exec, exec, s[38:39]
	s_and_saveexec_b64 s[38:39], s[30:31]
	s_cbranch_execz .LBB37_57
.LBB37_73:                              ;   in Loop: Header=BB37_41 Depth=1
	v_add3_u32 v11, v7, -1, v10
	v_lshl_add_u32 v12, v11, 2, 0
	v_lshl_add_u32 v11, v11, 3, 0
	v_add_u32_e32 v11, 0x20000, v11
	ds_write_b32 v12, v9
	ds_write_b64 v11, v[4:5]
	s_or_b64 exec, exec, s[38:39]
	s_and_saveexec_b64 s[30:31], vcc
	s_cbranch_execz .LBB37_40
.LBB37_74:                              ;   in Loop: Header=BB37_41 Depth=1
	v_mov_b32_e32 v4, s59
	ds_write_b32 v4, v10
	s_branch .LBB37_40
.LBB37_75:
	s_or_b64 exec, exec, s[36:37]
	s_ashr_i32 s49, s48, 31
	s_lshl_b64 s[0:1], s[48:49], 2
	s_add_u32 s2, s42, s0
	s_addc_u32 s3, s43, s1
	s_load_dwordx2 s[0:1], s[2:3], 0x0
	s_waitcnt lgkmcnt(0)
	s_sub_i32 s14, s1, s0
	v_cmp_gt_i32_e32 vcc, s14, v0
	s_and_saveexec_b64 s[2:3], vcc
	s_cbranch_execz .LBB37_89
; %bb.76:
	s_sub_i32 s8, s0, s46
	v_sub_co_u32_e64 v1, s[0:1], s14, 2
	s_nop 0
	v_readfirstlane_b32 s2, v1
	s_lshr_b32 s2, s2, 1
	s_add_i32 s2, s2, 1
	s_xor_b64 s[0:1], s[0:1], -1
	s_and_b32 s15, s14, -2
	s_and_b32 s3, s2, 7
	s_and_b32 s16, s2, -8
	s_cmp_lg_u32 s3, 0
	v_cmp_lt_u32_e32 vcc, 13, v1
	s_cselect_b64 s[4:5], -1, 0
	s_cmp_lg_u32 s14, s15
	v_cndmask_b32_e64 v1, 0, 1, vcc
	s_cselect_b64 s[10:11], -1, 0
	s_lshl_b32 s17, s3, 3
	v_cndmask_b32_e64 v2, 0, 1, s[0:1]
	v_cmp_ne_u32_e64 s[2:3], 1, v1
	v_cndmask_b32_e64 v1, 0, 1, s[4:5]
	s_mov_b32 s9, 0
	s_mov_b64 s[12:13], 0
	v_cmp_ne_u32_e64 s[0:1], 1, v2
	v_cmp_ne_u32_e64 s[4:5], 1, v1
	s_branch .LBB37_78
.LBB37_77:                              ;   in Loop: Header=BB37_78 Depth=1
	v_add_u32_e32 v0, 0x400, v0
	v_ashrrev_i32_e32 v5, 31, v4
	v_cmp_le_i32_e32 vcc, s14, v0
	v_lshl_add_u64 v[4:5], v[4:5], 3, s[34:35]
	s_or_b64 s[12:13], vcc, s[12:13]
	s_waitcnt lgkmcnt(0)
	global_store_dwordx2 v[4:5], v[2:3], off
	s_andn2_b64 exec, exec, s[12:13]
	s_cbranch_execz .LBB37_89
.LBB37_78:                              ; =>This Loop Header: Depth=1
                                        ;     Child Loop BB37_81 Depth 2
                                        ;     Child Loop BB37_84 Depth 2
                                        ;     Child Loop BB37_88 Depth 2
	v_lshl_add_u32 v2, v0, 3, 0
	v_lshl_add_u32 v1, v0, 2, 0
	v_add_u32_e32 v2, 0x20000, v2
	ds_read_b32 v1, v1
	ds_read_b64 v[2:3], v2
	s_and_b64 vcc, exec, s[0:1]
	v_mov_b32_e32 v4, s8
	s_mov_b32 s18, 0
	s_mov_b64 s[6:7], -1
	s_cbranch_vccnz .LBB37_86
; %bb.79:                               ;   in Loop: Header=BB37_78 Depth=1
	s_and_b64 vcc, exec, s[2:3]
	v_mov_b64_e32 v[4:5], s[8:9]
	s_cbranch_vccnz .LBB37_82
; %bb.80:                               ;   in Loop: Header=BB37_78 Depth=1
	s_mov_b32 s19, 0
	v_mov_b32_e32 v4, s8
	v_mov_b32_e32 v5, 0
	s_mov_b32 s20, s16
.LBB37_81:                              ;   Parent Loop BB37_78 Depth=1
                                        ; =>  This Inner Loop Header: Depth=2
	v_mov_b32_e32 v20, s19
	ds_read2_b32 v[6:7], v20 offset1:1
	ds_read2_b32 v[8:9], v20 offset0:2 offset1:3
	ds_read2_b32 v[10:11], v20 offset0:4 offset1:5
	;; [unrolled: 1-line block ×7, first 2 shown]
	s_waitcnt lgkmcnt(7)
	v_cmp_gt_i32_e32 vcc, v1, v7
	s_waitcnt lgkmcnt(5)
	v_cmp_gt_i32_e64 s[6:7], v1, v10
	s_add_i32 s18, s18, 16
	v_cndmask_b32_e64 v7, 0, 1, vcc
	v_cmp_gt_i32_e32 vcc, v1, v6
	s_add_i32 s19, s19, 64
	s_add_i32 s20, s20, -8
	v_cndmask_b32_e64 v6, 0, 1, vcc
	v_cmp_gt_i32_e32 vcc, v1, v9
	v_cndmask_b32_e64 v9, 0, 1, s[6:7]
	v_cmp_gt_i32_e64 s[6:7], v1, v11
	v_addc_co_u32_e32 v5, vcc, v5, v7, vcc
	s_nop 0
	v_cndmask_b32_e64 v10, 0, 1, s[6:7]
	s_waitcnt lgkmcnt(3)
	v_cmp_gt_i32_e64 s[6:7], v1, v15
	v_cmp_gt_i32_e32 vcc, v1, v12
	s_cmp_lg_u32 s20, 0
	v_cndmask_b32_e64 v11, 0, 1, s[6:7]
	v_cmp_gt_i32_e64 s[6:7], v1, v14
	s_nop 1
	v_cndmask_b32_e64 v14, 0, 1, s[6:7]
	s_waitcnt lgkmcnt(1)
	v_cmp_gt_i32_e64 s[6:7], v1, v18
	s_nop 1
	v_cndmask_b32_e64 v15, 0, 1, s[6:7]
	v_cmp_gt_i32_e64 s[6:7], v1, v19
	s_nop 1
	v_cndmask_b32_e64 v18, 0, 1, s[6:7]
	v_cmp_gt_i32_e64 s[6:7], v1, v8
	s_nop 1
	v_addc_co_u32_e64 v4, s[6:7], v4, v6, s[6:7]
	v_cmp_gt_i32_e64 s[6:7], v1, v13
	v_addc_co_u32_e32 v4, vcc, v4, v9, vcc
	s_nop 0
	v_addc_co_u32_e64 v5, s[6:7], v5, v10, s[6:7]
	v_cmp_gt_i32_e32 vcc, v1, v17
	v_cmp_gt_i32_e64 s[6:7], v1, v16
	s_nop 0
	v_addc_co_u32_e32 v5, vcc, v5, v11, vcc
	v_addc_co_u32_e64 v4, s[6:7], v4, v14, s[6:7]
	s_waitcnt lgkmcnt(0)
	v_cmp_gt_i32_e32 vcc, v1, v20
	v_cmp_gt_i32_e64 s[6:7], v1, v21
	s_nop 0
	v_addc_co_u32_e32 v4, vcc, v4, v15, vcc
	v_addc_co_u32_e64 v5, s[6:7], v5, v18, s[6:7]
	s_cbranch_scc1 .LBB37_81
.LBB37_82:                              ;   in Loop: Header=BB37_78 Depth=1
	s_and_b64 vcc, exec, s[4:5]
	s_cbranch_vccnz .LBB37_85
; %bb.83:                               ;   in Loop: Header=BB37_78 Depth=1
	s_lshl_b32 s6, s18, 2
	s_add_i32 s6, s6, 0
	s_mov_b32 s7, s17
.LBB37_84:                              ;   Parent Loop BB37_78 Depth=1
                                        ; =>  This Inner Loop Header: Depth=2
	v_mov_b32_e32 v6, s6
	ds_read2_b32 v[6:7], v6 offset1:1
	s_add_i32 s6, s6, 8
	s_add_i32 s7, s7, -8
	s_cmp_lg_u32 s7, 0
	s_waitcnt lgkmcnt(0)
	v_cmp_gt_i32_e32 vcc, v1, v7
	s_nop 1
	v_addc_co_u32_e32 v5, vcc, 0, v5, vcc
	v_cmp_gt_i32_e32 vcc, v1, v6
	s_nop 1
	v_addc_co_u32_e32 v4, vcc, 0, v4, vcc
	s_cbranch_scc1 .LBB37_84
.LBB37_85:                              ;   in Loop: Header=BB37_78 Depth=1
	v_add_u32_e32 v4, v4, v5
	s_mov_b32 s18, s15
	s_mov_b64 s[6:7], s[10:11]
.LBB37_86:                              ;   in Loop: Header=BB37_78 Depth=1
	s_and_b64 vcc, exec, s[6:7]
	s_cbranch_vccz .LBB37_77
; %bb.87:                               ;   in Loop: Header=BB37_78 Depth=1
	s_lshl_b32 s6, s18, 2
	s_add_i32 s6, s6, 0
.LBB37_88:                              ;   Parent Loop BB37_78 Depth=1
                                        ; =>  This Inner Loop Header: Depth=2
	v_mov_b32_e32 v5, s6
	ds_read_b32 v5, v5
	s_add_i32 s18, s18, 1
	s_add_i32 s6, s6, 4
	s_cmp_ge_i32 s18, s14
	s_waitcnt lgkmcnt(0)
	v_cmp_gt_i32_e32 vcc, v1, v5
	s_nop 1
	v_addc_co_u32_e32 v4, vcc, 0, v4, vcc
	s_cbranch_scc0 .LBB37_88
	s_branch .LBB37_77
.LBB37_89:
	s_endpgm
	.section	.rodata,"a",@progbits
	.p2align	6, 0x0
	.amdhsa_kernel _ZN9rocsparseL41csrgemm_numeric_fill_block_per_row_kernelILj1024ELj64ELj32768ELj137ELj64EiidEEvT5_PKS1_S3_NS_24const_host_device_scalarIT6_EEPKT4_S3_PKS5_S9_S3_SB_S6_S9_S3_SB_S9_S3_PS5_21rocsparse_index_base_SD_SD_SD_bbb
		.amdhsa_group_segment_fixed_size 0
		.amdhsa_private_segment_fixed_size 0
		.amdhsa_kernarg_size 156
		.amdhsa_user_sgpr_count 2
		.amdhsa_user_sgpr_dispatch_ptr 0
		.amdhsa_user_sgpr_queue_ptr 0
		.amdhsa_user_sgpr_kernarg_segment_ptr 1
		.amdhsa_user_sgpr_dispatch_id 0
		.amdhsa_user_sgpr_kernarg_preload_length 0
		.amdhsa_user_sgpr_kernarg_preload_offset 0
		.amdhsa_user_sgpr_private_segment_size 0
		.amdhsa_uses_dynamic_stack 0
		.amdhsa_enable_private_segment 0
		.amdhsa_system_sgpr_workgroup_id_x 1
		.amdhsa_system_sgpr_workgroup_id_y 0
		.amdhsa_system_sgpr_workgroup_id_z 0
		.amdhsa_system_sgpr_workgroup_info 0
		.amdhsa_system_vgpr_workitem_id 0
		.amdhsa_next_free_vgpr 22
		.amdhsa_next_free_sgpr 61
		.amdhsa_accum_offset 24
		.amdhsa_reserve_vcc 1
		.amdhsa_float_round_mode_32 0
		.amdhsa_float_round_mode_16_64 0
		.amdhsa_float_denorm_mode_32 3
		.amdhsa_float_denorm_mode_16_64 3
		.amdhsa_dx10_clamp 1
		.amdhsa_ieee_mode 1
		.amdhsa_fp16_overflow 0
		.amdhsa_tg_split 0
		.amdhsa_exception_fp_ieee_invalid_op 0
		.amdhsa_exception_fp_denorm_src 0
		.amdhsa_exception_fp_ieee_div_zero 0
		.amdhsa_exception_fp_ieee_overflow 0
		.amdhsa_exception_fp_ieee_underflow 0
		.amdhsa_exception_fp_ieee_inexact 0
		.amdhsa_exception_int_div_zero 0
	.end_amdhsa_kernel
	.section	.text._ZN9rocsparseL41csrgemm_numeric_fill_block_per_row_kernelILj1024ELj64ELj32768ELj137ELj64EiidEEvT5_PKS1_S3_NS_24const_host_device_scalarIT6_EEPKT4_S3_PKS5_S9_S3_SB_S6_S9_S3_SB_S9_S3_PS5_21rocsparse_index_base_SD_SD_SD_bbb,"axG",@progbits,_ZN9rocsparseL41csrgemm_numeric_fill_block_per_row_kernelILj1024ELj64ELj32768ELj137ELj64EiidEEvT5_PKS1_S3_NS_24const_host_device_scalarIT6_EEPKT4_S3_PKS5_S9_S3_SB_S6_S9_S3_SB_S9_S3_PS5_21rocsparse_index_base_SD_SD_SD_bbb,comdat
.Lfunc_end37:
	.size	_ZN9rocsparseL41csrgemm_numeric_fill_block_per_row_kernelILj1024ELj64ELj32768ELj137ELj64EiidEEvT5_PKS1_S3_NS_24const_host_device_scalarIT6_EEPKT4_S3_PKS5_S9_S3_SB_S6_S9_S3_SB_S9_S3_PS5_21rocsparse_index_base_SD_SD_SD_bbb, .Lfunc_end37-_ZN9rocsparseL41csrgemm_numeric_fill_block_per_row_kernelILj1024ELj64ELj32768ELj137ELj64EiidEEvT5_PKS1_S3_NS_24const_host_device_scalarIT6_EEPKT4_S3_PKS5_S9_S3_SB_S6_S9_S3_SB_S9_S3_PS5_21rocsparse_index_base_SD_SD_SD_bbb
                                        ; -- End function
	.set _ZN9rocsparseL41csrgemm_numeric_fill_block_per_row_kernelILj1024ELj64ELj32768ELj137ELj64EiidEEvT5_PKS1_S3_NS_24const_host_device_scalarIT6_EEPKT4_S3_PKS5_S9_S3_SB_S6_S9_S3_SB_S9_S3_PS5_21rocsparse_index_base_SD_SD_SD_bbb.num_vgpr, 22
	.set _ZN9rocsparseL41csrgemm_numeric_fill_block_per_row_kernelILj1024ELj64ELj32768ELj137ELj64EiidEEvT5_PKS1_S3_NS_24const_host_device_scalarIT6_EEPKT4_S3_PKS5_S9_S3_SB_S6_S9_S3_SB_S9_S3_PS5_21rocsparse_index_base_SD_SD_SD_bbb.num_agpr, 0
	.set _ZN9rocsparseL41csrgemm_numeric_fill_block_per_row_kernelILj1024ELj64ELj32768ELj137ELj64EiidEEvT5_PKS1_S3_NS_24const_host_device_scalarIT6_EEPKT4_S3_PKS5_S9_S3_SB_S6_S9_S3_SB_S9_S3_PS5_21rocsparse_index_base_SD_SD_SD_bbb.numbered_sgpr, 61
	.set _ZN9rocsparseL41csrgemm_numeric_fill_block_per_row_kernelILj1024ELj64ELj32768ELj137ELj64EiidEEvT5_PKS1_S3_NS_24const_host_device_scalarIT6_EEPKT4_S3_PKS5_S9_S3_SB_S6_S9_S3_SB_S9_S3_PS5_21rocsparse_index_base_SD_SD_SD_bbb.num_named_barrier, 0
	.set _ZN9rocsparseL41csrgemm_numeric_fill_block_per_row_kernelILj1024ELj64ELj32768ELj137ELj64EiidEEvT5_PKS1_S3_NS_24const_host_device_scalarIT6_EEPKT4_S3_PKS5_S9_S3_SB_S6_S9_S3_SB_S9_S3_PS5_21rocsparse_index_base_SD_SD_SD_bbb.private_seg_size, 0
	.set _ZN9rocsparseL41csrgemm_numeric_fill_block_per_row_kernelILj1024ELj64ELj32768ELj137ELj64EiidEEvT5_PKS1_S3_NS_24const_host_device_scalarIT6_EEPKT4_S3_PKS5_S9_S3_SB_S6_S9_S3_SB_S9_S3_PS5_21rocsparse_index_base_SD_SD_SD_bbb.uses_vcc, 1
	.set _ZN9rocsparseL41csrgemm_numeric_fill_block_per_row_kernelILj1024ELj64ELj32768ELj137ELj64EiidEEvT5_PKS1_S3_NS_24const_host_device_scalarIT6_EEPKT4_S3_PKS5_S9_S3_SB_S6_S9_S3_SB_S9_S3_PS5_21rocsparse_index_base_SD_SD_SD_bbb.uses_flat_scratch, 0
	.set _ZN9rocsparseL41csrgemm_numeric_fill_block_per_row_kernelILj1024ELj64ELj32768ELj137ELj64EiidEEvT5_PKS1_S3_NS_24const_host_device_scalarIT6_EEPKT4_S3_PKS5_S9_S3_SB_S6_S9_S3_SB_S9_S3_PS5_21rocsparse_index_base_SD_SD_SD_bbb.has_dyn_sized_stack, 0
	.set _ZN9rocsparseL41csrgemm_numeric_fill_block_per_row_kernelILj1024ELj64ELj32768ELj137ELj64EiidEEvT5_PKS1_S3_NS_24const_host_device_scalarIT6_EEPKT4_S3_PKS5_S9_S3_SB_S6_S9_S3_SB_S9_S3_PS5_21rocsparse_index_base_SD_SD_SD_bbb.has_recursion, 0
	.set _ZN9rocsparseL41csrgemm_numeric_fill_block_per_row_kernelILj1024ELj64ELj32768ELj137ELj64EiidEEvT5_PKS1_S3_NS_24const_host_device_scalarIT6_EEPKT4_S3_PKS5_S9_S3_SB_S6_S9_S3_SB_S9_S3_PS5_21rocsparse_index_base_SD_SD_SD_bbb.has_indirect_call, 0
	.section	.AMDGPU.csdata,"",@progbits
; Kernel info:
; codeLenInByte = 3444
; TotalNumSgprs: 67
; NumVgprs: 22
; NumAgprs: 0
; TotalNumVgprs: 22
; ScratchSize: 0
; MemoryBound: 0
; FloatMode: 240
; IeeeMode: 1
; LDSByteSize: 0 bytes/workgroup (compile time only)
; SGPRBlocks: 8
; VGPRBlocks: 2
; NumSGPRsForWavesPerEU: 67
; NumVGPRsForWavesPerEU: 22
; AccumOffset: 24
; Occupancy: 8
; WaveLimiterHint : 1
; COMPUTE_PGM_RSRC2:SCRATCH_EN: 0
; COMPUTE_PGM_RSRC2:USER_SGPR: 2
; COMPUTE_PGM_RSRC2:TRAP_HANDLER: 0
; COMPUTE_PGM_RSRC2:TGID_X_EN: 1
; COMPUTE_PGM_RSRC2:TGID_Y_EN: 0
; COMPUTE_PGM_RSRC2:TGID_Z_EN: 0
; COMPUTE_PGM_RSRC2:TIDIG_COMP_CNT: 0
; COMPUTE_PGM_RSRC3_GFX90A:ACCUM_OFFSET: 5
; COMPUTE_PGM_RSRC3_GFX90A:TG_SPLIT: 0
	.section	.text._ZN9rocsparseL51csrgemm_numeric_fill_block_per_row_multipass_kernelILj512ELj16ELj2048ELj32EiidEEvT4_PKS1_S3_NS_24const_host_device_scalarIT5_EEPKT3_S3_PKS5_S9_S3_SB_S6_S9_S3_SB_S9_S3_PS5_PS7_21rocsparse_index_base_SE_SE_SE_bbb,"axG",@progbits,_ZN9rocsparseL51csrgemm_numeric_fill_block_per_row_multipass_kernelILj512ELj16ELj2048ELj32EiidEEvT4_PKS1_S3_NS_24const_host_device_scalarIT5_EEPKT3_S3_PKS5_S9_S3_SB_S6_S9_S3_SB_S9_S3_PS5_PS7_21rocsparse_index_base_SE_SE_SE_bbb,comdat
	.globl	_ZN9rocsparseL51csrgemm_numeric_fill_block_per_row_multipass_kernelILj512ELj16ELj2048ELj32EiidEEvT4_PKS1_S3_NS_24const_host_device_scalarIT5_EEPKT3_S3_PKS5_S9_S3_SB_S6_S9_S3_SB_S9_S3_PS5_PS7_21rocsparse_index_base_SE_SE_SE_bbb ; -- Begin function _ZN9rocsparseL51csrgemm_numeric_fill_block_per_row_multipass_kernelILj512ELj16ELj2048ELj32EiidEEvT4_PKS1_S3_NS_24const_host_device_scalarIT5_EEPKT3_S3_PKS5_S9_S3_SB_S6_S9_S3_SB_S9_S3_PS5_PS7_21rocsparse_index_base_SE_SE_SE_bbb
	.p2align	8
	.type	_ZN9rocsparseL51csrgemm_numeric_fill_block_per_row_multipass_kernelILj512ELj16ELj2048ELj32EiidEEvT4_PKS1_S3_NS_24const_host_device_scalarIT5_EEPKT3_S3_PKS5_S9_S3_SB_S6_S9_S3_SB_S9_S3_PS5_PS7_21rocsparse_index_base_SE_SE_SE_bbb,@function
_ZN9rocsparseL51csrgemm_numeric_fill_block_per_row_multipass_kernelILj512ELj16ELj2048ELj32EiidEEvT4_PKS1_S3_NS_24const_host_device_scalarIT5_EEPKT3_S3_PKS5_S9_S3_SB_S6_S9_S3_SB_S9_S3_PS5_PS7_21rocsparse_index_base_SE_SE_SE_bbb: ; @_ZN9rocsparseL51csrgemm_numeric_fill_block_per_row_multipass_kernelILj512ELj16ELj2048ELj32EiidEEvT4_PKS1_S3_NS_24const_host_device_scalarIT5_EEPKT3_S3_PKS5_S9_S3_SB_S6_S9_S3_SB_S9_S3_PS5_PS7_21rocsparse_index_base_SE_SE_SE_bbb
; %bb.0:
	s_load_dword s3, s[0:1], 0xa0
	s_load_dwordx4 s[4:7], s[0:1], 0x8
	s_load_dwordx2 s[10:11], s[0:1], 0x18
	s_load_dwordx4 s[56:59], s[0:1], 0x90
	s_load_dwordx2 s[12:13], s[0:1], 0x50
	s_waitcnt lgkmcnt(0)
	s_bitcmp1_b32 s3, 0
	s_cselect_b64 s[8:9], -1, 0
	s_bitcmp1_b32 s3, 16
	s_cselect_b64 s[14:15], -1, 0
	s_xor_b64 s[16:17], s[8:9], -1
	s_or_b64 s[16:17], s[14:15], s[16:17]
	s_and_b64 s[18:19], s[8:9], exec
	s_cselect_b32 s19, s11, 0
	s_cselect_b32 s18, s10, 0
	s_and_b64 vcc, exec, s[16:17]
	v_mov_b64_e32 v[2:3], s[18:19]
	s_cbranch_vccnz .LBB38_2
; %bb.1:
	v_mov_b64_e32 v[2:3], s[10:11]
	flat_load_dwordx2 v[2:3], v[2:3]
.LBB38_2:
	s_bitcmp1_b32 s3, 8
	s_cselect_b64 s[64:65], -1, 0
	s_load_dwordx2 s[10:11], s[0:1], 0x20
	s_xor_b64 s[16:17], s[64:65], -1
	s_or_b64 s[14:15], s[14:15], s[16:17]
	s_and_b64 s[16:17], s[64:65], exec
	s_cselect_b32 s17, s13, 0
	s_cselect_b32 s16, s12, 0
	s_and_b64 vcc, exec, s[14:15]
	v_mov_b64_e32 v[4:5], s[16:17]
	s_cbranch_vccnz .LBB38_4
; %bb.3:
	v_mov_b64_e32 v[4:5], s[12:13]
	flat_load_dwordx2 v[4:5], v[4:5]
.LBB38_4:
	s_load_dword s3, s[4:5], 0x0
	s_mov_b32 s67, 0
	v_cndmask_b32_e64 v1, 0, 1, s[8:9]
	s_waitcnt lgkmcnt(0)
	s_add_i32 s66, s3, s2
	s_lshl_b64 s[2:3], s[66:67], 2
	s_add_u32 s2, s6, s2
	s_addc_u32 s3, s7, s3
	s_load_dword s4, s[2:3], 0x0
	v_cmp_ne_u32_e64 s[2:3], 1, v1
	s_andn2_b64 vcc, exec, s[8:9]
	s_mov_b32 s6, 0
	s_cbranch_vccz .LBB38_7
; %bb.5:
	s_and_b64 vcc, exec, s[2:3]
	s_cbranch_vccz .LBB38_8
.LBB38_6:
	s_load_dword s33, s[0:1], 0x0
	s_waitcnt lgkmcnt(0)
	s_cmp_lt_i32 s33, 1
	s_cbranch_scc0 .LBB38_9
	s_branch .LBB38_62
.LBB38_7:
	s_waitcnt lgkmcnt(0)
	s_ashr_i32 s5, s4, 31
	s_lshl_b64 s[6:7], s[4:5], 2
	s_add_u32 s6, s10, s6
	s_addc_u32 s7, s11, s7
	s_load_dword s5, s[6:7], 0x0
	s_waitcnt lgkmcnt(0)
	s_sub_i32 s6, s5, s56
	s_and_b64 vcc, exec, s[2:3]
	s_cbranch_vccnz .LBB38_6
.LBB38_8:
	s_waitcnt lgkmcnt(0)
	s_ashr_i32 s5, s4, 31
	s_lshl_b64 s[2:3], s[4:5], 2
	s_add_u32 s2, s10, s2
	s_addc_u32 s3, s11, s3
	s_load_dword s2, s[2:3], 0x4
	s_waitcnt lgkmcnt(0)
	s_sub_i32 s67, s2, s56
	s_load_dword s33, s[0:1], 0x0
	s_waitcnt lgkmcnt(0)
	s_cmp_lt_i32 s33, 1
	s_cbranch_scc1 .LBB38_62
.LBB38_9:
	s_load_dwordx8 s[40:47], s[0:1], 0x58
	s_load_dwordx4 s[60:63], s[0:1], 0x80
	s_load_dwordx2 s[68:69], s[0:1], 0x48
	s_ashr_i32 s5, s4, 31
	s_lshl_b64 s[4:5], s[4:5], 2
	s_waitcnt lgkmcnt(0)
	s_add_u32 s2, s46, s4
	s_addc_u32 s3, s47, s5
	s_load_dword s7, s[2:3], 0x0
	s_load_dwordx8 s[48:55], s[0:1], 0x28
	v_lshrrev_b32_e32 v1, 4, v0
	v_add_u32_e32 v17, s6, v1
	v_mbcnt_lo_u32_b32 v1, -1, 0
	v_mbcnt_hi_u32_b32 v1, -1, v1
	s_waitcnt lgkmcnt(0)
	s_sub_i32 s38, s7, s58
	v_sub_u32_e32 v1, 63, v1
	v_and_b32_e32 v16, 15, v0
	v_cmp_gt_i32_e32 vcc, s67, v17
	s_add_u32 s46, s40, s4
	v_mov_b32_e32 v6, 0
	v_lshrrev_b64 v[8:9], v1, -1
	v_lshrrev_b32_e32 v1, 3, v0
	s_movk_i32 s4, 0x1ff
	s_movk_i32 s10, 0x60
	;; [unrolled: 1-line block ×14, first 2 shown]
	v_cmp_eq_u32_e64 s[0:1], 0, v0
	v_cmp_eq_u32_e64 s[2:3], 15, v16
	s_addc_u32 s47, s41, s5
	v_subrev_u32_e32 v18, s59, v0
	v_and_b32_e32 v19, 60, v1
	v_cmp_eq_u32_e64 s[4:5], s4, v0
	s_and_b64 s[70:71], s[8:9], vcc
	v_cmp_gt_u32_e64 s[6:7], 32, v0
	v_cmp_gt_u32_e64 s[8:9], 64, v0
	;; [unrolled: 1-line block ×15, first 2 shown]
	v_or_b32_e32 v20, 0xfffffe00, v0
	v_lshlrev_b32_e32 v21, 3, v0
	v_mov_b32_e32 v24, 0x800
	v_mov_b32_e32 v22, s38
	;; [unrolled: 1-line block ×3, first 2 shown]
	s_movk_i32 s58, 0x5ff
	v_mov_b32_e32 v29, s33
	v_mov_b32_e32 v23, 1
	;; [unrolled: 1-line block ×3, first 2 shown]
	s_branch .LBB38_11
.LBB38_10:                              ;   in Loop: Header=BB38_11 Depth=1
	s_or_b64 exec, exec, s[38:39]
	ds_read_b32 v25, v6 offset:18432
	s_waitcnt lgkmcnt(0)
	s_barrier
	v_cmp_le_i32_e32 vcc, s33, v25
	v_add_u32_e32 v24, 0x800, v25
	s_cbranch_vccnz .LBB38_62
.LBB38_11:                              ; =>This Loop Header: Depth=1
                                        ;     Child Loop BB38_12 Depth 2
                                        ;     Child Loop BB38_18 Depth 2
                                        ;       Child Loop BB38_24 Depth 3
                                        ;     Child Loop BB38_41 Depth 2
                                        ;     Child Loop BB38_53 Depth 2
                                        ;     Child Loop BB38_58 Depth 2
	s_mov_b64 s[38:39], 0
	v_mov_b32_e32 v0, v21
	v_mov_b32_e32 v1, v20
.LBB38_12:                              ;   Parent Loop BB38_11 Depth=1
                                        ; =>  This Inner Loop Header: Depth=2
	ds_write_b8 v1, v6 offset:16896
	ds_write_b64 v0, v[6:7]
	v_add_u32_e32 v1, 0x200, v1
	v_cmp_lt_u32_e32 vcc, s58, v1
	s_or_b64 s[38:39], vcc, s[38:39]
	v_add_u32_e32 v0, 0x1000, v0
	s_andn2_b64 exec, exec, s[38:39]
	s_cbranch_execnz .LBB38_12
; %bb.13:                               ;   in Loop: Header=BB38_11 Depth=1
	s_or_b64 exec, exec, s[38:39]
	s_and_saveexec_b64 s[38:39], s[0:1]
; %bb.14:                               ;   in Loop: Header=BB38_11 Depth=1
	ds_write_b32 v6, v29 offset:18432
; %bb.15:                               ;   in Loop: Header=BB38_11 Depth=1
	s_or_b64 exec, exec, s[38:39]
	v_mov_b32_e32 v26, s33
	s_waitcnt lgkmcnt(0)
	s_barrier
	s_and_saveexec_b64 s[72:73], s[70:71]
	s_cbranch_execz .LBB38_37
; %bb.16:                               ;   in Loop: Header=BB38_11 Depth=1
	s_mov_b64 s[74:75], 0
	v_cmp_ne_u32_e64 s[38:39], 0, v25
	v_mov_b32_e32 v26, s33
	v_mov_b32_e32 v0, v17
	s_branch .LBB38_18
.LBB38_17:                              ;   in Loop: Header=BB38_18 Depth=2
	s_or_b64 exec, exec, s[40:41]
	v_add_u32_e32 v0, 32, v0
	v_cmp_le_i32_e32 vcc, s67, v0
	s_or_b64 s[74:75], vcc, s[74:75]
	s_andn2_b64 exec, exec, s[74:75]
	s_cbranch_execz .LBB38_36
.LBB38_18:                              ;   Parent Loop BB38_11 Depth=1
                                        ; =>  This Loop Header: Depth=2
                                        ;       Child Loop BB38_24 Depth 3
	v_ashrrev_i32_e32 v1, 31, v0
	v_lshl_add_u64 v[10:11], v[0:1], 2, s[48:49]
	global_load_dword v14, v[10:11], off
	v_lshl_add_u64 v[10:11], v[0:1], 3, s[50:51]
	global_load_dwordx2 v[12:13], v[10:11], off
	s_and_b64 vcc, exec, s[38:39]
	v_lshl_add_u64 v[10:11], v[0:1], 2, s[62:63]
	s_waitcnt vmcnt(0)
	v_subrev_u32_e32 v14, s56, v14
	v_ashrrev_i32_e32 v15, 31, v14
	s_cbranch_vccz .LBB38_35
; %bb.19:                               ;   in Loop: Header=BB38_18 Depth=2
	global_load_dword v1, v[10:11], off
	s_cbranch_execnz .LBB38_21
.LBB38_20:                              ;   in Loop: Header=BB38_18 Depth=2
	v_lshl_add_u64 v[30:31], v[14:15], 2, s[52:53]
	global_load_dword v1, v[30:31], off
	s_waitcnt vmcnt(0)
	v_subrev_u32_e32 v1, s57, v1
.LBB38_21:                              ;   in Loop: Header=BB38_18 Depth=2
	v_lshl_add_u64 v[14:15], v[14:15], 2, s[52:53]
	global_load_dword v14, v[14:15], off offset:4
	s_waitcnt vmcnt(1)
	v_add_u32_e32 v1, v1, v16
	s_waitcnt vmcnt(0)
	v_subrev_u32_e32 v27, s57, v14
	v_cmp_lt_i32_e32 vcc, v1, v27
	s_and_saveexec_b64 s[76:77], vcc
	s_cbranch_execz .LBB38_33
; %bb.22:                               ;   in Loop: Header=BB38_18 Depth=2
	v_mul_f64 v[14:15], v[2:3], v[12:13]
	s_mov_b64 s[80:81], 0
	v_mov_b32_e32 v13, v1
                                        ; implicit-def: $sgpr78_sgpr79
                                        ; implicit-def: $sgpr82_sgpr83
	s_branch .LBB38_24
.LBB38_23:                              ;   in Loop: Header=BB38_24 Depth=3
	s_or_b64 exec, exec, s[86:87]
	s_and_b64 s[40:41], exec, s[84:85]
	s_or_b64 s[80:81], s[40:41], s[80:81]
	s_andn2_b64 s[40:41], s[78:79], exec
	s_and_b64 s[78:79], s[82:83], exec
	s_or_b64 s[78:79], s[40:41], s[78:79]
	s_andn2_b64 exec, exec, s[80:81]
	s_cbranch_execz .LBB38_30
.LBB38_24:                              ;   Parent Loop BB38_11 Depth=1
                                        ;     Parent Loop BB38_18 Depth=2
                                        ; =>    This Inner Loop Header: Depth=3
	v_mov_b32_e32 v12, v13
	v_ashrrev_i32_e32 v13, 31, v12
	v_lshl_add_u64 v[30:31], v[12:13], 2, s[54:55]
	global_load_dword v28, v[30:31], off
	s_waitcnt vmcnt(0)
	v_subrev_u32_e32 v28, s57, v28
	v_cmp_lt_i32_e32 vcc, v28, v25
	v_cmp_ge_i32_e64 s[40:41], v28, v24
	s_or_b64 s[84:85], vcc, s[40:41]
	s_mov_b64 s[40:41], 0
	s_and_saveexec_b64 s[86:87], s[84:85]
	s_xor_b64 s[84:85], exec, s[86:87]
; %bb.25:                               ;   in Loop: Header=BB38_24 Depth=3
	v_cmp_lt_i32_e32 vcc, v28, v24
	s_and_b64 s[40:41], vcc, exec
; %bb.26:                               ;   in Loop: Header=BB38_24 Depth=3
	s_andn2_saveexec_b64 s[84:85], s[84:85]
	s_cbranch_execz .LBB38_28
; %bb.27:                               ;   in Loop: Header=BB38_24 Depth=3
	v_lshl_add_u64 v[30:31], v[12:13], 3, s[68:69]
	global_load_dwordx2 v[30:31], v[30:31], off
	v_sub_u32_e32 v13, v28, v25
	ds_write_b8 v13, v23 offset:16384
	v_lshlrev_b32_e32 v13, 3, v13
	s_or_b64 s[40:41], s[40:41], exec
	s_waitcnt vmcnt(0)
	v_mul_f64 v[30:31], v[14:15], v[30:31]
	ds_add_f64 v13, v[30:31]
.LBB38_28:                              ;   in Loop: Header=BB38_24 Depth=3
	s_or_b64 exec, exec, s[84:85]
	s_mov_b64 s[84:85], -1
	s_or_b64 s[82:83], s[82:83], exec
                                        ; implicit-def: $vgpr13
	s_and_saveexec_b64 s[86:87], s[40:41]
	s_cbranch_execz .LBB38_23
; %bb.29:                               ;   in Loop: Header=BB38_24 Depth=3
	v_add_u32_e32 v13, 16, v12
	v_cmp_ge_i32_e32 vcc, v13, v27
	s_andn2_b64 s[82:83], s[82:83], exec
	s_orn2_b64 s[84:85], vcc, exec
	s_branch .LBB38_23
.LBB38_30:                              ;   in Loop: Header=BB38_18 Depth=2
	s_or_b64 exec, exec, s[80:81]
	s_and_saveexec_b64 s[40:41], s[78:79]
	s_xor_b64 s[40:41], exec, s[40:41]
; %bb.31:                               ;   in Loop: Header=BB38_18 Depth=2
	v_min_i32_e32 v26, v28, v26
	v_mov_b32_e32 v1, v12
; %bb.32:                               ;   in Loop: Header=BB38_18 Depth=2
	s_or_b64 exec, exec, s[40:41]
.LBB38_33:                              ;   in Loop: Header=BB38_18 Depth=2
	s_or_b64 exec, exec, s[76:77]
	v_mov_b32_dpp v12, v1 row_shr:1 row_mask:0xf bank_mask:0xf
	v_min_i32_e32 v1, v12, v1
	s_nop 1
	v_mov_b32_dpp v12, v1 row_shr:2 row_mask:0xf bank_mask:0xf
	v_min_i32_e32 v1, v12, v1
	s_nop 1
	;; [unrolled: 3-line block ×3, first 2 shown]
	v_mov_b32_dpp v12, v1 row_shr:8 row_mask:0xf bank_mask:0xc
	s_and_saveexec_b64 s[40:41], s[2:3]
	s_cbranch_execz .LBB38_17
; %bb.34:                               ;   in Loop: Header=BB38_18 Depth=2
	v_min_i32_e32 v1, v12, v1
	global_store_dword v[10:11], v1, off
	s_branch .LBB38_17
.LBB38_35:                              ;   in Loop: Header=BB38_18 Depth=2
                                        ; implicit-def: $vgpr1
	s_branch .LBB38_20
.LBB38_36:                              ;   in Loop: Header=BB38_11 Depth=1
	s_or_b64 exec, exec, s[74:75]
.LBB38_37:                              ;   in Loop: Header=BB38_11 Depth=1
	s_or_b64 exec, exec, s[72:73]
	s_andn2_b64 vcc, exec, s[64:65]
	s_cbranch_vccnz .LBB38_51
; %bb.38:                               ;   in Loop: Header=BB38_11 Depth=1
	s_load_dwordx2 s[38:39], s[46:47], 0x0
	s_waitcnt lgkmcnt(0)
	s_sub_i32 s66, s39, s59
	v_add_u32_e32 v0, s38, v18
	v_cmp_gt_i32_e32 vcc, s66, v0
	s_and_saveexec_b64 s[40:41], vcc
	s_cbranch_execz .LBB38_50
; %bb.39:                               ;   in Loop: Header=BB38_11 Depth=1
	s_mov_b64 s[72:73], 0
                                        ; implicit-def: $sgpr74_sgpr75
                                        ; implicit-def: $sgpr76_sgpr77
	s_branch .LBB38_41
.LBB38_40:                              ;   in Loop: Header=BB38_41 Depth=2
	s_or_b64 exec, exec, s[80:81]
	s_and_b64 s[38:39], exec, s[78:79]
	s_or_b64 s[72:73], s[38:39], s[72:73]
	s_andn2_b64 s[38:39], s[74:75], exec
	s_and_b64 s[74:75], s[76:77], exec
	s_or_b64 s[74:75], s[38:39], s[74:75]
	s_andn2_b64 exec, exec, s[72:73]
	s_cbranch_execz .LBB38_47
.LBB38_41:                              ;   Parent Loop BB38_11 Depth=1
                                        ; =>  This Inner Loop Header: Depth=2
	v_ashrrev_i32_e32 v1, 31, v0
	v_lshl_add_u64 v[10:11], v[0:1], 2, s[42:43]
	global_load_dword v10, v[10:11], off
	s_waitcnt vmcnt(0)
	v_subrev_u32_e32 v10, s59, v10
	v_cmp_lt_i32_e32 vcc, v10, v25
	v_cmp_ge_i32_e64 s[38:39], v10, v24
	s_or_b64 s[78:79], vcc, s[38:39]
	s_mov_b64 s[38:39], 0
	s_and_saveexec_b64 s[80:81], s[78:79]
	s_xor_b64 s[78:79], exec, s[80:81]
; %bb.42:                               ;   in Loop: Header=BB38_41 Depth=2
	v_cmp_lt_i32_e32 vcc, v10, v24
	s_and_b64 s[38:39], vcc, exec
; %bb.43:                               ;   in Loop: Header=BB38_41 Depth=2
	s_andn2_saveexec_b64 s[78:79], s[78:79]
	s_cbranch_execz .LBB38_45
; %bb.44:                               ;   in Loop: Header=BB38_41 Depth=2
	v_lshl_add_u64 v[12:13], v[0:1], 3, s[44:45]
	global_load_dwordx2 v[12:13], v[12:13], off
	v_sub_u32_e32 v1, v10, v25
	ds_write_b8 v1, v23 offset:16384
	v_lshlrev_b32_e32 v1, 3, v1
	s_or_b64 s[38:39], s[38:39], exec
	s_waitcnt vmcnt(0)
	v_mul_f64 v[12:13], v[4:5], v[12:13]
	ds_add_f64 v1, v[12:13]
.LBB38_45:                              ;   in Loop: Header=BB38_41 Depth=2
	s_or_b64 exec, exec, s[78:79]
	s_mov_b64 s[78:79], -1
	s_or_b64 s[76:77], s[76:77], exec
	s_and_saveexec_b64 s[80:81], s[38:39]
	s_cbranch_execz .LBB38_40
; %bb.46:                               ;   in Loop: Header=BB38_41 Depth=2
	v_add_u32_e32 v0, 0x200, v0
	v_cmp_le_i32_e32 vcc, s66, v0
	s_andn2_b64 s[76:77], s[76:77], exec
	s_orn2_b64 s[78:79], vcc, exec
	s_branch .LBB38_40
.LBB38_47:                              ;   in Loop: Header=BB38_11 Depth=1
	s_or_b64 exec, exec, s[72:73]
	s_and_saveexec_b64 s[38:39], s[74:75]
	s_xor_b64 s[38:39], exec, s[38:39]
; %bb.48:                               ;   in Loop: Header=BB38_11 Depth=1
	v_min_i32_e32 v26, v10, v26
; %bb.49:                               ;   in Loop: Header=BB38_11 Depth=1
	s_or_b64 exec, exec, s[38:39]
.LBB38_50:                              ;   in Loop: Header=BB38_11 Depth=1
	s_or_b64 exec, exec, s[40:41]
.LBB38_51:                              ;   in Loop: Header=BB38_11 Depth=1
	v_mov_b32_dpp v0, v26 row_shr:1 row_mask:0xf bank_mask:0xf
	v_min_i32_e32 v0, v0, v26
	s_nop 1
	v_mov_b32_dpp v1, v0 row_shr:2 row_mask:0xf bank_mask:0xf
	v_min_i32_e32 v0, v1, v0
	s_nop 1
	;; [unrolled: 3-line block ×3, first 2 shown]
	v_mov_b32_dpp v1, v0 row_shr:8 row_mask:0xf bank_mask:0xc
	s_and_saveexec_b64 s[38:39], s[2:3]
	s_cbranch_execz .LBB38_56
; %bb.52:                               ;   in Loop: Header=BB38_11 Depth=1
	s_mov_b64 s[40:41], exec
	v_min_i32_e32 v0, v1, v0
	s_brev_b32 s66, -2
.LBB38_53:                              ;   Parent Loop BB38_11 Depth=1
                                        ; =>  This Inner Loop Header: Depth=2
	s_ff1_i32_b64 s72, s[40:41]
	v_readlane_b32 s74, v0, s72
	s_lshl_b64 s[72:73], 1, s72
	s_min_i32 s66, s66, s74
	s_andn2_b64 s[40:41], s[40:41], s[72:73]
	s_cmp_lg_u64 s[40:41], 0
	s_cbranch_scc1 .LBB38_53
; %bb.54:                               ;   in Loop: Header=BB38_11 Depth=1
	v_mbcnt_lo_u32_b32 v0, exec_lo, 0
	v_mbcnt_hi_u32_b32 v0, exec_hi, v0
	v_cmp_eq_u32_e32 vcc, 0, v0
	s_and_saveexec_b64 s[40:41], vcc
	s_xor_b64 s[40:41], exec, s[40:41]
; %bb.55:                               ;   in Loop: Header=BB38_11 Depth=1
	v_mov_b32_e32 v0, s66
	ds_min_i32 v6, v0 offset:18432
.LBB38_56:                              ;   in Loop: Header=BB38_11 Depth=1
	s_or_b64 exec, exec, s[38:39]
	s_mov_b64 s[38:39], 0
	v_mov_b32_e32 v10, v21
	v_mov_b32_e32 v11, v20
	s_waitcnt lgkmcnt(0)
	s_barrier
	s_branch .LBB38_58
.LBB38_57:                              ;   in Loop: Header=BB38_58 Depth=2
	s_or_b64 exec, exec, s[40:41]
	s_waitcnt lgkmcnt(0)
	s_barrier
	ds_read_b32 v0, v6 offset:60
	v_add_u32_e32 v11, 0x200, v11
	v_cmp_lt_u32_e32 vcc, s58, v11
	s_or_b64 s[38:39], vcc, s[38:39]
	v_add_u32_e32 v10, 0x1000, v10
	s_waitcnt lgkmcnt(0)
	v_add_u32_e32 v22, v0, v22
	s_andn2_b64 exec, exec, s[38:39]
	s_cbranch_execz .LBB38_10
.LBB38_58:                              ;   Parent Loop BB38_11 Depth=1
                                        ; =>  This Inner Loop Header: Depth=2
	ds_read_u8 v28, v11 offset:16896
	ds_read_b64 v[0:1], v10
	s_waitcnt lgkmcnt(0)
	s_barrier
	v_cmp_ne_u16_e32 vcc, 0, v28
	s_bcnt1_i32_b64 s40, vcc
	s_nop 0
	v_and_b32_e32 v12, vcc_lo, v8
	v_bcnt_u32_b32 v25, v12, 0
	v_mov_b32_e32 v12, s40
	ds_write_b32 v19, v12
	s_waitcnt lgkmcnt(0)
	s_barrier
	ds_read_b128 v[12:15], v6
	v_and_b32_e32 v24, vcc_hi, v9
	v_bcnt_u32_b32 v37, v24, v25
	ds_read_b128 v[24:27], v6 offset:16
	ds_read_b128 v[30:33], v6 offset:32
	ds_read_b96 v[34:36], v6 offset:48
	s_waitcnt lgkmcnt(0)
	v_cndmask_b32_e64 v12, v12, 0, s[6:7]
	v_add_u32_e32 v12, v12, v37
	v_cndmask_b32_e64 v13, v13, 0, s[8:9]
	v_cndmask_b32_e64 v14, v14, 0, s[10:11]
	v_add3_u32 v12, v12, v13, v14
	v_cndmask_b32_e64 v13, v15, 0, s[12:13]
	v_cndmask_b32_e64 v14, v24, 0, s[14:15]
	v_add3_u32 v12, v12, v13, v14
	;; [unrolled: 3-line block ×7, first 2 shown]
	v_and_b32_e32 v13, 1, v28
	v_cmp_eq_u32_e32 vcc, 1, v13
	s_and_saveexec_b64 s[40:41], vcc
	s_cbranch_execz .LBB38_60
; %bb.59:                               ;   in Loop: Header=BB38_58 Depth=2
	v_add_u32_e32 v14, v12, v22
	v_ashrrev_i32_e32 v15, 31, v14
	v_lshl_add_u64 v[14:15], v[14:15], 3, s[60:61]
	global_store_dwordx2 v[14:15], v[0:1], off offset:-8
.LBB38_60:                              ;   in Loop: Header=BB38_58 Depth=2
	s_or_b64 exec, exec, s[40:41]
	s_and_saveexec_b64 s[40:41], s[4:5]
	s_cbranch_execz .LBB38_57
; %bb.61:                               ;   in Loop: Header=BB38_58 Depth=2
	ds_write_b32 v6, v12 offset:60
	s_branch .LBB38_57
.LBB38_62:
	s_endpgm
	.section	.rodata,"a",@progbits
	.p2align	6, 0x0
	.amdhsa_kernel _ZN9rocsparseL51csrgemm_numeric_fill_block_per_row_multipass_kernelILj512ELj16ELj2048ELj32EiidEEvT4_PKS1_S3_NS_24const_host_device_scalarIT5_EEPKT3_S3_PKS5_S9_S3_SB_S6_S9_S3_SB_S9_S3_PS5_PS7_21rocsparse_index_base_SE_SE_SE_bbb
		.amdhsa_group_segment_fixed_size 18440
		.amdhsa_private_segment_fixed_size 0
		.amdhsa_kernarg_size 164
		.amdhsa_user_sgpr_count 2
		.amdhsa_user_sgpr_dispatch_ptr 0
		.amdhsa_user_sgpr_queue_ptr 0
		.amdhsa_user_sgpr_kernarg_segment_ptr 1
		.amdhsa_user_sgpr_dispatch_id 0
		.amdhsa_user_sgpr_kernarg_preload_length 0
		.amdhsa_user_sgpr_kernarg_preload_offset 0
		.amdhsa_user_sgpr_private_segment_size 0
		.amdhsa_uses_dynamic_stack 0
		.amdhsa_enable_private_segment 0
		.amdhsa_system_sgpr_workgroup_id_x 1
		.amdhsa_system_sgpr_workgroup_id_y 0
		.amdhsa_system_sgpr_workgroup_id_z 0
		.amdhsa_system_sgpr_workgroup_info 0
		.amdhsa_system_vgpr_workitem_id 0
		.amdhsa_next_free_vgpr 38
		.amdhsa_next_free_sgpr 88
		.amdhsa_accum_offset 40
		.amdhsa_reserve_vcc 1
		.amdhsa_float_round_mode_32 0
		.amdhsa_float_round_mode_16_64 0
		.amdhsa_float_denorm_mode_32 3
		.amdhsa_float_denorm_mode_16_64 3
		.amdhsa_dx10_clamp 1
		.amdhsa_ieee_mode 1
		.amdhsa_fp16_overflow 0
		.amdhsa_tg_split 0
		.amdhsa_exception_fp_ieee_invalid_op 0
		.amdhsa_exception_fp_denorm_src 0
		.amdhsa_exception_fp_ieee_div_zero 0
		.amdhsa_exception_fp_ieee_overflow 0
		.amdhsa_exception_fp_ieee_underflow 0
		.amdhsa_exception_fp_ieee_inexact 0
		.amdhsa_exception_int_div_zero 0
	.end_amdhsa_kernel
	.section	.text._ZN9rocsparseL51csrgemm_numeric_fill_block_per_row_multipass_kernelILj512ELj16ELj2048ELj32EiidEEvT4_PKS1_S3_NS_24const_host_device_scalarIT5_EEPKT3_S3_PKS5_S9_S3_SB_S6_S9_S3_SB_S9_S3_PS5_PS7_21rocsparse_index_base_SE_SE_SE_bbb,"axG",@progbits,_ZN9rocsparseL51csrgemm_numeric_fill_block_per_row_multipass_kernelILj512ELj16ELj2048ELj32EiidEEvT4_PKS1_S3_NS_24const_host_device_scalarIT5_EEPKT3_S3_PKS5_S9_S3_SB_S6_S9_S3_SB_S9_S3_PS5_PS7_21rocsparse_index_base_SE_SE_SE_bbb,comdat
.Lfunc_end38:
	.size	_ZN9rocsparseL51csrgemm_numeric_fill_block_per_row_multipass_kernelILj512ELj16ELj2048ELj32EiidEEvT4_PKS1_S3_NS_24const_host_device_scalarIT5_EEPKT3_S3_PKS5_S9_S3_SB_S6_S9_S3_SB_S9_S3_PS5_PS7_21rocsparse_index_base_SE_SE_SE_bbb, .Lfunc_end38-_ZN9rocsparseL51csrgemm_numeric_fill_block_per_row_multipass_kernelILj512ELj16ELj2048ELj32EiidEEvT4_PKS1_S3_NS_24const_host_device_scalarIT5_EEPKT3_S3_PKS5_S9_S3_SB_S6_S9_S3_SB_S9_S3_PS5_PS7_21rocsparse_index_base_SE_SE_SE_bbb
                                        ; -- End function
	.set _ZN9rocsparseL51csrgemm_numeric_fill_block_per_row_multipass_kernelILj512ELj16ELj2048ELj32EiidEEvT4_PKS1_S3_NS_24const_host_device_scalarIT5_EEPKT3_S3_PKS5_S9_S3_SB_S6_S9_S3_SB_S9_S3_PS5_PS7_21rocsparse_index_base_SE_SE_SE_bbb.num_vgpr, 38
	.set _ZN9rocsparseL51csrgemm_numeric_fill_block_per_row_multipass_kernelILj512ELj16ELj2048ELj32EiidEEvT4_PKS1_S3_NS_24const_host_device_scalarIT5_EEPKT3_S3_PKS5_S9_S3_SB_S6_S9_S3_SB_S9_S3_PS5_PS7_21rocsparse_index_base_SE_SE_SE_bbb.num_agpr, 0
	.set _ZN9rocsparseL51csrgemm_numeric_fill_block_per_row_multipass_kernelILj512ELj16ELj2048ELj32EiidEEvT4_PKS1_S3_NS_24const_host_device_scalarIT5_EEPKT3_S3_PKS5_S9_S3_SB_S6_S9_S3_SB_S9_S3_PS5_PS7_21rocsparse_index_base_SE_SE_SE_bbb.numbered_sgpr, 88
	.set _ZN9rocsparseL51csrgemm_numeric_fill_block_per_row_multipass_kernelILj512ELj16ELj2048ELj32EiidEEvT4_PKS1_S3_NS_24const_host_device_scalarIT5_EEPKT3_S3_PKS5_S9_S3_SB_S6_S9_S3_SB_S9_S3_PS5_PS7_21rocsparse_index_base_SE_SE_SE_bbb.num_named_barrier, 0
	.set _ZN9rocsparseL51csrgemm_numeric_fill_block_per_row_multipass_kernelILj512ELj16ELj2048ELj32EiidEEvT4_PKS1_S3_NS_24const_host_device_scalarIT5_EEPKT3_S3_PKS5_S9_S3_SB_S6_S9_S3_SB_S9_S3_PS5_PS7_21rocsparse_index_base_SE_SE_SE_bbb.private_seg_size, 0
	.set _ZN9rocsparseL51csrgemm_numeric_fill_block_per_row_multipass_kernelILj512ELj16ELj2048ELj32EiidEEvT4_PKS1_S3_NS_24const_host_device_scalarIT5_EEPKT3_S3_PKS5_S9_S3_SB_S6_S9_S3_SB_S9_S3_PS5_PS7_21rocsparse_index_base_SE_SE_SE_bbb.uses_vcc, 1
	.set _ZN9rocsparseL51csrgemm_numeric_fill_block_per_row_multipass_kernelILj512ELj16ELj2048ELj32EiidEEvT4_PKS1_S3_NS_24const_host_device_scalarIT5_EEPKT3_S3_PKS5_S9_S3_SB_S6_S9_S3_SB_S9_S3_PS5_PS7_21rocsparse_index_base_SE_SE_SE_bbb.uses_flat_scratch, 0
	.set _ZN9rocsparseL51csrgemm_numeric_fill_block_per_row_multipass_kernelILj512ELj16ELj2048ELj32EiidEEvT4_PKS1_S3_NS_24const_host_device_scalarIT5_EEPKT3_S3_PKS5_S9_S3_SB_S6_S9_S3_SB_S9_S3_PS5_PS7_21rocsparse_index_base_SE_SE_SE_bbb.has_dyn_sized_stack, 0
	.set _ZN9rocsparseL51csrgemm_numeric_fill_block_per_row_multipass_kernelILj512ELj16ELj2048ELj32EiidEEvT4_PKS1_S3_NS_24const_host_device_scalarIT5_EEPKT3_S3_PKS5_S9_S3_SB_S6_S9_S3_SB_S9_S3_PS5_PS7_21rocsparse_index_base_SE_SE_SE_bbb.has_recursion, 0
	.set _ZN9rocsparseL51csrgemm_numeric_fill_block_per_row_multipass_kernelILj512ELj16ELj2048ELj32EiidEEvT4_PKS1_S3_NS_24const_host_device_scalarIT5_EEPKT3_S3_PKS5_S9_S3_SB_S6_S9_S3_SB_S9_S3_PS5_PS7_21rocsparse_index_base_SE_SE_SE_bbb.has_indirect_call, 0
	.section	.AMDGPU.csdata,"",@progbits
; Kernel info:
; codeLenInByte = 2300
; TotalNumSgprs: 94
; NumVgprs: 38
; NumAgprs: 0
; TotalNumVgprs: 38
; ScratchSize: 0
; MemoryBound: 0
; FloatMode: 240
; IeeeMode: 1
; LDSByteSize: 18440 bytes/workgroup (compile time only)
; SGPRBlocks: 11
; VGPRBlocks: 4
; NumSGPRsForWavesPerEU: 94
; NumVGPRsForWavesPerEU: 38
; AccumOffset: 40
; Occupancy: 8
; WaveLimiterHint : 1
; COMPUTE_PGM_RSRC2:SCRATCH_EN: 0
; COMPUTE_PGM_RSRC2:USER_SGPR: 2
; COMPUTE_PGM_RSRC2:TRAP_HANDLER: 0
; COMPUTE_PGM_RSRC2:TGID_X_EN: 1
; COMPUTE_PGM_RSRC2:TGID_Y_EN: 0
; COMPUTE_PGM_RSRC2:TGID_Z_EN: 0
; COMPUTE_PGM_RSRC2:TIDIG_COMP_CNT: 0
; COMPUTE_PGM_RSRC3_GFX90A:ACCUM_OFFSET: 9
; COMPUTE_PGM_RSRC3_GFX90A:TG_SPLIT: 0
	.section	.text._ZN9rocsparseL51csrgemm_numeric_fill_block_per_row_multipass_kernelILj512ELj16ELj2048ELj64EiidEEvT4_PKS1_S3_NS_24const_host_device_scalarIT5_EEPKT3_S3_PKS5_S9_S3_SB_S6_S9_S3_SB_S9_S3_PS5_PS7_21rocsparse_index_base_SE_SE_SE_bbb,"axG",@progbits,_ZN9rocsparseL51csrgemm_numeric_fill_block_per_row_multipass_kernelILj512ELj16ELj2048ELj64EiidEEvT4_PKS1_S3_NS_24const_host_device_scalarIT5_EEPKT3_S3_PKS5_S9_S3_SB_S6_S9_S3_SB_S9_S3_PS5_PS7_21rocsparse_index_base_SE_SE_SE_bbb,comdat
	.globl	_ZN9rocsparseL51csrgemm_numeric_fill_block_per_row_multipass_kernelILj512ELj16ELj2048ELj64EiidEEvT4_PKS1_S3_NS_24const_host_device_scalarIT5_EEPKT3_S3_PKS5_S9_S3_SB_S6_S9_S3_SB_S9_S3_PS5_PS7_21rocsparse_index_base_SE_SE_SE_bbb ; -- Begin function _ZN9rocsparseL51csrgemm_numeric_fill_block_per_row_multipass_kernelILj512ELj16ELj2048ELj64EiidEEvT4_PKS1_S3_NS_24const_host_device_scalarIT5_EEPKT3_S3_PKS5_S9_S3_SB_S6_S9_S3_SB_S9_S3_PS5_PS7_21rocsparse_index_base_SE_SE_SE_bbb
	.p2align	8
	.type	_ZN9rocsparseL51csrgemm_numeric_fill_block_per_row_multipass_kernelILj512ELj16ELj2048ELj64EiidEEvT4_PKS1_S3_NS_24const_host_device_scalarIT5_EEPKT3_S3_PKS5_S9_S3_SB_S6_S9_S3_SB_S9_S3_PS5_PS7_21rocsparse_index_base_SE_SE_SE_bbb,@function
_ZN9rocsparseL51csrgemm_numeric_fill_block_per_row_multipass_kernelILj512ELj16ELj2048ELj64EiidEEvT4_PKS1_S3_NS_24const_host_device_scalarIT5_EEPKT3_S3_PKS5_S9_S3_SB_S6_S9_S3_SB_S9_S3_PS5_PS7_21rocsparse_index_base_SE_SE_SE_bbb: ; @_ZN9rocsparseL51csrgemm_numeric_fill_block_per_row_multipass_kernelILj512ELj16ELj2048ELj64EiidEEvT4_PKS1_S3_NS_24const_host_device_scalarIT5_EEPKT3_S3_PKS5_S9_S3_SB_S6_S9_S3_SB_S9_S3_PS5_PS7_21rocsparse_index_base_SE_SE_SE_bbb
; %bb.0:
	s_load_dword s3, s[0:1], 0xa0
	s_load_dwordx4 s[4:7], s[0:1], 0x8
	s_load_dwordx2 s[10:11], s[0:1], 0x18
	s_load_dwordx4 s[44:47], s[0:1], 0x90
	s_load_dwordx2 s[12:13], s[0:1], 0x50
	s_waitcnt lgkmcnt(0)
	s_bitcmp1_b32 s3, 0
	s_cselect_b64 s[8:9], -1, 0
	s_bitcmp1_b32 s3, 16
	s_cselect_b64 s[14:15], -1, 0
	s_xor_b64 s[16:17], s[8:9], -1
	s_or_b64 s[16:17], s[14:15], s[16:17]
	s_and_b64 s[18:19], s[8:9], exec
	s_cselect_b32 s19, s11, 0
	s_cselect_b32 s18, s10, 0
	s_and_b64 vcc, exec, s[16:17]
	v_mov_b64_e32 v[2:3], s[18:19]
	s_cbranch_vccnz .LBB39_2
; %bb.1:
	v_mov_b64_e32 v[2:3], s[10:11]
	flat_load_dwordx2 v[2:3], v[2:3]
.LBB39_2:
	s_bitcmp1_b32 s3, 8
	s_cselect_b64 s[20:21], -1, 0
	s_load_dwordx2 s[10:11], s[0:1], 0x20
	s_xor_b64 s[16:17], s[20:21], -1
	s_or_b64 s[14:15], s[14:15], s[16:17]
	s_and_b64 s[16:17], s[20:21], exec
	s_cselect_b32 s17, s13, 0
	s_cselect_b32 s16, s12, 0
	s_and_b64 vcc, exec, s[14:15]
	v_mov_b64_e32 v[4:5], s[16:17]
	s_cbranch_vccnz .LBB39_4
; %bb.3:
	v_mov_b64_e32 v[4:5], s[12:13]
	flat_load_dwordx2 v[4:5], v[4:5]
.LBB39_4:
	s_load_dword s3, s[4:5], 0x0
	s_mov_b32 s35, 0
	v_cndmask_b32_e64 v1, 0, 1, s[8:9]
	s_waitcnt lgkmcnt(0)
	s_add_i32 s34, s3, s2
	s_lshl_b64 s[2:3], s[34:35], 2
	s_add_u32 s2, s6, s2
	s_addc_u32 s3, s7, s3
	s_load_dword s4, s[2:3], 0x0
	v_cmp_ne_u32_e64 s[2:3], 1, v1
	s_andn2_b64 vcc, exec, s[8:9]
	s_mov_b32 s6, 0
	s_cbranch_vccz .LBB39_7
; %bb.5:
	s_and_b64 vcc, exec, s[2:3]
	s_cbranch_vccz .LBB39_8
.LBB39_6:
	s_load_dword s33, s[0:1], 0x0
	s_waitcnt lgkmcnt(0)
	s_cmp_lt_i32 s33, 1
	s_cbranch_scc0 .LBB39_9
	s_branch .LBB39_62
.LBB39_7:
	s_waitcnt lgkmcnt(0)
	s_ashr_i32 s5, s4, 31
	s_lshl_b64 s[6:7], s[4:5], 2
	s_add_u32 s6, s10, s6
	s_addc_u32 s7, s11, s7
	s_load_dword s5, s[6:7], 0x0
	s_waitcnt lgkmcnt(0)
	s_sub_i32 s6, s5, s44
	s_and_b64 vcc, exec, s[2:3]
	s_cbranch_vccnz .LBB39_6
.LBB39_8:
	s_waitcnt lgkmcnt(0)
	s_ashr_i32 s5, s4, 31
	s_lshl_b64 s[2:3], s[4:5], 2
	s_add_u32 s2, s10, s2
	s_addc_u32 s3, s11, s3
	s_load_dword s2, s[2:3], 0x4
	s_waitcnt lgkmcnt(0)
	s_sub_i32 s35, s2, s44
	s_load_dword s33, s[0:1], 0x0
	s_waitcnt lgkmcnt(0)
	s_cmp_lt_i32 s33, 1
	s_cbranch_scc1 .LBB39_62
.LBB39_9:
	s_load_dwordx8 s[24:31], s[0:1], 0x58
	s_load_dwordx4 s[48:51], s[0:1], 0x80
	s_load_dwordx2 s[52:53], s[0:1], 0x48
	s_ashr_i32 s5, s4, 31
	s_lshl_b64 s[4:5], s[4:5], 2
	s_waitcnt lgkmcnt(0)
	s_add_u32 s2, s30, s4
	s_addc_u32 s3, s31, s5
	s_load_dword s7, s[2:3], 0x0
	s_load_dwordx8 s[36:43], s[0:1], 0x28
	v_lshrrev_b32_e32 v1, 4, v0
	v_add_u32_e32 v17, s6, v1
	v_cmp_gt_i32_e32 vcc, s35, v17
	s_waitcnt lgkmcnt(0)
	s_sub_i32 s22, s7, s46
	s_add_u32 s30, s24, s4
	v_mbcnt_lo_u32_b32 v7, -1, 0
	s_addc_u32 s31, s25, s5
	v_mbcnt_hi_u32_b32 v7, -1, v7
	s_movk_i32 s4, 0x1ff
	s_and_b64 s[54:55], s[8:9], vcc
	s_movk_i32 s8, 0x80
	s_movk_i32 s10, 0xc0
	;; [unrolled: 1-line block ×6, first 2 shown]
	v_and_b32_e32 v16, 15, v0
	v_cmp_eq_u32_e64 s[0:1], 0, v0
	v_subrev_u32_e32 v18, s47, v0
	v_mov_b32_e32 v6, 0
	v_sub_u32_e32 v7, 63, v7
	v_cmp_eq_u32_e64 s[4:5], s4, v0
	v_cmp_gt_u32_e64 s[6:7], 64, v0
	v_cmp_gt_u32_e64 s[8:9], s8, v0
	v_cmp_gt_u32_e64 s[10:11], s10, v0
	v_cmp_gt_u32_e64 s[12:13], s12, v0
	v_cmp_gt_u32_e64 s[14:15], s14, v0
	v_cmp_gt_u32_e64 s[16:17], s16, v0
	v_cmp_gt_u32_e64 s[18:19], s18, v0
	v_or_b32_e32 v20, 0xfffffe00, v0
	v_lshlrev_b32_e32 v21, 3, v0
	v_cndmask_b32_e64 v0, 0, 1, s[20:21]
	v_cmp_eq_u32_e64 s[2:3], 15, v16
	v_lshrrev_b64 v[8:9], v7, -1
	v_and_b32_e32 v19, 28, v1
	v_mov_b32_e32 v24, 0x800
	v_mov_b32_e32 v22, s22
	;; [unrolled: 1-line block ×3, first 2 shown]
	s_movk_i32 s34, 0x5ff
	v_mov_b32_e32 v29, s33
	v_mov_b32_e32 v23, 1
	v_cmp_ne_u32_e64 s[20:21], 1, v0
	v_mov_b32_e32 v25, v6
	s_branch .LBB39_11
.LBB39_10:                              ;   in Loop: Header=BB39_11 Depth=1
	s_or_b64 exec, exec, s[22:23]
	ds_read_b32 v25, v6 offset:18432
	s_waitcnt lgkmcnt(0)
	s_barrier
	v_cmp_le_i32_e32 vcc, s33, v25
	v_add_u32_e32 v24, 0x800, v25
	s_cbranch_vccnz .LBB39_62
.LBB39_11:                              ; =>This Loop Header: Depth=1
                                        ;     Child Loop BB39_12 Depth 2
                                        ;     Child Loop BB39_18 Depth 2
                                        ;       Child Loop BB39_24 Depth 3
                                        ;     Child Loop BB39_41 Depth 2
                                        ;     Child Loop BB39_53 Depth 2
	;; [unrolled: 1-line block ×3, first 2 shown]
	s_mov_b64 s[22:23], 0
	v_mov_b32_e32 v0, v21
	v_mov_b32_e32 v1, v20
.LBB39_12:                              ;   Parent Loop BB39_11 Depth=1
                                        ; =>  This Inner Loop Header: Depth=2
	ds_write_b8 v1, v6 offset:16896
	ds_write_b64 v0, v[6:7]
	v_add_u32_e32 v1, 0x200, v1
	v_cmp_lt_u32_e32 vcc, s34, v1
	s_or_b64 s[22:23], vcc, s[22:23]
	v_add_u32_e32 v0, 0x1000, v0
	s_andn2_b64 exec, exec, s[22:23]
	s_cbranch_execnz .LBB39_12
; %bb.13:                               ;   in Loop: Header=BB39_11 Depth=1
	s_or_b64 exec, exec, s[22:23]
	s_and_saveexec_b64 s[22:23], s[0:1]
; %bb.14:                               ;   in Loop: Header=BB39_11 Depth=1
	ds_write_b32 v6, v29 offset:18432
; %bb.15:                               ;   in Loop: Header=BB39_11 Depth=1
	s_or_b64 exec, exec, s[22:23]
	v_mov_b32_e32 v26, s33
	s_waitcnt lgkmcnt(0)
	s_barrier
	s_and_saveexec_b64 s[56:57], s[54:55]
	s_cbranch_execz .LBB39_37
; %bb.16:                               ;   in Loop: Header=BB39_11 Depth=1
	s_mov_b64 s[58:59], 0
	v_cmp_ne_u32_e64 s[22:23], 0, v25
	v_mov_b32_e32 v26, s33
	v_mov_b32_e32 v0, v17
	s_branch .LBB39_18
.LBB39_17:                              ;   in Loop: Header=BB39_18 Depth=2
	s_or_b64 exec, exec, s[24:25]
	v_add_u32_e32 v0, 32, v0
	v_cmp_le_i32_e32 vcc, s35, v0
	s_or_b64 s[58:59], vcc, s[58:59]
	s_andn2_b64 exec, exec, s[58:59]
	s_cbranch_execz .LBB39_36
.LBB39_18:                              ;   Parent Loop BB39_11 Depth=1
                                        ; =>  This Loop Header: Depth=2
                                        ;       Child Loop BB39_24 Depth 3
	v_ashrrev_i32_e32 v1, 31, v0
	v_lshl_add_u64 v[10:11], v[0:1], 2, s[36:37]
	global_load_dword v14, v[10:11], off
	v_lshl_add_u64 v[10:11], v[0:1], 3, s[38:39]
	global_load_dwordx2 v[12:13], v[10:11], off
	s_and_b64 vcc, exec, s[22:23]
	v_lshl_add_u64 v[10:11], v[0:1], 2, s[50:51]
	s_waitcnt vmcnt(0)
	v_subrev_u32_e32 v14, s44, v14
	v_ashrrev_i32_e32 v15, 31, v14
	s_cbranch_vccz .LBB39_35
; %bb.19:                               ;   in Loop: Header=BB39_18 Depth=2
	global_load_dword v1, v[10:11], off
	s_cbranch_execnz .LBB39_21
.LBB39_20:                              ;   in Loop: Header=BB39_18 Depth=2
	v_lshl_add_u64 v[30:31], v[14:15], 2, s[40:41]
	global_load_dword v1, v[30:31], off
	s_waitcnt vmcnt(0)
	v_subrev_u32_e32 v1, s45, v1
.LBB39_21:                              ;   in Loop: Header=BB39_18 Depth=2
	v_lshl_add_u64 v[14:15], v[14:15], 2, s[40:41]
	global_load_dword v14, v[14:15], off offset:4
	s_waitcnt vmcnt(1)
	v_add_u32_e32 v1, v1, v16
	s_waitcnt vmcnt(0)
	v_subrev_u32_e32 v27, s45, v14
	v_cmp_lt_i32_e32 vcc, v1, v27
	s_and_saveexec_b64 s[60:61], vcc
	s_cbranch_execz .LBB39_33
; %bb.22:                               ;   in Loop: Header=BB39_18 Depth=2
	v_mul_f64 v[14:15], v[2:3], v[12:13]
	s_mov_b64 s[64:65], 0
	v_mov_b32_e32 v13, v1
                                        ; implicit-def: $sgpr62_sgpr63
                                        ; implicit-def: $sgpr66_sgpr67
	s_branch .LBB39_24
.LBB39_23:                              ;   in Loop: Header=BB39_24 Depth=3
	s_or_b64 exec, exec, s[70:71]
	s_and_b64 s[24:25], exec, s[68:69]
	s_or_b64 s[64:65], s[24:25], s[64:65]
	s_andn2_b64 s[24:25], s[62:63], exec
	s_and_b64 s[62:63], s[66:67], exec
	s_or_b64 s[62:63], s[24:25], s[62:63]
	s_andn2_b64 exec, exec, s[64:65]
	s_cbranch_execz .LBB39_30
.LBB39_24:                              ;   Parent Loop BB39_11 Depth=1
                                        ;     Parent Loop BB39_18 Depth=2
                                        ; =>    This Inner Loop Header: Depth=3
	v_mov_b32_e32 v12, v13
	v_ashrrev_i32_e32 v13, 31, v12
	v_lshl_add_u64 v[30:31], v[12:13], 2, s[42:43]
	global_load_dword v28, v[30:31], off
	s_waitcnt vmcnt(0)
	v_subrev_u32_e32 v28, s45, v28
	v_cmp_lt_i32_e32 vcc, v28, v25
	v_cmp_ge_i32_e64 s[24:25], v28, v24
	s_or_b64 s[68:69], vcc, s[24:25]
	s_mov_b64 s[24:25], 0
	s_and_saveexec_b64 s[70:71], s[68:69]
	s_xor_b64 s[68:69], exec, s[70:71]
; %bb.25:                               ;   in Loop: Header=BB39_24 Depth=3
	v_cmp_lt_i32_e32 vcc, v28, v24
	s_and_b64 s[24:25], vcc, exec
; %bb.26:                               ;   in Loop: Header=BB39_24 Depth=3
	s_andn2_saveexec_b64 s[68:69], s[68:69]
	s_cbranch_execz .LBB39_28
; %bb.27:                               ;   in Loop: Header=BB39_24 Depth=3
	v_lshl_add_u64 v[30:31], v[12:13], 3, s[52:53]
	global_load_dwordx2 v[30:31], v[30:31], off
	v_sub_u32_e32 v13, v28, v25
	ds_write_b8 v13, v23 offset:16384
	v_lshlrev_b32_e32 v13, 3, v13
	s_or_b64 s[24:25], s[24:25], exec
	s_waitcnt vmcnt(0)
	v_mul_f64 v[30:31], v[14:15], v[30:31]
	ds_add_f64 v13, v[30:31]
.LBB39_28:                              ;   in Loop: Header=BB39_24 Depth=3
	s_or_b64 exec, exec, s[68:69]
	s_mov_b64 s[68:69], -1
	s_or_b64 s[66:67], s[66:67], exec
                                        ; implicit-def: $vgpr13
	s_and_saveexec_b64 s[70:71], s[24:25]
	s_cbranch_execz .LBB39_23
; %bb.29:                               ;   in Loop: Header=BB39_24 Depth=3
	v_add_u32_e32 v13, 16, v12
	v_cmp_ge_i32_e32 vcc, v13, v27
	s_andn2_b64 s[66:67], s[66:67], exec
	s_orn2_b64 s[68:69], vcc, exec
	s_branch .LBB39_23
.LBB39_30:                              ;   in Loop: Header=BB39_18 Depth=2
	s_or_b64 exec, exec, s[64:65]
	s_and_saveexec_b64 s[24:25], s[62:63]
	s_xor_b64 s[24:25], exec, s[24:25]
; %bb.31:                               ;   in Loop: Header=BB39_18 Depth=2
	v_min_i32_e32 v26, v28, v26
	v_mov_b32_e32 v1, v12
; %bb.32:                               ;   in Loop: Header=BB39_18 Depth=2
	s_or_b64 exec, exec, s[24:25]
.LBB39_33:                              ;   in Loop: Header=BB39_18 Depth=2
	s_or_b64 exec, exec, s[60:61]
	v_mov_b32_dpp v12, v1 row_shr:1 row_mask:0xf bank_mask:0xf
	v_min_i32_e32 v1, v12, v1
	s_nop 1
	v_mov_b32_dpp v12, v1 row_shr:2 row_mask:0xf bank_mask:0xf
	v_min_i32_e32 v1, v12, v1
	s_nop 1
	;; [unrolled: 3-line block ×3, first 2 shown]
	v_mov_b32_dpp v12, v1 row_shr:8 row_mask:0xf bank_mask:0xc
	s_and_saveexec_b64 s[24:25], s[2:3]
	s_cbranch_execz .LBB39_17
; %bb.34:                               ;   in Loop: Header=BB39_18 Depth=2
	v_min_i32_e32 v1, v12, v1
	global_store_dword v[10:11], v1, off
	s_branch .LBB39_17
.LBB39_35:                              ;   in Loop: Header=BB39_18 Depth=2
                                        ; implicit-def: $vgpr1
	s_branch .LBB39_20
.LBB39_36:                              ;   in Loop: Header=BB39_11 Depth=1
	s_or_b64 exec, exec, s[58:59]
.LBB39_37:                              ;   in Loop: Header=BB39_11 Depth=1
	s_or_b64 exec, exec, s[56:57]
	s_and_b64 vcc, exec, s[20:21]
	s_cbranch_vccnz .LBB39_51
; %bb.38:                               ;   in Loop: Header=BB39_11 Depth=1
	s_load_dwordx2 s[22:23], s[30:31], 0x0
	s_waitcnt lgkmcnt(0)
	s_sub_i32 s46, s23, s47
	v_add_u32_e32 v0, s22, v18
	v_cmp_gt_i32_e32 vcc, s46, v0
	s_and_saveexec_b64 s[24:25], vcc
	s_cbranch_execz .LBB39_50
; %bb.39:                               ;   in Loop: Header=BB39_11 Depth=1
	s_mov_b64 s[56:57], 0
                                        ; implicit-def: $sgpr58_sgpr59
                                        ; implicit-def: $sgpr60_sgpr61
	s_branch .LBB39_41
.LBB39_40:                              ;   in Loop: Header=BB39_41 Depth=2
	s_or_b64 exec, exec, s[64:65]
	s_and_b64 s[22:23], exec, s[62:63]
	s_or_b64 s[56:57], s[22:23], s[56:57]
	s_andn2_b64 s[22:23], s[58:59], exec
	s_and_b64 s[58:59], s[60:61], exec
	s_or_b64 s[58:59], s[22:23], s[58:59]
	s_andn2_b64 exec, exec, s[56:57]
	s_cbranch_execz .LBB39_47
.LBB39_41:                              ;   Parent Loop BB39_11 Depth=1
                                        ; =>  This Inner Loop Header: Depth=2
	v_ashrrev_i32_e32 v1, 31, v0
	v_lshl_add_u64 v[10:11], v[0:1], 2, s[26:27]
	global_load_dword v10, v[10:11], off
	s_waitcnt vmcnt(0)
	v_subrev_u32_e32 v10, s47, v10
	v_cmp_lt_i32_e32 vcc, v10, v25
	v_cmp_ge_i32_e64 s[22:23], v10, v24
	s_or_b64 s[62:63], vcc, s[22:23]
	s_mov_b64 s[22:23], 0
	s_and_saveexec_b64 s[64:65], s[62:63]
	s_xor_b64 s[62:63], exec, s[64:65]
; %bb.42:                               ;   in Loop: Header=BB39_41 Depth=2
	v_cmp_lt_i32_e32 vcc, v10, v24
	s_and_b64 s[22:23], vcc, exec
; %bb.43:                               ;   in Loop: Header=BB39_41 Depth=2
	s_andn2_saveexec_b64 s[62:63], s[62:63]
	s_cbranch_execz .LBB39_45
; %bb.44:                               ;   in Loop: Header=BB39_41 Depth=2
	v_lshl_add_u64 v[12:13], v[0:1], 3, s[28:29]
	global_load_dwordx2 v[12:13], v[12:13], off
	v_sub_u32_e32 v1, v10, v25
	ds_write_b8 v1, v23 offset:16384
	v_lshlrev_b32_e32 v1, 3, v1
	s_or_b64 s[22:23], s[22:23], exec
	s_waitcnt vmcnt(0)
	v_mul_f64 v[12:13], v[4:5], v[12:13]
	ds_add_f64 v1, v[12:13]
.LBB39_45:                              ;   in Loop: Header=BB39_41 Depth=2
	s_or_b64 exec, exec, s[62:63]
	s_mov_b64 s[62:63], -1
	s_or_b64 s[60:61], s[60:61], exec
	s_and_saveexec_b64 s[64:65], s[22:23]
	s_cbranch_execz .LBB39_40
; %bb.46:                               ;   in Loop: Header=BB39_41 Depth=2
	v_add_u32_e32 v0, 0x200, v0
	v_cmp_le_i32_e32 vcc, s46, v0
	s_andn2_b64 s[60:61], s[60:61], exec
	s_orn2_b64 s[62:63], vcc, exec
	s_branch .LBB39_40
.LBB39_47:                              ;   in Loop: Header=BB39_11 Depth=1
	s_or_b64 exec, exec, s[56:57]
	s_and_saveexec_b64 s[22:23], s[58:59]
	s_xor_b64 s[22:23], exec, s[22:23]
; %bb.48:                               ;   in Loop: Header=BB39_11 Depth=1
	v_min_i32_e32 v26, v10, v26
; %bb.49:                               ;   in Loop: Header=BB39_11 Depth=1
	s_or_b64 exec, exec, s[22:23]
.LBB39_50:                              ;   in Loop: Header=BB39_11 Depth=1
	s_or_b64 exec, exec, s[24:25]
.LBB39_51:                              ;   in Loop: Header=BB39_11 Depth=1
	v_mov_b32_dpp v0, v26 row_shr:1 row_mask:0xf bank_mask:0xf
	v_min_i32_e32 v0, v0, v26
	s_nop 1
	v_mov_b32_dpp v1, v0 row_shr:2 row_mask:0xf bank_mask:0xf
	v_min_i32_e32 v0, v1, v0
	s_nop 1
	;; [unrolled: 3-line block ×3, first 2 shown]
	v_mov_b32_dpp v1, v0 row_shr:8 row_mask:0xf bank_mask:0xc
	s_and_saveexec_b64 s[22:23], s[2:3]
	s_cbranch_execz .LBB39_56
; %bb.52:                               ;   in Loop: Header=BB39_11 Depth=1
	s_mov_b64 s[24:25], exec
	v_min_i32_e32 v0, v1, v0
	s_brev_b32 s46, -2
.LBB39_53:                              ;   Parent Loop BB39_11 Depth=1
                                        ; =>  This Inner Loop Header: Depth=2
	s_ff1_i32_b64 s56, s[24:25]
	v_readlane_b32 s58, v0, s56
	s_lshl_b64 s[56:57], 1, s56
	s_min_i32 s46, s46, s58
	s_andn2_b64 s[24:25], s[24:25], s[56:57]
	s_cmp_lg_u64 s[24:25], 0
	s_cbranch_scc1 .LBB39_53
; %bb.54:                               ;   in Loop: Header=BB39_11 Depth=1
	v_mbcnt_lo_u32_b32 v0, exec_lo, 0
	v_mbcnt_hi_u32_b32 v0, exec_hi, v0
	v_cmp_eq_u32_e32 vcc, 0, v0
	s_and_saveexec_b64 s[24:25], vcc
	s_xor_b64 s[24:25], exec, s[24:25]
; %bb.55:                               ;   in Loop: Header=BB39_11 Depth=1
	v_mov_b32_e32 v0, s46
	ds_min_i32 v6, v0 offset:18432
.LBB39_56:                              ;   in Loop: Header=BB39_11 Depth=1
	s_or_b64 exec, exec, s[22:23]
	s_mov_b64 s[22:23], 0
	v_mov_b32_e32 v10, v21
	v_mov_b32_e32 v11, v20
	s_waitcnt lgkmcnt(0)
	s_barrier
	s_branch .LBB39_58
.LBB39_57:                              ;   in Loop: Header=BB39_58 Depth=2
	s_or_b64 exec, exec, s[24:25]
	s_waitcnt lgkmcnt(0)
	s_barrier
	ds_read_b32 v0, v6 offset:28
	v_add_u32_e32 v11, 0x200, v11
	v_cmp_lt_u32_e32 vcc, s34, v11
	s_or_b64 s[22:23], vcc, s[22:23]
	v_add_u32_e32 v10, 0x1000, v10
	s_waitcnt lgkmcnt(0)
	v_add_u32_e32 v22, v0, v22
	s_andn2_b64 exec, exec, s[22:23]
	s_cbranch_execz .LBB39_10
.LBB39_58:                              ;   Parent Loop BB39_11 Depth=1
                                        ; =>  This Inner Loop Header: Depth=2
	ds_read_u8 v27, v11 offset:16896
	ds_read_b64 v[0:1], v10
	s_waitcnt lgkmcnt(0)
	s_barrier
	v_cmp_ne_u16_e32 vcc, 0, v27
	s_bcnt1_i32_b64 s24, vcc
	v_mov_b32_e32 v12, s24
	ds_write_b32 v19, v12
	s_waitcnt lgkmcnt(0)
	s_barrier
	ds_read_b128 v[12:15], v6
	v_and_b32_e32 v25, vcc_lo, v8
	v_and_b32_e32 v24, vcc_hi, v9
	v_bcnt_u32_b32 v25, v25, 0
	v_bcnt_u32_b32 v28, v24, v25
	ds_read_b96 v[24:26], v6 offset:16
	s_waitcnt lgkmcnt(0)
	v_cndmask_b32_e64 v12, v12, 0, s[6:7]
	v_add_u32_e32 v12, v12, v28
	v_cndmask_b32_e64 v13, v13, 0, s[8:9]
	v_cndmask_b32_e64 v14, v14, 0, s[10:11]
	v_add3_u32 v12, v12, v13, v14
	v_cndmask_b32_e64 v13, v15, 0, s[12:13]
	v_cndmask_b32_e64 v14, v24, 0, s[14:15]
	v_add3_u32 v12, v12, v13, v14
	;; [unrolled: 3-line block ×3, first 2 shown]
	v_and_b32_e32 v13, 1, v27
	v_cmp_eq_u32_e32 vcc, 1, v13
	s_and_saveexec_b64 s[24:25], vcc
	s_cbranch_execz .LBB39_60
; %bb.59:                               ;   in Loop: Header=BB39_58 Depth=2
	v_add_u32_e32 v14, v12, v22
	v_ashrrev_i32_e32 v15, 31, v14
	v_lshl_add_u64 v[14:15], v[14:15], 3, s[48:49]
	global_store_dwordx2 v[14:15], v[0:1], off offset:-8
.LBB39_60:                              ;   in Loop: Header=BB39_58 Depth=2
	s_or_b64 exec, exec, s[24:25]
	s_and_saveexec_b64 s[24:25], s[4:5]
	s_cbranch_execz .LBB39_57
; %bb.61:                               ;   in Loop: Header=BB39_58 Depth=2
	ds_write_b32 v6, v12 offset:28
	s_branch .LBB39_57
.LBB39_62:
	s_endpgm
	.section	.rodata,"a",@progbits
	.p2align	6, 0x0
	.amdhsa_kernel _ZN9rocsparseL51csrgemm_numeric_fill_block_per_row_multipass_kernelILj512ELj16ELj2048ELj64EiidEEvT4_PKS1_S3_NS_24const_host_device_scalarIT5_EEPKT3_S3_PKS5_S9_S3_SB_S6_S9_S3_SB_S9_S3_PS5_PS7_21rocsparse_index_base_SE_SE_SE_bbb
		.amdhsa_group_segment_fixed_size 18440
		.amdhsa_private_segment_fixed_size 0
		.amdhsa_kernarg_size 164
		.amdhsa_user_sgpr_count 2
		.amdhsa_user_sgpr_dispatch_ptr 0
		.amdhsa_user_sgpr_queue_ptr 0
		.amdhsa_user_sgpr_kernarg_segment_ptr 1
		.amdhsa_user_sgpr_dispatch_id 0
		.amdhsa_user_sgpr_kernarg_preload_length 0
		.amdhsa_user_sgpr_kernarg_preload_offset 0
		.amdhsa_user_sgpr_private_segment_size 0
		.amdhsa_uses_dynamic_stack 0
		.amdhsa_enable_private_segment 0
		.amdhsa_system_sgpr_workgroup_id_x 1
		.amdhsa_system_sgpr_workgroup_id_y 0
		.amdhsa_system_sgpr_workgroup_id_z 0
		.amdhsa_system_sgpr_workgroup_info 0
		.amdhsa_system_vgpr_workitem_id 0
		.amdhsa_next_free_vgpr 32
		.amdhsa_next_free_sgpr 72
		.amdhsa_accum_offset 32
		.amdhsa_reserve_vcc 1
		.amdhsa_float_round_mode_32 0
		.amdhsa_float_round_mode_16_64 0
		.amdhsa_float_denorm_mode_32 3
		.amdhsa_float_denorm_mode_16_64 3
		.amdhsa_dx10_clamp 1
		.amdhsa_ieee_mode 1
		.amdhsa_fp16_overflow 0
		.amdhsa_tg_split 0
		.amdhsa_exception_fp_ieee_invalid_op 0
		.amdhsa_exception_fp_denorm_src 0
		.amdhsa_exception_fp_ieee_div_zero 0
		.amdhsa_exception_fp_ieee_overflow 0
		.amdhsa_exception_fp_ieee_underflow 0
		.amdhsa_exception_fp_ieee_inexact 0
		.amdhsa_exception_int_div_zero 0
	.end_amdhsa_kernel
	.section	.text._ZN9rocsparseL51csrgemm_numeric_fill_block_per_row_multipass_kernelILj512ELj16ELj2048ELj64EiidEEvT4_PKS1_S3_NS_24const_host_device_scalarIT5_EEPKT3_S3_PKS5_S9_S3_SB_S6_S9_S3_SB_S9_S3_PS5_PS7_21rocsparse_index_base_SE_SE_SE_bbb,"axG",@progbits,_ZN9rocsparseL51csrgemm_numeric_fill_block_per_row_multipass_kernelILj512ELj16ELj2048ELj64EiidEEvT4_PKS1_S3_NS_24const_host_device_scalarIT5_EEPKT3_S3_PKS5_S9_S3_SB_S6_S9_S3_SB_S9_S3_PS5_PS7_21rocsparse_index_base_SE_SE_SE_bbb,comdat
.Lfunc_end39:
	.size	_ZN9rocsparseL51csrgemm_numeric_fill_block_per_row_multipass_kernelILj512ELj16ELj2048ELj64EiidEEvT4_PKS1_S3_NS_24const_host_device_scalarIT5_EEPKT3_S3_PKS5_S9_S3_SB_S6_S9_S3_SB_S9_S3_PS5_PS7_21rocsparse_index_base_SE_SE_SE_bbb, .Lfunc_end39-_ZN9rocsparseL51csrgemm_numeric_fill_block_per_row_multipass_kernelILj512ELj16ELj2048ELj64EiidEEvT4_PKS1_S3_NS_24const_host_device_scalarIT5_EEPKT3_S3_PKS5_S9_S3_SB_S6_S9_S3_SB_S9_S3_PS5_PS7_21rocsparse_index_base_SE_SE_SE_bbb
                                        ; -- End function
	.set _ZN9rocsparseL51csrgemm_numeric_fill_block_per_row_multipass_kernelILj512ELj16ELj2048ELj64EiidEEvT4_PKS1_S3_NS_24const_host_device_scalarIT5_EEPKT3_S3_PKS5_S9_S3_SB_S6_S9_S3_SB_S9_S3_PS5_PS7_21rocsparse_index_base_SE_SE_SE_bbb.num_vgpr, 32
	.set _ZN9rocsparseL51csrgemm_numeric_fill_block_per_row_multipass_kernelILj512ELj16ELj2048ELj64EiidEEvT4_PKS1_S3_NS_24const_host_device_scalarIT5_EEPKT3_S3_PKS5_S9_S3_SB_S6_S9_S3_SB_S9_S3_PS5_PS7_21rocsparse_index_base_SE_SE_SE_bbb.num_agpr, 0
	.set _ZN9rocsparseL51csrgemm_numeric_fill_block_per_row_multipass_kernelILj512ELj16ELj2048ELj64EiidEEvT4_PKS1_S3_NS_24const_host_device_scalarIT5_EEPKT3_S3_PKS5_S9_S3_SB_S6_S9_S3_SB_S9_S3_PS5_PS7_21rocsparse_index_base_SE_SE_SE_bbb.numbered_sgpr, 72
	.set _ZN9rocsparseL51csrgemm_numeric_fill_block_per_row_multipass_kernelILj512ELj16ELj2048ELj64EiidEEvT4_PKS1_S3_NS_24const_host_device_scalarIT5_EEPKT3_S3_PKS5_S9_S3_SB_S6_S9_S3_SB_S9_S3_PS5_PS7_21rocsparse_index_base_SE_SE_SE_bbb.num_named_barrier, 0
	.set _ZN9rocsparseL51csrgemm_numeric_fill_block_per_row_multipass_kernelILj512ELj16ELj2048ELj64EiidEEvT4_PKS1_S3_NS_24const_host_device_scalarIT5_EEPKT3_S3_PKS5_S9_S3_SB_S6_S9_S3_SB_S9_S3_PS5_PS7_21rocsparse_index_base_SE_SE_SE_bbb.private_seg_size, 0
	.set _ZN9rocsparseL51csrgemm_numeric_fill_block_per_row_multipass_kernelILj512ELj16ELj2048ELj64EiidEEvT4_PKS1_S3_NS_24const_host_device_scalarIT5_EEPKT3_S3_PKS5_S9_S3_SB_S6_S9_S3_SB_S9_S3_PS5_PS7_21rocsparse_index_base_SE_SE_SE_bbb.uses_vcc, 1
	.set _ZN9rocsparseL51csrgemm_numeric_fill_block_per_row_multipass_kernelILj512ELj16ELj2048ELj64EiidEEvT4_PKS1_S3_NS_24const_host_device_scalarIT5_EEPKT3_S3_PKS5_S9_S3_SB_S6_S9_S3_SB_S9_S3_PS5_PS7_21rocsparse_index_base_SE_SE_SE_bbb.uses_flat_scratch, 0
	.set _ZN9rocsparseL51csrgemm_numeric_fill_block_per_row_multipass_kernelILj512ELj16ELj2048ELj64EiidEEvT4_PKS1_S3_NS_24const_host_device_scalarIT5_EEPKT3_S3_PKS5_S9_S3_SB_S6_S9_S3_SB_S9_S3_PS5_PS7_21rocsparse_index_base_SE_SE_SE_bbb.has_dyn_sized_stack, 0
	.set _ZN9rocsparseL51csrgemm_numeric_fill_block_per_row_multipass_kernelILj512ELj16ELj2048ELj64EiidEEvT4_PKS1_S3_NS_24const_host_device_scalarIT5_EEPKT3_S3_PKS5_S9_S3_SB_S6_S9_S3_SB_S9_S3_PS5_PS7_21rocsparse_index_base_SE_SE_SE_bbb.has_recursion, 0
	.set _ZN9rocsparseL51csrgemm_numeric_fill_block_per_row_multipass_kernelILj512ELj16ELj2048ELj64EiidEEvT4_PKS1_S3_NS_24const_host_device_scalarIT5_EEPKT3_S3_PKS5_S9_S3_SB_S6_S9_S3_SB_S9_S3_PS5_PS7_21rocsparse_index_base_SE_SE_SE_bbb.has_indirect_call, 0
	.section	.AMDGPU.csdata,"",@progbits
; Kernel info:
; codeLenInByte = 2104
; TotalNumSgprs: 78
; NumVgprs: 32
; NumAgprs: 0
; TotalNumVgprs: 32
; ScratchSize: 0
; MemoryBound: 0
; FloatMode: 240
; IeeeMode: 1
; LDSByteSize: 18440 bytes/workgroup (compile time only)
; SGPRBlocks: 9
; VGPRBlocks: 3
; NumSGPRsForWavesPerEU: 78
; NumVGPRsForWavesPerEU: 32
; AccumOffset: 32
; Occupancy: 8
; WaveLimiterHint : 1
; COMPUTE_PGM_RSRC2:SCRATCH_EN: 0
; COMPUTE_PGM_RSRC2:USER_SGPR: 2
; COMPUTE_PGM_RSRC2:TRAP_HANDLER: 0
; COMPUTE_PGM_RSRC2:TGID_X_EN: 1
; COMPUTE_PGM_RSRC2:TGID_Y_EN: 0
; COMPUTE_PGM_RSRC2:TGID_Z_EN: 0
; COMPUTE_PGM_RSRC2:TIDIG_COMP_CNT: 0
; COMPUTE_PGM_RSRC3_GFX90A:ACCUM_OFFSET: 7
; COMPUTE_PGM_RSRC3_GFX90A:TG_SPLIT: 0
	.section	.text._ZN9rocsparseL38csrgemm_numeric_fill_wf_per_row_kernelILj256ELj8ELj16ELj137Eii21rocsparse_complex_numIfEEEvT4_S3_PKS3_S5_NS_24const_host_device_scalarIT5_EEPKT3_S5_PKS7_SB_S5_SD_S8_SB_S5_SD_SB_S5_PS7_21rocsparse_index_base_SF_SF_SF_bbb,"axG",@progbits,_ZN9rocsparseL38csrgemm_numeric_fill_wf_per_row_kernelILj256ELj8ELj16ELj137Eii21rocsparse_complex_numIfEEEvT4_S3_PKS3_S5_NS_24const_host_device_scalarIT5_EEPKT3_S5_PKS7_SB_S5_SD_S8_SB_S5_SD_SB_S5_PS7_21rocsparse_index_base_SF_SF_SF_bbb,comdat
	.globl	_ZN9rocsparseL38csrgemm_numeric_fill_wf_per_row_kernelILj256ELj8ELj16ELj137Eii21rocsparse_complex_numIfEEEvT4_S3_PKS3_S5_NS_24const_host_device_scalarIT5_EEPKT3_S5_PKS7_SB_S5_SD_S8_SB_S5_SD_SB_S5_PS7_21rocsparse_index_base_SF_SF_SF_bbb ; -- Begin function _ZN9rocsparseL38csrgemm_numeric_fill_wf_per_row_kernelILj256ELj8ELj16ELj137Eii21rocsparse_complex_numIfEEEvT4_S3_PKS3_S5_NS_24const_host_device_scalarIT5_EEPKT3_S5_PKS7_SB_S5_SD_S8_SB_S5_SD_SB_S5_PS7_21rocsparse_index_base_SF_SF_SF_bbb
	.p2align	8
	.type	_ZN9rocsparseL38csrgemm_numeric_fill_wf_per_row_kernelILj256ELj8ELj16ELj137Eii21rocsparse_complex_numIfEEEvT4_S3_PKS3_S5_NS_24const_host_device_scalarIT5_EEPKT3_S5_PKS7_SB_S5_SD_S8_SB_S5_SD_SB_S5_PS7_21rocsparse_index_base_SF_SF_SF_bbb,@function
_ZN9rocsparseL38csrgemm_numeric_fill_wf_per_row_kernelILj256ELj8ELj16ELj137Eii21rocsparse_complex_numIfEEEvT4_S3_PKS3_S5_NS_24const_host_device_scalarIT5_EEPKT3_S5_PKS7_SB_S5_SD_S8_SB_S5_SD_SB_S5_PS7_21rocsparse_index_base_SF_SF_SF_bbb: ; @_ZN9rocsparseL38csrgemm_numeric_fill_wf_per_row_kernelILj256ELj8ELj16ELj137Eii21rocsparse_complex_numIfEEEvT4_S3_PKS3_S5_NS_24const_host_device_scalarIT5_EEPKT3_S5_PKS7_SB_S5_SD_S8_SB_S5_SD_SB_S5_PS7_21rocsparse_index_base_SF_SF_SF_bbb
; %bb.0:
	s_load_dwordx2 s[34:35], s[0:1], 0x70
	s_load_dwordx4 s[24:27], s[0:1], 0x60
	s_load_dwordx8 s[8:15], s[0:1], 0x40
	s_load_dword s3, s[0:1], 0x98
	s_load_dwordx4 s[36:39], s[0:1], 0x8
	s_load_dwordx8 s[16:23], s[0:1], 0x20
	s_load_dwordx2 s[6:7], s[0:1], 0x80
	s_load_dwordx4 s[28:31], s[0:1], 0x88
	s_waitcnt lgkmcnt(0)
	s_bitcmp1_b32 s3, 0
	s_cselect_b64 s[44:45], -1, 0
	s_bitcmp1_b32 s3, 16
	s_cselect_b64 s[4:5], -1, 0
	s_xor_b64 s[4:5], s[4:5], -1
	v_cndmask_b32_e64 v1, 0, 1, s[4:5]
	s_mov_b32 s41, 0
	s_bitcmp0_b32 s3, 0
	v_cmp_ne_u32_e64 s[4:5], 1, v1
	s_mov_b32 s50, 0
	s_cbranch_scc1 .LBB40_5
; %bb.1:
	s_load_dwordx2 s[40:41], s[0:1], 0x18
	s_and_b64 vcc, exec, s[4:5]
	s_waitcnt lgkmcnt(0)
	s_mov_b32 s50, s40
	s_cbranch_vccnz .LBB40_3
; %bb.2:
	s_load_dword s50, s[40:41], 0x0
.LBB40_3:
	s_and_b64 vcc, exec, s[4:5]
	s_cbranch_vccnz .LBB40_5
; %bb.4:
	s_load_dword s41, s[40:41], 0x4
.LBB40_5:
	s_bitcmp1_b32 s3, 8
	s_cselect_b64 s[42:43], -1, 0
	s_bfe_u32 s3, s3, 0x10008
	s_mov_b32 s33, 0
	s_cmp_eq_u32 s3, 0
	s_mov_b32 s40, 0
	s_cbranch_scc1 .LBB40_11
; %bb.6:
	s_and_b64 vcc, exec, s[4:5]
	s_mov_b32 s33, s12
	s_cbranch_vccnz .LBB40_8
; %bb.7:
	s_load_dword s33, s[12:13], 0x0
.LBB40_8:
	s_and_b64 vcc, exec, s[4:5]
	s_cbranch_vccnz .LBB40_10
; %bb.9:
	s_load_dword s13, s[12:13], 0x4
.LBB40_10:
	s_waitcnt lgkmcnt(0)
	s_mov_b32 s40, s13
.LBB40_11:
	s_load_dwordx2 s[0:1], s[0:1], 0x0
	v_and_b32_e32 v13, 7, v0
	v_lshrrev_b32_e32 v1, 3, v0
	v_lshlrev_b32_e32 v0, 3, v13
	v_lshl_or_b32 v9, v1, 7, v0
	v_lshlrev_b32_e32 v0, 6, v1
	v_lshlrev_b32_e32 v2, 2, v13
	s_movk_i32 s3, 0x1000
	v_or_b32_e32 v8, -8, v13
	v_or3_b32 v10, v0, v2, s3
	v_mov_b32_e32 v4, 0
	s_mov_b64 s[4:5], 0
	s_waitcnt lgkmcnt(0)
	v_mov_b32_e32 v6, s1
	v_mov_b32_e32 v5, v4
	;; [unrolled: 1-line block ×5, first 2 shown]
.LBB40_12:                              ; =>This Inner Loop Header: Depth=1
	v_add_co_u32_e32 v3, vcc, 8, v3
	s_xor_b64 s[12:13], vcc, -1
	s_and_b64 s[12:13], exec, s[12:13]
	ds_write_b32 v0, v6
	ds_write_b64 v2, v[4:5]
	v_add_u32_e32 v2, 64, v2
	s_or_b64 s[4:5], s[12:13], s[4:5]
	v_add_u32_e32 v0, 32, v0
	s_andn2_b64 exec, exec, s[4:5]
	s_cbranch_execnz .LBB40_12
; %bb.13:
	s_or_b64 exec, exec, s[4:5]
	s_lshl_b32 s2, s2, 5
	s_and_b32 s2, s2, 0x1fffffe0
	v_or_b32_e32 v0, s2, v1
	v_cmp_gt_i32_e32 vcc, s0, v0
	s_waitcnt lgkmcnt(0)
	s_and_saveexec_b64 s[2:3], vcc
	s_cbranch_execz .LBB40_53
; %bb.14:
	s_cmp_eq_u64 s[38:39], 0
	s_cbranch_scc1 .LBB40_16
; %bb.15:
	s_load_dword s0, s[36:37], 0x0
	s_waitcnt lgkmcnt(0)
	v_add_u32_e32 v2, s0, v0
	v_ashrrev_i32_e32 v3, 31, v2
	v_lshl_add_u64 v[2:3], v[2:3], 2, s[38:39]
	global_load_dword v0, v[2:3], off
.LBB40_16:
	v_mov_b32_e32 v2, 0x1000
	v_lshl_or_b32 v11, v1, 6, v2
	v_lshlrev_b32_e32 v12, 7, v1
	s_andn2_b64 vcc, exec, s[44:45]
	s_waitcnt vmcnt(0)
	v_ashrrev_i32_e32 v1, 31, v0
	s_cbranch_vccnz .LBB40_34
; %bb.17:
	v_lshl_add_u64 v[2:3], v[0:1], 2, s[16:17]
	global_load_dwordx2 v[2:3], v[2:3], off
	v_subrev_u32_e32 v4, s28, v13
	s_waitcnt vmcnt(0)
	v_subrev_u32_e32 v14, s28, v3
	v_add_u32_e32 v2, v2, v4
	v_cmp_lt_i32_e32 vcc, v2, v14
	s_and_saveexec_b64 s[2:3], vcc
	s_cbranch_execz .LBB40_33
; %bb.18:
	s_mov_b64 s[4:5], 0
	s_branch .LBB40_20
.LBB40_19:                              ;   in Loop: Header=BB40_20 Depth=1
	s_or_b64 exec, exec, s[12:13]
	v_add_u32_e32 v2, 8, v2
	v_cmp_ge_i32_e32 vcc, v2, v14
	s_or_b64 s[4:5], vcc, s[4:5]
	s_andn2_b64 exec, exec, s[4:5]
	s_cbranch_execz .LBB40_33
.LBB40_20:                              ; =>This Loop Header: Depth=1
                                        ;     Child Loop BB40_24 Depth 2
                                        ;       Child Loop BB40_27 Depth 3
	v_ashrrev_i32_e32 v3, 31, v2
	v_lshl_add_u64 v[4:5], v[2:3], 2, s[18:19]
	global_load_dword v4, v[4:5], off
	s_waitcnt vmcnt(0)
	v_subrev_u32_e32 v4, s28, v4
	v_ashrrev_i32_e32 v5, 31, v4
	v_lshl_add_u64 v[4:5], v[4:5], 2, s[22:23]
	global_load_dwordx2 v[4:5], v[4:5], off
	s_waitcnt vmcnt(0)
	v_cmp_lt_i32_e32 vcc, v4, v5
	s_and_saveexec_b64 s[12:13], vcc
	s_cbranch_execz .LBB40_19
; %bb.21:                               ;   in Loop: Header=BB40_20 Depth=1
	v_lshl_add_u64 v[6:7], v[2:3], 3, s[20:21]
	global_load_dwordx2 v[6:7], v[6:7], off
	v_subrev_u32_e32 v3, s29, v5
	v_subrev_u32_e32 v4, s29, v4
	s_mov_b64 s[16:17], 0
	s_waitcnt vmcnt(0)
	v_mul_f32_e64 v15, v7, -s41
	v_mul_f32_e32 v16, s50, v7
	v_fmac_f32_e32 v15, s50, v6
	v_fmac_f32_e32 v16, s41, v6
	s_branch .LBB40_24
.LBB40_22:                              ;   in Loop: Header=BB40_24 Depth=2
	s_or_b64 exec, exec, s[38:39]
.LBB40_23:                              ;   in Loop: Header=BB40_24 Depth=2
	s_or_b64 exec, exec, s[36:37]
	s_waitcnt vmcnt(0)
	v_mul_f32_e64 v17, v7, -v16
	v_fmac_f32_e32 v17, v15, v6
	v_mul_f32_e32 v7, v15, v7
	v_lshl_add_u32 v5, v5, 3, v12
	v_fmac_f32_e32 v7, v16, v6
	ds_add_f32 v5, v17
	ds_add_f32 v5, v7 offset:4
	v_add_u32_e32 v4, 1, v4
	v_cmp_ge_i32_e32 vcc, v4, v3
	s_or_b64 s[16:17], vcc, s[16:17]
	s_andn2_b64 exec, exec, s[16:17]
	s_cbranch_execz .LBB40_19
.LBB40_24:                              ;   Parent Loop BB40_20 Depth=1
                                        ; =>  This Loop Header: Depth=2
                                        ;       Child Loop BB40_27 Depth 3
	v_ashrrev_i32_e32 v5, 31, v4
	v_lshl_add_u64 v[6:7], v[4:5], 2, s[8:9]
	global_load_dword v17, v[6:7], off
	v_lshl_add_u64 v[6:7], v[4:5], 3, s[10:11]
	global_load_dwordx2 v[6:7], v[6:7], off
	s_waitcnt vmcnt(1)
	v_subrev_u32_e32 v17, s29, v17
	v_lshl_add_u32 v5, v17, 3, v17
	v_and_b32_e32 v5, 15, v5
	v_lshl_add_u32 v18, v5, 2, v11
	ds_read_b32 v19, v18
	s_waitcnt lgkmcnt(0)
	v_cmp_ne_u32_e32 vcc, v19, v17
	s_and_saveexec_b64 s[36:37], vcc
	s_cbranch_execz .LBB40_23
; %bb.25:                               ;   in Loop: Header=BB40_24 Depth=2
	s_mov_b64 s[38:39], 0
	s_branch .LBB40_27
.LBB40_26:                              ;   in Loop: Header=BB40_27 Depth=3
	s_or_b64 exec, exec, s[48:49]
	s_and_b64 s[44:45], exec, s[46:47]
	s_or_b64 s[38:39], s[44:45], s[38:39]
	s_andn2_b64 exec, exec, s[38:39]
	s_cbranch_execz .LBB40_22
.LBB40_27:                              ;   Parent Loop BB40_20 Depth=1
                                        ;     Parent Loop BB40_24 Depth=2
                                        ; =>    This Inner Loop Header: Depth=3
	v_cmp_ne_u32_e32 vcc, s1, v19
	s_mov_b64 s[44:45], 0
	s_and_saveexec_b64 s[46:47], vcc
	s_xor_b64 s[46:47], exec, s[46:47]
	s_cbranch_execz .LBB40_29
; %bb.28:                               ;   in Loop: Header=BB40_27 Depth=3
	v_add_u32_e32 v5, 1, v5
	s_mov_b64 s[44:45], exec
	v_and_b32_e32 v5, 15, v5
                                        ; implicit-def: $vgpr18
	s_andn2_saveexec_b64 s[46:47], s[46:47]
	s_cbranch_execz .LBB40_31
	s_branch .LBB40_30
.LBB40_29:                              ;   in Loop: Header=BB40_27 Depth=3
	s_andn2_saveexec_b64 s[46:47], s[46:47]
	s_cbranch_execz .LBB40_31
.LBB40_30:                              ;   in Loop: Header=BB40_27 Depth=3
	v_mov_b32_e32 v19, s1
	ds_cmpst_rtn_b32 v18, v18, v19, v17
	s_andn2_b64 s[44:45], s[44:45], exec
	s_waitcnt lgkmcnt(0)
	v_cmp_ne_u32_e32 vcc, s1, v18
	s_and_b64 s[48:49], vcc, exec
	s_or_b64 s[44:45], s[44:45], s[48:49]
.LBB40_31:                              ;   in Loop: Header=BB40_27 Depth=3
	s_or_b64 exec, exec, s[46:47]
	s_mov_b64 s[46:47], -1
                                        ; implicit-def: $vgpr18
                                        ; implicit-def: $vgpr19
	s_and_saveexec_b64 s[48:49], s[44:45]
	s_cbranch_execz .LBB40_26
; %bb.32:                               ;   in Loop: Header=BB40_27 Depth=3
	v_lshl_add_u32 v18, v5, 2, v11
	ds_read_b32 v19, v18
	s_waitcnt lgkmcnt(0)
	v_cmp_eq_u32_e32 vcc, v19, v17
	s_orn2_b64 s[46:47], vcc, exec
	s_branch .LBB40_26
.LBB40_33:
	s_or_b64 exec, exec, s[2:3]
.LBB40_34:
	s_andn2_b64 vcc, exec, s[42:43]
	s_cbranch_vccnz .LBB40_49
; %bb.35:
	v_lshl_add_u64 v[2:3], v[0:1], 2, s[14:15]
	global_load_dwordx2 v[2:3], v[2:3], off
	v_subrev_u32_e32 v4, s31, v13
	s_waitcnt vmcnt(0)
	v_subrev_u32_e32 v6, s31, v3
	v_add_u32_e32 v2, v2, v4
	v_cmp_lt_i32_e32 vcc, v2, v6
	s_and_saveexec_b64 s[2:3], vcc
	s_cbranch_execz .LBB40_48
; %bb.36:
	s_mov_b64 s[4:5], 0
	s_branch .LBB40_39
.LBB40_37:                              ;   in Loop: Header=BB40_39 Depth=1
	s_or_b64 exec, exec, s[10:11]
.LBB40_38:                              ;   in Loop: Header=BB40_39 Depth=1
	s_or_b64 exec, exec, s[8:9]
	s_waitcnt vmcnt(0)
	v_mul_f32_e64 v7, v5, -s40
	v_fmac_f32_e32 v7, s33, v4
	v_mul_f32_e32 v5, s33, v5
	v_lshl_add_u32 v3, v3, 3, v12
	v_fmac_f32_e32 v5, s40, v4
	ds_add_f32 v3, v7
	ds_add_f32 v3, v5 offset:4
	v_add_u32_e32 v2, 8, v2
	v_cmp_ge_i32_e32 vcc, v2, v6
	s_or_b64 s[4:5], vcc, s[4:5]
	s_andn2_b64 exec, exec, s[4:5]
	s_cbranch_execz .LBB40_48
.LBB40_39:                              ; =>This Loop Header: Depth=1
                                        ;     Child Loop BB40_42 Depth 2
	v_ashrrev_i32_e32 v3, 31, v2
	v_lshl_add_u64 v[4:5], v[2:3], 2, s[24:25]
	global_load_dword v7, v[4:5], off
	v_lshl_add_u64 v[4:5], v[2:3], 3, s[26:27]
	global_load_dwordx2 v[4:5], v[4:5], off
	s_waitcnt vmcnt(1)
	v_subrev_u32_e32 v7, s31, v7
	v_lshl_add_u32 v3, v7, 3, v7
	v_and_b32_e32 v3, 15, v3
	v_lshl_add_u32 v13, v3, 2, v11
	ds_read_b32 v14, v13
	s_waitcnt lgkmcnt(0)
	v_cmp_ne_u32_e32 vcc, v14, v7
	s_and_saveexec_b64 s[8:9], vcc
	s_cbranch_execz .LBB40_38
; %bb.40:                               ;   in Loop: Header=BB40_39 Depth=1
	s_mov_b64 s[10:11], 0
	s_branch .LBB40_42
.LBB40_41:                              ;   in Loop: Header=BB40_42 Depth=2
	s_or_b64 exec, exec, s[16:17]
	s_and_b64 s[12:13], exec, s[14:15]
	s_or_b64 s[10:11], s[12:13], s[10:11]
	s_andn2_b64 exec, exec, s[10:11]
	s_cbranch_execz .LBB40_37
.LBB40_42:                              ;   Parent Loop BB40_39 Depth=1
                                        ; =>  This Inner Loop Header: Depth=2
	v_cmp_ne_u32_e32 vcc, s1, v14
	s_mov_b64 s[12:13], 0
	s_and_saveexec_b64 s[14:15], vcc
	s_xor_b64 s[14:15], exec, s[14:15]
	s_cbranch_execz .LBB40_44
; %bb.43:                               ;   in Loop: Header=BB40_42 Depth=2
	v_add_u32_e32 v3, 1, v3
	s_mov_b64 s[12:13], exec
	v_and_b32_e32 v3, 15, v3
                                        ; implicit-def: $vgpr13
	s_andn2_saveexec_b64 s[14:15], s[14:15]
	s_cbranch_execz .LBB40_46
	s_branch .LBB40_45
.LBB40_44:                              ;   in Loop: Header=BB40_42 Depth=2
	s_andn2_saveexec_b64 s[14:15], s[14:15]
	s_cbranch_execz .LBB40_46
.LBB40_45:                              ;   in Loop: Header=BB40_42 Depth=2
	v_mov_b32_e32 v14, s1
	ds_cmpst_rtn_b32 v13, v13, v14, v7
	s_andn2_b64 s[12:13], s[12:13], exec
	s_waitcnt lgkmcnt(0)
	v_cmp_ne_u32_e32 vcc, s1, v13
	s_and_b64 s[16:17], vcc, exec
	s_or_b64 s[12:13], s[12:13], s[16:17]
.LBB40_46:                              ;   in Loop: Header=BB40_42 Depth=2
	s_or_b64 exec, exec, s[14:15]
	s_mov_b64 s[14:15], -1
                                        ; implicit-def: $vgpr13
                                        ; implicit-def: $vgpr14
	s_and_saveexec_b64 s[16:17], s[12:13]
	s_cbranch_execz .LBB40_41
; %bb.47:                               ;   in Loop: Header=BB40_42 Depth=2
	v_lshl_add_u32 v13, v3, 2, v11
	ds_read_b32 v14, v13
	s_waitcnt lgkmcnt(0)
	v_cmp_eq_u32_e32 vcc, v14, v7
	s_orn2_b64 s[14:15], vcc, exec
	s_branch .LBB40_41
.LBB40_48:
	s_or_b64 exec, exec, s[2:3]
.LBB40_49:
	v_lshl_add_u64 v[0:1], v[0:1], 2, s[34:35]
	s_waitcnt lgkmcnt(0)
	global_load_dword v0, v[0:1], off
	s_mov_b64 s[2:3], 0
	s_waitcnt vmcnt(0)
	v_subrev_u32_e32 v0, s30, v0
	s_branch .LBB40_51
.LBB40_50:                              ;   in Loop: Header=BB40_51 Depth=1
	s_or_b64 exec, exec, s[4:5]
	v_add_co_u32_e32 v8, vcc, 8, v8
	s_xor_b64 s[4:5], vcc, -1
	s_and_b64 s[4:5], exec, s[4:5]
	v_add_u32_e32 v9, 64, v9
	s_or_b64 s[2:3], s[4:5], s[2:3]
	v_add_u32_e32 v10, 32, v10
	s_andn2_b64 exec, exec, s[2:3]
	s_cbranch_execz .LBB40_53
.LBB40_51:                              ; =>This Inner Loop Header: Depth=1
	ds_read_b32 v1, v10
	s_waitcnt lgkmcnt(0)
	v_cmp_gt_i32_e32 vcc, s1, v1
	s_and_saveexec_b64 s[4:5], vcc
	s_cbranch_execz .LBB40_50
; %bb.52:                               ;   in Loop: Header=BB40_51 Depth=1
	ds_read_b128 v[2:5], v11
	ds_read_b128 v[12:15], v11 offset:16
	ds_read_b128 v[16:19], v11 offset:32
	;; [unrolled: 1-line block ×3, first 2 shown]
	s_waitcnt lgkmcnt(3)
	v_cmp_gt_i32_e32 vcc, v1, v2
	s_nop 1
	v_cndmask_b32_e64 v2, 0, 1, vcc
	v_cmp_gt_i32_e32 vcc, v1, v3
	s_nop 1
	v_addc_co_u32_e32 v2, vcc, v0, v2, vcc
	v_cmp_gt_i32_e32 vcc, v1, v4
	s_nop 1
	v_cndmask_b32_e64 v3, 0, 1, vcc
	v_cmp_gt_i32_e32 vcc, v1, v5
	s_nop 1
	v_addc_co_u32_e32 v2, vcc, v2, v3, vcc
	s_waitcnt lgkmcnt(2)
	v_cmp_gt_i32_e32 vcc, v1, v12
	s_nop 1
	v_cndmask_b32_e64 v3, 0, 1, vcc
	v_cmp_gt_i32_e32 vcc, v1, v13
	s_nop 1
	v_addc_co_u32_e32 v2, vcc, v2, v3, vcc
	v_cmp_gt_i32_e32 vcc, v1, v14
	s_nop 1
	v_cndmask_b32_e64 v3, 0, 1, vcc
	v_cmp_gt_i32_e32 vcc, v1, v15
	s_nop 1
	v_addc_co_u32_e32 v2, vcc, v2, v3, vcc
	;; [unrolled: 13-line block ×3, first 2 shown]
	s_waitcnt lgkmcnt(0)
	v_cmp_gt_i32_e32 vcc, v1, v20
	s_nop 1
	v_cndmask_b32_e64 v3, 0, 1, vcc
	v_cmp_gt_i32_e32 vcc, v1, v21
	s_nop 1
	v_addc_co_u32_e32 v4, vcc, v2, v3, vcc
	v_cmp_gt_i32_e32 vcc, v1, v22
	ds_read_b64 v[2:3], v9
	s_nop 0
	v_cndmask_b32_e64 v5, 0, 1, vcc
	v_cmp_gt_i32_e32 vcc, v1, v23
	s_nop 1
	v_addc_co_u32_e32 v4, vcc, v4, v5, vcc
	v_ashrrev_i32_e32 v5, 31, v4
	v_lshl_add_u64 v[4:5], v[4:5], 3, s[6:7]
	s_waitcnt lgkmcnt(0)
	global_store_dwordx2 v[4:5], v[2:3], off
	s_branch .LBB40_50
.LBB40_53:
	s_endpgm
	.section	.rodata,"a",@progbits
	.p2align	6, 0x0
	.amdhsa_kernel _ZN9rocsparseL38csrgemm_numeric_fill_wf_per_row_kernelILj256ELj8ELj16ELj137Eii21rocsparse_complex_numIfEEEvT4_S3_PKS3_S5_NS_24const_host_device_scalarIT5_EEPKT3_S5_PKS7_SB_S5_SD_S8_SB_S5_SD_SB_S5_PS7_21rocsparse_index_base_SF_SF_SF_bbb
		.amdhsa_group_segment_fixed_size 6144
		.amdhsa_private_segment_fixed_size 0
		.amdhsa_kernarg_size 156
		.amdhsa_user_sgpr_count 2
		.amdhsa_user_sgpr_dispatch_ptr 0
		.amdhsa_user_sgpr_queue_ptr 0
		.amdhsa_user_sgpr_kernarg_segment_ptr 1
		.amdhsa_user_sgpr_dispatch_id 0
		.amdhsa_user_sgpr_kernarg_preload_length 0
		.amdhsa_user_sgpr_kernarg_preload_offset 0
		.amdhsa_user_sgpr_private_segment_size 0
		.amdhsa_uses_dynamic_stack 0
		.amdhsa_enable_private_segment 0
		.amdhsa_system_sgpr_workgroup_id_x 1
		.amdhsa_system_sgpr_workgroup_id_y 0
		.amdhsa_system_sgpr_workgroup_id_z 0
		.amdhsa_system_sgpr_workgroup_info 0
		.amdhsa_system_vgpr_workitem_id 0
		.amdhsa_next_free_vgpr 24
		.amdhsa_next_free_sgpr 51
		.amdhsa_accum_offset 24
		.amdhsa_reserve_vcc 1
		.amdhsa_float_round_mode_32 0
		.amdhsa_float_round_mode_16_64 0
		.amdhsa_float_denorm_mode_32 3
		.amdhsa_float_denorm_mode_16_64 3
		.amdhsa_dx10_clamp 1
		.amdhsa_ieee_mode 1
		.amdhsa_fp16_overflow 0
		.amdhsa_tg_split 0
		.amdhsa_exception_fp_ieee_invalid_op 0
		.amdhsa_exception_fp_denorm_src 0
		.amdhsa_exception_fp_ieee_div_zero 0
		.amdhsa_exception_fp_ieee_overflow 0
		.amdhsa_exception_fp_ieee_underflow 0
		.amdhsa_exception_fp_ieee_inexact 0
		.amdhsa_exception_int_div_zero 0
	.end_amdhsa_kernel
	.section	.text._ZN9rocsparseL38csrgemm_numeric_fill_wf_per_row_kernelILj256ELj8ELj16ELj137Eii21rocsparse_complex_numIfEEEvT4_S3_PKS3_S5_NS_24const_host_device_scalarIT5_EEPKT3_S5_PKS7_SB_S5_SD_S8_SB_S5_SD_SB_S5_PS7_21rocsparse_index_base_SF_SF_SF_bbb,"axG",@progbits,_ZN9rocsparseL38csrgemm_numeric_fill_wf_per_row_kernelILj256ELj8ELj16ELj137Eii21rocsparse_complex_numIfEEEvT4_S3_PKS3_S5_NS_24const_host_device_scalarIT5_EEPKT3_S5_PKS7_SB_S5_SD_S8_SB_S5_SD_SB_S5_PS7_21rocsparse_index_base_SF_SF_SF_bbb,comdat
.Lfunc_end40:
	.size	_ZN9rocsparseL38csrgemm_numeric_fill_wf_per_row_kernelILj256ELj8ELj16ELj137Eii21rocsparse_complex_numIfEEEvT4_S3_PKS3_S5_NS_24const_host_device_scalarIT5_EEPKT3_S5_PKS7_SB_S5_SD_S8_SB_S5_SD_SB_S5_PS7_21rocsparse_index_base_SF_SF_SF_bbb, .Lfunc_end40-_ZN9rocsparseL38csrgemm_numeric_fill_wf_per_row_kernelILj256ELj8ELj16ELj137Eii21rocsparse_complex_numIfEEEvT4_S3_PKS3_S5_NS_24const_host_device_scalarIT5_EEPKT3_S5_PKS7_SB_S5_SD_S8_SB_S5_SD_SB_S5_PS7_21rocsparse_index_base_SF_SF_SF_bbb
                                        ; -- End function
	.set _ZN9rocsparseL38csrgemm_numeric_fill_wf_per_row_kernelILj256ELj8ELj16ELj137Eii21rocsparse_complex_numIfEEEvT4_S3_PKS3_S5_NS_24const_host_device_scalarIT5_EEPKT3_S5_PKS7_SB_S5_SD_S8_SB_S5_SD_SB_S5_PS7_21rocsparse_index_base_SF_SF_SF_bbb.num_vgpr, 24
	.set _ZN9rocsparseL38csrgemm_numeric_fill_wf_per_row_kernelILj256ELj8ELj16ELj137Eii21rocsparse_complex_numIfEEEvT4_S3_PKS3_S5_NS_24const_host_device_scalarIT5_EEPKT3_S5_PKS7_SB_S5_SD_S8_SB_S5_SD_SB_S5_PS7_21rocsparse_index_base_SF_SF_SF_bbb.num_agpr, 0
	.set _ZN9rocsparseL38csrgemm_numeric_fill_wf_per_row_kernelILj256ELj8ELj16ELj137Eii21rocsparse_complex_numIfEEEvT4_S3_PKS3_S5_NS_24const_host_device_scalarIT5_EEPKT3_S5_PKS7_SB_S5_SD_S8_SB_S5_SD_SB_S5_PS7_21rocsparse_index_base_SF_SF_SF_bbb.numbered_sgpr, 51
	.set _ZN9rocsparseL38csrgemm_numeric_fill_wf_per_row_kernelILj256ELj8ELj16ELj137Eii21rocsparse_complex_numIfEEEvT4_S3_PKS3_S5_NS_24const_host_device_scalarIT5_EEPKT3_S5_PKS7_SB_S5_SD_S8_SB_S5_SD_SB_S5_PS7_21rocsparse_index_base_SF_SF_SF_bbb.num_named_barrier, 0
	.set _ZN9rocsparseL38csrgemm_numeric_fill_wf_per_row_kernelILj256ELj8ELj16ELj137Eii21rocsparse_complex_numIfEEEvT4_S3_PKS3_S5_NS_24const_host_device_scalarIT5_EEPKT3_S5_PKS7_SB_S5_SD_S8_SB_S5_SD_SB_S5_PS7_21rocsparse_index_base_SF_SF_SF_bbb.private_seg_size, 0
	.set _ZN9rocsparseL38csrgemm_numeric_fill_wf_per_row_kernelILj256ELj8ELj16ELj137Eii21rocsparse_complex_numIfEEEvT4_S3_PKS3_S5_NS_24const_host_device_scalarIT5_EEPKT3_S5_PKS7_SB_S5_SD_S8_SB_S5_SD_SB_S5_PS7_21rocsparse_index_base_SF_SF_SF_bbb.uses_vcc, 1
	.set _ZN9rocsparseL38csrgemm_numeric_fill_wf_per_row_kernelILj256ELj8ELj16ELj137Eii21rocsparse_complex_numIfEEEvT4_S3_PKS3_S5_NS_24const_host_device_scalarIT5_EEPKT3_S5_PKS7_SB_S5_SD_S8_SB_S5_SD_SB_S5_PS7_21rocsparse_index_base_SF_SF_SF_bbb.uses_flat_scratch, 0
	.set _ZN9rocsparseL38csrgemm_numeric_fill_wf_per_row_kernelILj256ELj8ELj16ELj137Eii21rocsparse_complex_numIfEEEvT4_S3_PKS3_S5_NS_24const_host_device_scalarIT5_EEPKT3_S5_PKS7_SB_S5_SD_S8_SB_S5_SD_SB_S5_PS7_21rocsparse_index_base_SF_SF_SF_bbb.has_dyn_sized_stack, 0
	.set _ZN9rocsparseL38csrgemm_numeric_fill_wf_per_row_kernelILj256ELj8ELj16ELj137Eii21rocsparse_complex_numIfEEEvT4_S3_PKS3_S5_NS_24const_host_device_scalarIT5_EEPKT3_S5_PKS7_SB_S5_SD_S8_SB_S5_SD_SB_S5_PS7_21rocsparse_index_base_SF_SF_SF_bbb.has_recursion, 0
	.set _ZN9rocsparseL38csrgemm_numeric_fill_wf_per_row_kernelILj256ELj8ELj16ELj137Eii21rocsparse_complex_numIfEEEvT4_S3_PKS3_S5_NS_24const_host_device_scalarIT5_EEPKT3_S5_PKS7_SB_S5_SD_S8_SB_S5_SD_SB_S5_PS7_21rocsparse_index_base_SF_SF_SF_bbb.has_indirect_call, 0
	.section	.AMDGPU.csdata,"",@progbits
; Kernel info:
; codeLenInByte = 1812
; TotalNumSgprs: 57
; NumVgprs: 24
; NumAgprs: 0
; TotalNumVgprs: 24
; ScratchSize: 0
; MemoryBound: 0
; FloatMode: 240
; IeeeMode: 1
; LDSByteSize: 6144 bytes/workgroup (compile time only)
; SGPRBlocks: 7
; VGPRBlocks: 2
; NumSGPRsForWavesPerEU: 57
; NumVGPRsForWavesPerEU: 24
; AccumOffset: 24
; Occupancy: 8
; WaveLimiterHint : 1
; COMPUTE_PGM_RSRC2:SCRATCH_EN: 0
; COMPUTE_PGM_RSRC2:USER_SGPR: 2
; COMPUTE_PGM_RSRC2:TRAP_HANDLER: 0
; COMPUTE_PGM_RSRC2:TGID_X_EN: 1
; COMPUTE_PGM_RSRC2:TGID_Y_EN: 0
; COMPUTE_PGM_RSRC2:TGID_Z_EN: 0
; COMPUTE_PGM_RSRC2:TIDIG_COMP_CNT: 0
; COMPUTE_PGM_RSRC3_GFX90A:ACCUM_OFFSET: 5
; COMPUTE_PGM_RSRC3_GFX90A:TG_SPLIT: 0
	.section	.text._ZN9rocsparseL38csrgemm_numeric_fill_wf_per_row_kernelILj256ELj16ELj32ELj137Eii21rocsparse_complex_numIfEEEvT4_S3_PKS3_S5_NS_24const_host_device_scalarIT5_EEPKT3_S5_PKS7_SB_S5_SD_S8_SB_S5_SD_SB_S5_PS7_21rocsparse_index_base_SF_SF_SF_bbb,"axG",@progbits,_ZN9rocsparseL38csrgemm_numeric_fill_wf_per_row_kernelILj256ELj16ELj32ELj137Eii21rocsparse_complex_numIfEEEvT4_S3_PKS3_S5_NS_24const_host_device_scalarIT5_EEPKT3_S5_PKS7_SB_S5_SD_S8_SB_S5_SD_SB_S5_PS7_21rocsparse_index_base_SF_SF_SF_bbb,comdat
	.globl	_ZN9rocsparseL38csrgemm_numeric_fill_wf_per_row_kernelILj256ELj16ELj32ELj137Eii21rocsparse_complex_numIfEEEvT4_S3_PKS3_S5_NS_24const_host_device_scalarIT5_EEPKT3_S5_PKS7_SB_S5_SD_S8_SB_S5_SD_SB_S5_PS7_21rocsparse_index_base_SF_SF_SF_bbb ; -- Begin function _ZN9rocsparseL38csrgemm_numeric_fill_wf_per_row_kernelILj256ELj16ELj32ELj137Eii21rocsparse_complex_numIfEEEvT4_S3_PKS3_S5_NS_24const_host_device_scalarIT5_EEPKT3_S5_PKS7_SB_S5_SD_S8_SB_S5_SD_SB_S5_PS7_21rocsparse_index_base_SF_SF_SF_bbb
	.p2align	8
	.type	_ZN9rocsparseL38csrgemm_numeric_fill_wf_per_row_kernelILj256ELj16ELj32ELj137Eii21rocsparse_complex_numIfEEEvT4_S3_PKS3_S5_NS_24const_host_device_scalarIT5_EEPKT3_S5_PKS7_SB_S5_SD_S8_SB_S5_SD_SB_S5_PS7_21rocsparse_index_base_SF_SF_SF_bbb,@function
_ZN9rocsparseL38csrgemm_numeric_fill_wf_per_row_kernelILj256ELj16ELj32ELj137Eii21rocsparse_complex_numIfEEEvT4_S3_PKS3_S5_NS_24const_host_device_scalarIT5_EEPKT3_S5_PKS7_SB_S5_SD_S8_SB_S5_SD_SB_S5_PS7_21rocsparse_index_base_SF_SF_SF_bbb: ; @_ZN9rocsparseL38csrgemm_numeric_fill_wf_per_row_kernelILj256ELj16ELj32ELj137Eii21rocsparse_complex_numIfEEEvT4_S3_PKS3_S5_NS_24const_host_device_scalarIT5_EEPKT3_S5_PKS7_SB_S5_SD_S8_SB_S5_SD_SB_S5_PS7_21rocsparse_index_base_SF_SF_SF_bbb
; %bb.0:
	s_load_dwordx2 s[34:35], s[0:1], 0x70
	s_load_dwordx4 s[24:27], s[0:1], 0x60
	s_load_dwordx8 s[8:15], s[0:1], 0x40
	s_load_dword s3, s[0:1], 0x98
	s_load_dwordx4 s[36:39], s[0:1], 0x8
	s_load_dwordx8 s[16:23], s[0:1], 0x20
	s_load_dwordx2 s[6:7], s[0:1], 0x80
	s_load_dwordx4 s[28:31], s[0:1], 0x88
	s_waitcnt lgkmcnt(0)
	s_bitcmp1_b32 s3, 0
	s_cselect_b64 s[44:45], -1, 0
	s_bitcmp1_b32 s3, 16
	s_cselect_b64 s[4:5], -1, 0
	s_xor_b64 s[4:5], s[4:5], -1
	v_cndmask_b32_e64 v1, 0, 1, s[4:5]
	s_mov_b32 s41, 0
	s_bitcmp0_b32 s3, 0
	v_cmp_ne_u32_e64 s[4:5], 1, v1
	s_mov_b32 s50, 0
	s_cbranch_scc1 .LBB41_5
; %bb.1:
	s_load_dwordx2 s[40:41], s[0:1], 0x18
	s_and_b64 vcc, exec, s[4:5]
	s_waitcnt lgkmcnt(0)
	s_mov_b32 s50, s40
	s_cbranch_vccnz .LBB41_3
; %bb.2:
	s_load_dword s50, s[40:41], 0x0
.LBB41_3:
	s_and_b64 vcc, exec, s[4:5]
	s_cbranch_vccnz .LBB41_5
; %bb.4:
	s_load_dword s41, s[40:41], 0x4
.LBB41_5:
	s_bitcmp1_b32 s3, 8
	s_cselect_b64 s[42:43], -1, 0
	s_bfe_u32 s3, s3, 0x10008
	s_mov_b32 s33, 0
	s_cmp_eq_u32 s3, 0
	s_mov_b32 s40, 0
	s_cbranch_scc1 .LBB41_11
; %bb.6:
	s_and_b64 vcc, exec, s[4:5]
	s_mov_b32 s33, s12
	s_cbranch_vccnz .LBB41_8
; %bb.7:
	s_load_dword s33, s[12:13], 0x0
.LBB41_8:
	s_and_b64 vcc, exec, s[4:5]
	s_cbranch_vccnz .LBB41_10
; %bb.9:
	s_load_dword s13, s[12:13], 0x4
.LBB41_10:
	s_waitcnt lgkmcnt(0)
	s_mov_b32 s40, s13
.LBB41_11:
	s_load_dwordx2 s[0:1], s[0:1], 0x0
	v_and_b32_e32 v13, 15, v0
	v_lshrrev_b32_e32 v1, 4, v0
	v_lshlrev_b32_e32 v0, 3, v13
	v_lshl_or_b32 v9, v1, 8, v0
	v_lshlrev_b32_e32 v0, 7, v1
	v_lshlrev_b32_e32 v2, 2, v13
	s_movk_i32 s3, 0x1000
	v_or_b32_e32 v8, -16, v13
	v_or3_b32 v10, v0, v2, s3
	v_mov_b32_e32 v4, 0
	s_mov_b64 s[4:5], 0
	s_waitcnt lgkmcnt(0)
	v_mov_b32_e32 v6, s1
	v_mov_b32_e32 v5, v4
	;; [unrolled: 1-line block ×5, first 2 shown]
.LBB41_12:                              ; =>This Inner Loop Header: Depth=1
	v_add_co_u32_e32 v3, vcc, 16, v3
	s_xor_b64 s[12:13], vcc, -1
	s_and_b64 s[12:13], exec, s[12:13]
	ds_write_b32 v0, v6
	ds_write_b64 v2, v[4:5]
	v_add_u32_e32 v2, 0x80, v2
	s_or_b64 s[4:5], s[12:13], s[4:5]
	v_add_u32_e32 v0, 64, v0
	s_andn2_b64 exec, exec, s[4:5]
	s_cbranch_execnz .LBB41_12
; %bb.13:
	s_or_b64 exec, exec, s[4:5]
	s_lshl_b32 s2, s2, 4
	s_and_b32 s2, s2, 0xffffff0
	v_or_b32_e32 v0, s2, v1
	v_cmp_gt_i32_e32 vcc, s0, v0
	s_waitcnt lgkmcnt(0)
	s_and_saveexec_b64 s[2:3], vcc
	s_cbranch_execz .LBB41_53
; %bb.14:
	s_cmp_eq_u64 s[38:39], 0
	s_cbranch_scc1 .LBB41_16
; %bb.15:
	s_load_dword s0, s[36:37], 0x0
	s_waitcnt lgkmcnt(0)
	v_add_u32_e32 v2, s0, v0
	v_ashrrev_i32_e32 v3, 31, v2
	v_lshl_add_u64 v[2:3], v[2:3], 2, s[38:39]
	global_load_dword v0, v[2:3], off
.LBB41_16:
	v_mov_b32_e32 v2, 0x1000
	v_lshl_or_b32 v11, v1, 7, v2
	v_lshlrev_b32_e32 v12, 8, v1
	s_andn2_b64 vcc, exec, s[44:45]
	s_waitcnt vmcnt(0)
	v_ashrrev_i32_e32 v1, 31, v0
	s_cbranch_vccnz .LBB41_34
; %bb.17:
	v_lshl_add_u64 v[2:3], v[0:1], 2, s[16:17]
	global_load_dwordx2 v[2:3], v[2:3], off
	v_subrev_u32_e32 v4, s28, v13
	s_waitcnt vmcnt(0)
	v_subrev_u32_e32 v14, s28, v3
	v_add_u32_e32 v2, v2, v4
	v_cmp_lt_i32_e32 vcc, v2, v14
	s_and_saveexec_b64 s[2:3], vcc
	s_cbranch_execz .LBB41_33
; %bb.18:
	s_mov_b64 s[4:5], 0
	s_branch .LBB41_20
.LBB41_19:                              ;   in Loop: Header=BB41_20 Depth=1
	s_or_b64 exec, exec, s[12:13]
	v_add_u32_e32 v2, 16, v2
	v_cmp_ge_i32_e32 vcc, v2, v14
	s_or_b64 s[4:5], vcc, s[4:5]
	s_andn2_b64 exec, exec, s[4:5]
	s_cbranch_execz .LBB41_33
.LBB41_20:                              ; =>This Loop Header: Depth=1
                                        ;     Child Loop BB41_24 Depth 2
                                        ;       Child Loop BB41_27 Depth 3
	v_ashrrev_i32_e32 v3, 31, v2
	v_lshl_add_u64 v[4:5], v[2:3], 2, s[18:19]
	global_load_dword v4, v[4:5], off
	s_waitcnt vmcnt(0)
	v_subrev_u32_e32 v4, s28, v4
	v_ashrrev_i32_e32 v5, 31, v4
	v_lshl_add_u64 v[4:5], v[4:5], 2, s[22:23]
	global_load_dwordx2 v[4:5], v[4:5], off
	s_waitcnt vmcnt(0)
	v_cmp_lt_i32_e32 vcc, v4, v5
	s_and_saveexec_b64 s[12:13], vcc
	s_cbranch_execz .LBB41_19
; %bb.21:                               ;   in Loop: Header=BB41_20 Depth=1
	v_lshl_add_u64 v[6:7], v[2:3], 3, s[20:21]
	global_load_dwordx2 v[6:7], v[6:7], off
	v_subrev_u32_e32 v3, s29, v5
	v_subrev_u32_e32 v4, s29, v4
	s_mov_b64 s[16:17], 0
	s_waitcnt vmcnt(0)
	v_mul_f32_e64 v15, v7, -s41
	v_mul_f32_e32 v16, s50, v7
	v_fmac_f32_e32 v15, s50, v6
	v_fmac_f32_e32 v16, s41, v6
	s_branch .LBB41_24
.LBB41_22:                              ;   in Loop: Header=BB41_24 Depth=2
	s_or_b64 exec, exec, s[38:39]
.LBB41_23:                              ;   in Loop: Header=BB41_24 Depth=2
	s_or_b64 exec, exec, s[36:37]
	s_waitcnt vmcnt(0)
	v_mul_f32_e64 v17, v7, -v16
	v_fmac_f32_e32 v17, v15, v6
	v_mul_f32_e32 v7, v15, v7
	v_lshl_add_u32 v5, v5, 3, v12
	v_fmac_f32_e32 v7, v16, v6
	ds_add_f32 v5, v17
	ds_add_f32 v5, v7 offset:4
	v_add_u32_e32 v4, 1, v4
	v_cmp_ge_i32_e32 vcc, v4, v3
	s_or_b64 s[16:17], vcc, s[16:17]
	s_andn2_b64 exec, exec, s[16:17]
	s_cbranch_execz .LBB41_19
.LBB41_24:                              ;   Parent Loop BB41_20 Depth=1
                                        ; =>  This Loop Header: Depth=2
                                        ;       Child Loop BB41_27 Depth 3
	v_ashrrev_i32_e32 v5, 31, v4
	v_lshl_add_u64 v[6:7], v[4:5], 2, s[8:9]
	global_load_dword v17, v[6:7], off
	v_lshl_add_u64 v[6:7], v[4:5], 3, s[10:11]
	global_load_dwordx2 v[6:7], v[6:7], off
	s_waitcnt vmcnt(1)
	v_subrev_u32_e32 v17, s29, v17
	v_lshl_add_u32 v5, v17, 3, v17
	v_and_b32_e32 v5, 31, v5
	v_lshl_add_u32 v18, v5, 2, v11
	ds_read_b32 v19, v18
	s_waitcnt lgkmcnt(0)
	v_cmp_ne_u32_e32 vcc, v19, v17
	s_and_saveexec_b64 s[36:37], vcc
	s_cbranch_execz .LBB41_23
; %bb.25:                               ;   in Loop: Header=BB41_24 Depth=2
	s_mov_b64 s[38:39], 0
	s_branch .LBB41_27
.LBB41_26:                              ;   in Loop: Header=BB41_27 Depth=3
	s_or_b64 exec, exec, s[48:49]
	s_and_b64 s[44:45], exec, s[46:47]
	s_or_b64 s[38:39], s[44:45], s[38:39]
	s_andn2_b64 exec, exec, s[38:39]
	s_cbranch_execz .LBB41_22
.LBB41_27:                              ;   Parent Loop BB41_20 Depth=1
                                        ;     Parent Loop BB41_24 Depth=2
                                        ; =>    This Inner Loop Header: Depth=3
	v_cmp_ne_u32_e32 vcc, s1, v19
	s_mov_b64 s[44:45], 0
	s_and_saveexec_b64 s[46:47], vcc
	s_xor_b64 s[46:47], exec, s[46:47]
	s_cbranch_execz .LBB41_29
; %bb.28:                               ;   in Loop: Header=BB41_27 Depth=3
	v_add_u32_e32 v5, 1, v5
	s_mov_b64 s[44:45], exec
	v_and_b32_e32 v5, 31, v5
                                        ; implicit-def: $vgpr18
	s_andn2_saveexec_b64 s[46:47], s[46:47]
	s_cbranch_execz .LBB41_31
	s_branch .LBB41_30
.LBB41_29:                              ;   in Loop: Header=BB41_27 Depth=3
	s_andn2_saveexec_b64 s[46:47], s[46:47]
	s_cbranch_execz .LBB41_31
.LBB41_30:                              ;   in Loop: Header=BB41_27 Depth=3
	v_mov_b32_e32 v19, s1
	ds_cmpst_rtn_b32 v18, v18, v19, v17
	s_andn2_b64 s[44:45], s[44:45], exec
	s_waitcnt lgkmcnt(0)
	v_cmp_ne_u32_e32 vcc, s1, v18
	s_and_b64 s[48:49], vcc, exec
	s_or_b64 s[44:45], s[44:45], s[48:49]
.LBB41_31:                              ;   in Loop: Header=BB41_27 Depth=3
	s_or_b64 exec, exec, s[46:47]
	s_mov_b64 s[46:47], -1
                                        ; implicit-def: $vgpr18
                                        ; implicit-def: $vgpr19
	s_and_saveexec_b64 s[48:49], s[44:45]
	s_cbranch_execz .LBB41_26
; %bb.32:                               ;   in Loop: Header=BB41_27 Depth=3
	v_lshl_add_u32 v18, v5, 2, v11
	ds_read_b32 v19, v18
	s_waitcnt lgkmcnt(0)
	v_cmp_eq_u32_e32 vcc, v19, v17
	s_orn2_b64 s[46:47], vcc, exec
	s_branch .LBB41_26
.LBB41_33:
	s_or_b64 exec, exec, s[2:3]
.LBB41_34:
	s_andn2_b64 vcc, exec, s[42:43]
	s_cbranch_vccnz .LBB41_49
; %bb.35:
	v_lshl_add_u64 v[2:3], v[0:1], 2, s[14:15]
	global_load_dwordx2 v[2:3], v[2:3], off
	v_subrev_u32_e32 v4, s31, v13
	s_waitcnt vmcnt(0)
	v_subrev_u32_e32 v6, s31, v3
	v_add_u32_e32 v2, v2, v4
	v_cmp_lt_i32_e32 vcc, v2, v6
	s_and_saveexec_b64 s[2:3], vcc
	s_cbranch_execz .LBB41_48
; %bb.36:
	s_mov_b64 s[4:5], 0
	s_branch .LBB41_39
.LBB41_37:                              ;   in Loop: Header=BB41_39 Depth=1
	s_or_b64 exec, exec, s[10:11]
.LBB41_38:                              ;   in Loop: Header=BB41_39 Depth=1
	s_or_b64 exec, exec, s[8:9]
	s_waitcnt vmcnt(0)
	v_mul_f32_e64 v7, v5, -s40
	v_fmac_f32_e32 v7, s33, v4
	v_mul_f32_e32 v5, s33, v5
	v_lshl_add_u32 v3, v3, 3, v12
	v_fmac_f32_e32 v5, s40, v4
	ds_add_f32 v3, v7
	ds_add_f32 v3, v5 offset:4
	v_add_u32_e32 v2, 16, v2
	v_cmp_ge_i32_e32 vcc, v2, v6
	s_or_b64 s[4:5], vcc, s[4:5]
	s_andn2_b64 exec, exec, s[4:5]
	s_cbranch_execz .LBB41_48
.LBB41_39:                              ; =>This Loop Header: Depth=1
                                        ;     Child Loop BB41_42 Depth 2
	v_ashrrev_i32_e32 v3, 31, v2
	v_lshl_add_u64 v[4:5], v[2:3], 2, s[24:25]
	global_load_dword v7, v[4:5], off
	v_lshl_add_u64 v[4:5], v[2:3], 3, s[26:27]
	global_load_dwordx2 v[4:5], v[4:5], off
	s_waitcnt vmcnt(1)
	v_subrev_u32_e32 v7, s31, v7
	v_lshl_add_u32 v3, v7, 3, v7
	v_and_b32_e32 v3, 31, v3
	v_lshl_add_u32 v13, v3, 2, v11
	ds_read_b32 v14, v13
	s_waitcnt lgkmcnt(0)
	v_cmp_ne_u32_e32 vcc, v14, v7
	s_and_saveexec_b64 s[8:9], vcc
	s_cbranch_execz .LBB41_38
; %bb.40:                               ;   in Loop: Header=BB41_39 Depth=1
	s_mov_b64 s[10:11], 0
	s_branch .LBB41_42
.LBB41_41:                              ;   in Loop: Header=BB41_42 Depth=2
	s_or_b64 exec, exec, s[16:17]
	s_and_b64 s[12:13], exec, s[14:15]
	s_or_b64 s[10:11], s[12:13], s[10:11]
	s_andn2_b64 exec, exec, s[10:11]
	s_cbranch_execz .LBB41_37
.LBB41_42:                              ;   Parent Loop BB41_39 Depth=1
                                        ; =>  This Inner Loop Header: Depth=2
	v_cmp_ne_u32_e32 vcc, s1, v14
	s_mov_b64 s[12:13], 0
	s_and_saveexec_b64 s[14:15], vcc
	s_xor_b64 s[14:15], exec, s[14:15]
	s_cbranch_execz .LBB41_44
; %bb.43:                               ;   in Loop: Header=BB41_42 Depth=2
	v_add_u32_e32 v3, 1, v3
	s_mov_b64 s[12:13], exec
	v_and_b32_e32 v3, 31, v3
                                        ; implicit-def: $vgpr13
	s_andn2_saveexec_b64 s[14:15], s[14:15]
	s_cbranch_execz .LBB41_46
	s_branch .LBB41_45
.LBB41_44:                              ;   in Loop: Header=BB41_42 Depth=2
	s_andn2_saveexec_b64 s[14:15], s[14:15]
	s_cbranch_execz .LBB41_46
.LBB41_45:                              ;   in Loop: Header=BB41_42 Depth=2
	v_mov_b32_e32 v14, s1
	ds_cmpst_rtn_b32 v13, v13, v14, v7
	s_andn2_b64 s[12:13], s[12:13], exec
	s_waitcnt lgkmcnt(0)
	v_cmp_ne_u32_e32 vcc, s1, v13
	s_and_b64 s[16:17], vcc, exec
	s_or_b64 s[12:13], s[12:13], s[16:17]
.LBB41_46:                              ;   in Loop: Header=BB41_42 Depth=2
	s_or_b64 exec, exec, s[14:15]
	s_mov_b64 s[14:15], -1
                                        ; implicit-def: $vgpr13
                                        ; implicit-def: $vgpr14
	s_and_saveexec_b64 s[16:17], s[12:13]
	s_cbranch_execz .LBB41_41
; %bb.47:                               ;   in Loop: Header=BB41_42 Depth=2
	v_lshl_add_u32 v13, v3, 2, v11
	ds_read_b32 v14, v13
	s_waitcnt lgkmcnt(0)
	v_cmp_eq_u32_e32 vcc, v14, v7
	s_orn2_b64 s[14:15], vcc, exec
	s_branch .LBB41_41
.LBB41_48:
	s_or_b64 exec, exec, s[2:3]
.LBB41_49:
	v_lshl_add_u64 v[0:1], v[0:1], 2, s[34:35]
	s_waitcnt lgkmcnt(0)
	global_load_dword v0, v[0:1], off
	s_mov_b64 s[2:3], 0
	s_waitcnt vmcnt(0)
	v_subrev_u32_e32 v0, s30, v0
	s_branch .LBB41_51
.LBB41_50:                              ;   in Loop: Header=BB41_51 Depth=1
	s_or_b64 exec, exec, s[4:5]
	v_add_co_u32_e32 v8, vcc, 16, v8
	s_xor_b64 s[4:5], vcc, -1
	s_and_b64 s[4:5], exec, s[4:5]
	v_add_u32_e32 v9, 0x80, v9
	s_or_b64 s[2:3], s[4:5], s[2:3]
	v_add_u32_e32 v10, 64, v10
	s_andn2_b64 exec, exec, s[2:3]
	s_cbranch_execz .LBB41_53
.LBB41_51:                              ; =>This Inner Loop Header: Depth=1
	ds_read_b32 v1, v10
	s_waitcnt lgkmcnt(0)
	v_cmp_gt_i32_e32 vcc, s1, v1
	s_and_saveexec_b64 s[4:5], vcc
	s_cbranch_execz .LBB41_50
; %bb.52:                               ;   in Loop: Header=BB41_51 Depth=1
	ds_read_b128 v[2:5], v11
	ds_read_b128 v[12:15], v11 offset:16
	ds_read_b128 v[16:19], v11 offset:32
	;; [unrolled: 1-line block ×3, first 2 shown]
	s_waitcnt lgkmcnt(3)
	v_cmp_gt_i32_e32 vcc, v1, v2
	s_nop 1
	v_cndmask_b32_e64 v2, 0, 1, vcc
	v_cmp_gt_i32_e32 vcc, v1, v3
	s_nop 1
	v_addc_co_u32_e32 v2, vcc, v0, v2, vcc
	v_cmp_gt_i32_e32 vcc, v1, v4
	s_nop 1
	v_cndmask_b32_e64 v3, 0, 1, vcc
	v_cmp_gt_i32_e32 vcc, v1, v5
	s_nop 1
	v_addc_co_u32_e32 v2, vcc, v2, v3, vcc
	s_waitcnt lgkmcnt(2)
	v_cmp_gt_i32_e32 vcc, v1, v12
	s_nop 1
	v_cndmask_b32_e64 v3, 0, 1, vcc
	v_cmp_gt_i32_e32 vcc, v1, v13
	s_nop 1
	v_addc_co_u32_e32 v2, vcc, v2, v3, vcc
	v_cmp_gt_i32_e32 vcc, v1, v14
	s_nop 1
	v_cndmask_b32_e64 v3, 0, 1, vcc
	v_cmp_gt_i32_e32 vcc, v1, v15
	ds_read_b128 v[12:15], v11 offset:80
	s_nop 0
	v_addc_co_u32_e32 v2, vcc, v2, v3, vcc
	s_waitcnt lgkmcnt(2)
	v_cmp_gt_i32_e32 vcc, v1, v16
	s_nop 1
	v_cndmask_b32_e64 v3, 0, 1, vcc
	v_cmp_gt_i32_e32 vcc, v1, v17
	s_nop 1
	v_addc_co_u32_e32 v2, vcc, v2, v3, vcc
	v_cmp_gt_i32_e32 vcc, v1, v18
	s_nop 1
	v_cndmask_b32_e64 v3, 0, 1, vcc
	v_cmp_gt_i32_e32 vcc, v1, v19
	s_nop 1
	v_addc_co_u32_e32 v2, vcc, v2, v3, vcc
	s_waitcnt lgkmcnt(1)
	v_cmp_gt_i32_e32 vcc, v1, v20
	s_nop 1
	v_cndmask_b32_e64 v3, 0, 1, vcc
	v_cmp_gt_i32_e32 vcc, v1, v21
	s_nop 1
	v_addc_co_u32_e32 v6, vcc, v2, v3, vcc
	ds_read_b128 v[2:5], v11 offset:64
	v_cmp_gt_i32_e32 vcc, v1, v22
	s_nop 1
	v_cndmask_b32_e64 v7, 0, 1, vcc
	v_cmp_gt_i32_e32 vcc, v1, v23
	s_nop 1
	v_addc_co_u32_e32 v6, vcc, v6, v7, vcc
	s_waitcnt lgkmcnt(0)
	v_cmp_gt_i32_e32 vcc, v1, v2
	s_nop 1
	v_cndmask_b32_e64 v2, 0, 1, vcc
	v_cmp_gt_i32_e32 vcc, v1, v3
	s_nop 1
	v_addc_co_u32_e32 v2, vcc, v6, v2, vcc
	v_cmp_gt_i32_e32 vcc, v1, v4
	s_nop 1
	v_cndmask_b32_e64 v3, 0, 1, vcc
	v_cmp_gt_i32_e32 vcc, v1, v5
	s_nop 1
	v_addc_co_u32_e32 v2, vcc, v2, v3, vcc
	;; [unrolled: 6-line block ×3, first 2 shown]
	ds_read_b128 v[2:5], v11 offset:96
	v_cmp_gt_i32_e32 vcc, v1, v14
	s_nop 1
	v_cndmask_b32_e64 v7, 0, 1, vcc
	v_cmp_gt_i32_e32 vcc, v1, v15
	ds_read_b128 v[12:15], v11 offset:112
	s_nop 0
	v_addc_co_u32_e32 v6, vcc, v6, v7, vcc
	s_waitcnt lgkmcnt(1)
	v_cmp_gt_i32_e32 vcc, v1, v2
	s_nop 1
	v_cndmask_b32_e64 v2, 0, 1, vcc
	v_cmp_gt_i32_e32 vcc, v1, v3
	s_nop 1
	v_addc_co_u32_e32 v2, vcc, v6, v2, vcc
	v_cmp_gt_i32_e32 vcc, v1, v4
	s_nop 1
	v_cndmask_b32_e64 v3, 0, 1, vcc
	v_cmp_gt_i32_e32 vcc, v1, v5
	s_nop 1
	v_addc_co_u32_e32 v2, vcc, v2, v3, vcc
	s_waitcnt lgkmcnt(0)
	v_cmp_gt_i32_e32 vcc, v1, v12
	s_nop 1
	v_cndmask_b32_e64 v3, 0, 1, vcc
	v_cmp_gt_i32_e32 vcc, v1, v13
	s_nop 1
	v_addc_co_u32_e32 v4, vcc, v2, v3, vcc
	v_cmp_gt_i32_e32 vcc, v1, v14
	ds_read_b64 v[2:3], v9
	s_nop 0
	v_cndmask_b32_e64 v5, 0, 1, vcc
	v_cmp_gt_i32_e32 vcc, v1, v15
	s_nop 1
	v_addc_co_u32_e32 v4, vcc, v4, v5, vcc
	v_ashrrev_i32_e32 v5, 31, v4
	v_lshl_add_u64 v[4:5], v[4:5], 3, s[6:7]
	s_waitcnt lgkmcnt(0)
	global_store_dwordx2 v[4:5], v[2:3], off
	s_branch .LBB41_50
.LBB41_53:
	s_endpgm
	.section	.rodata,"a",@progbits
	.p2align	6, 0x0
	.amdhsa_kernel _ZN9rocsparseL38csrgemm_numeric_fill_wf_per_row_kernelILj256ELj16ELj32ELj137Eii21rocsparse_complex_numIfEEEvT4_S3_PKS3_S5_NS_24const_host_device_scalarIT5_EEPKT3_S5_PKS7_SB_S5_SD_S8_SB_S5_SD_SB_S5_PS7_21rocsparse_index_base_SF_SF_SF_bbb
		.amdhsa_group_segment_fixed_size 6144
		.amdhsa_private_segment_fixed_size 0
		.amdhsa_kernarg_size 156
		.amdhsa_user_sgpr_count 2
		.amdhsa_user_sgpr_dispatch_ptr 0
		.amdhsa_user_sgpr_queue_ptr 0
		.amdhsa_user_sgpr_kernarg_segment_ptr 1
		.amdhsa_user_sgpr_dispatch_id 0
		.amdhsa_user_sgpr_kernarg_preload_length 0
		.amdhsa_user_sgpr_kernarg_preload_offset 0
		.amdhsa_user_sgpr_private_segment_size 0
		.amdhsa_uses_dynamic_stack 0
		.amdhsa_enable_private_segment 0
		.amdhsa_system_sgpr_workgroup_id_x 1
		.amdhsa_system_sgpr_workgroup_id_y 0
		.amdhsa_system_sgpr_workgroup_id_z 0
		.amdhsa_system_sgpr_workgroup_info 0
		.amdhsa_system_vgpr_workitem_id 0
		.amdhsa_next_free_vgpr 24
		.amdhsa_next_free_sgpr 51
		.amdhsa_accum_offset 24
		.amdhsa_reserve_vcc 1
		.amdhsa_float_round_mode_32 0
		.amdhsa_float_round_mode_16_64 0
		.amdhsa_float_denorm_mode_32 3
		.amdhsa_float_denorm_mode_16_64 3
		.amdhsa_dx10_clamp 1
		.amdhsa_ieee_mode 1
		.amdhsa_fp16_overflow 0
		.amdhsa_tg_split 0
		.amdhsa_exception_fp_ieee_invalid_op 0
		.amdhsa_exception_fp_denorm_src 0
		.amdhsa_exception_fp_ieee_div_zero 0
		.amdhsa_exception_fp_ieee_overflow 0
		.amdhsa_exception_fp_ieee_underflow 0
		.amdhsa_exception_fp_ieee_inexact 0
		.amdhsa_exception_int_div_zero 0
	.end_amdhsa_kernel
	.section	.text._ZN9rocsparseL38csrgemm_numeric_fill_wf_per_row_kernelILj256ELj16ELj32ELj137Eii21rocsparse_complex_numIfEEEvT4_S3_PKS3_S5_NS_24const_host_device_scalarIT5_EEPKT3_S5_PKS7_SB_S5_SD_S8_SB_S5_SD_SB_S5_PS7_21rocsparse_index_base_SF_SF_SF_bbb,"axG",@progbits,_ZN9rocsparseL38csrgemm_numeric_fill_wf_per_row_kernelILj256ELj16ELj32ELj137Eii21rocsparse_complex_numIfEEEvT4_S3_PKS3_S5_NS_24const_host_device_scalarIT5_EEPKT3_S5_PKS7_SB_S5_SD_S8_SB_S5_SD_SB_S5_PS7_21rocsparse_index_base_SF_SF_SF_bbb,comdat
.Lfunc_end41:
	.size	_ZN9rocsparseL38csrgemm_numeric_fill_wf_per_row_kernelILj256ELj16ELj32ELj137Eii21rocsparse_complex_numIfEEEvT4_S3_PKS3_S5_NS_24const_host_device_scalarIT5_EEPKT3_S5_PKS7_SB_S5_SD_S8_SB_S5_SD_SB_S5_PS7_21rocsparse_index_base_SF_SF_SF_bbb, .Lfunc_end41-_ZN9rocsparseL38csrgemm_numeric_fill_wf_per_row_kernelILj256ELj16ELj32ELj137Eii21rocsparse_complex_numIfEEEvT4_S3_PKS3_S5_NS_24const_host_device_scalarIT5_EEPKT3_S5_PKS7_SB_S5_SD_S8_SB_S5_SD_SB_S5_PS7_21rocsparse_index_base_SF_SF_SF_bbb
                                        ; -- End function
	.set _ZN9rocsparseL38csrgemm_numeric_fill_wf_per_row_kernelILj256ELj16ELj32ELj137Eii21rocsparse_complex_numIfEEEvT4_S3_PKS3_S5_NS_24const_host_device_scalarIT5_EEPKT3_S5_PKS7_SB_S5_SD_S8_SB_S5_SD_SB_S5_PS7_21rocsparse_index_base_SF_SF_SF_bbb.num_vgpr, 24
	.set _ZN9rocsparseL38csrgemm_numeric_fill_wf_per_row_kernelILj256ELj16ELj32ELj137Eii21rocsparse_complex_numIfEEEvT4_S3_PKS3_S5_NS_24const_host_device_scalarIT5_EEPKT3_S5_PKS7_SB_S5_SD_S8_SB_S5_SD_SB_S5_PS7_21rocsparse_index_base_SF_SF_SF_bbb.num_agpr, 0
	.set _ZN9rocsparseL38csrgemm_numeric_fill_wf_per_row_kernelILj256ELj16ELj32ELj137Eii21rocsparse_complex_numIfEEEvT4_S3_PKS3_S5_NS_24const_host_device_scalarIT5_EEPKT3_S5_PKS7_SB_S5_SD_S8_SB_S5_SD_SB_S5_PS7_21rocsparse_index_base_SF_SF_SF_bbb.numbered_sgpr, 51
	.set _ZN9rocsparseL38csrgemm_numeric_fill_wf_per_row_kernelILj256ELj16ELj32ELj137Eii21rocsparse_complex_numIfEEEvT4_S3_PKS3_S5_NS_24const_host_device_scalarIT5_EEPKT3_S5_PKS7_SB_S5_SD_S8_SB_S5_SD_SB_S5_PS7_21rocsparse_index_base_SF_SF_SF_bbb.num_named_barrier, 0
	.set _ZN9rocsparseL38csrgemm_numeric_fill_wf_per_row_kernelILj256ELj16ELj32ELj137Eii21rocsparse_complex_numIfEEEvT4_S3_PKS3_S5_NS_24const_host_device_scalarIT5_EEPKT3_S5_PKS7_SB_S5_SD_S8_SB_S5_SD_SB_S5_PS7_21rocsparse_index_base_SF_SF_SF_bbb.private_seg_size, 0
	.set _ZN9rocsparseL38csrgemm_numeric_fill_wf_per_row_kernelILj256ELj16ELj32ELj137Eii21rocsparse_complex_numIfEEEvT4_S3_PKS3_S5_NS_24const_host_device_scalarIT5_EEPKT3_S5_PKS7_SB_S5_SD_S8_SB_S5_SD_SB_S5_PS7_21rocsparse_index_base_SF_SF_SF_bbb.uses_vcc, 1
	.set _ZN9rocsparseL38csrgemm_numeric_fill_wf_per_row_kernelILj256ELj16ELj32ELj137Eii21rocsparse_complex_numIfEEEvT4_S3_PKS3_S5_NS_24const_host_device_scalarIT5_EEPKT3_S5_PKS7_SB_S5_SD_S8_SB_S5_SD_SB_S5_PS7_21rocsparse_index_base_SF_SF_SF_bbb.uses_flat_scratch, 0
	.set _ZN9rocsparseL38csrgemm_numeric_fill_wf_per_row_kernelILj256ELj16ELj32ELj137Eii21rocsparse_complex_numIfEEEvT4_S3_PKS3_S5_NS_24const_host_device_scalarIT5_EEPKT3_S5_PKS7_SB_S5_SD_S8_SB_S5_SD_SB_S5_PS7_21rocsparse_index_base_SF_SF_SF_bbb.has_dyn_sized_stack, 0
	.set _ZN9rocsparseL38csrgemm_numeric_fill_wf_per_row_kernelILj256ELj16ELj32ELj137Eii21rocsparse_complex_numIfEEEvT4_S3_PKS3_S5_NS_24const_host_device_scalarIT5_EEPKT3_S5_PKS7_SB_S5_SD_S8_SB_S5_SD_SB_S5_PS7_21rocsparse_index_base_SF_SF_SF_bbb.has_recursion, 0
	.set _ZN9rocsparseL38csrgemm_numeric_fill_wf_per_row_kernelILj256ELj16ELj32ELj137Eii21rocsparse_complex_numIfEEEvT4_S3_PKS3_S5_NS_24const_host_device_scalarIT5_EEPKT3_S5_PKS7_SB_S5_SD_S8_SB_S5_SD_SB_S5_PS7_21rocsparse_index_base_SF_SF_SF_bbb.has_indirect_call, 0
	.section	.AMDGPU.csdata,"",@progbits
; Kernel info:
; codeLenInByte = 2088
; TotalNumSgprs: 57
; NumVgprs: 24
; NumAgprs: 0
; TotalNumVgprs: 24
; ScratchSize: 0
; MemoryBound: 0
; FloatMode: 240
; IeeeMode: 1
; LDSByteSize: 6144 bytes/workgroup (compile time only)
; SGPRBlocks: 7
; VGPRBlocks: 2
; NumSGPRsForWavesPerEU: 57
; NumVGPRsForWavesPerEU: 24
; AccumOffset: 24
; Occupancy: 8
; WaveLimiterHint : 1
; COMPUTE_PGM_RSRC2:SCRATCH_EN: 0
; COMPUTE_PGM_RSRC2:USER_SGPR: 2
; COMPUTE_PGM_RSRC2:TRAP_HANDLER: 0
; COMPUTE_PGM_RSRC2:TGID_X_EN: 1
; COMPUTE_PGM_RSRC2:TGID_Y_EN: 0
; COMPUTE_PGM_RSRC2:TGID_Z_EN: 0
; COMPUTE_PGM_RSRC2:TIDIG_COMP_CNT: 0
; COMPUTE_PGM_RSRC3_GFX90A:ACCUM_OFFSET: 5
; COMPUTE_PGM_RSRC3_GFX90A:TG_SPLIT: 0
	.section	.text._ZN9rocsparseL41csrgemm_numeric_fill_block_per_row_kernelILj128ELj16ELj256ELj137ELj32Eii21rocsparse_complex_numIfEEEvT5_PKS3_S5_NS_24const_host_device_scalarIT6_EEPKT4_S5_PKS7_SB_S5_SD_S8_SB_S5_SD_SB_S5_PS7_21rocsparse_index_base_SF_SF_SF_bbb,"axG",@progbits,_ZN9rocsparseL41csrgemm_numeric_fill_block_per_row_kernelILj128ELj16ELj256ELj137ELj32Eii21rocsparse_complex_numIfEEEvT5_PKS3_S5_NS_24const_host_device_scalarIT6_EEPKT4_S5_PKS7_SB_S5_SD_S8_SB_S5_SD_SB_S5_PS7_21rocsparse_index_base_SF_SF_SF_bbb,comdat
	.globl	_ZN9rocsparseL41csrgemm_numeric_fill_block_per_row_kernelILj128ELj16ELj256ELj137ELj32Eii21rocsparse_complex_numIfEEEvT5_PKS3_S5_NS_24const_host_device_scalarIT6_EEPKT4_S5_PKS7_SB_S5_SD_S8_SB_S5_SD_SB_S5_PS7_21rocsparse_index_base_SF_SF_SF_bbb ; -- Begin function _ZN9rocsparseL41csrgemm_numeric_fill_block_per_row_kernelILj128ELj16ELj256ELj137ELj32Eii21rocsparse_complex_numIfEEEvT5_PKS3_S5_NS_24const_host_device_scalarIT6_EEPKT4_S5_PKS7_SB_S5_SD_S8_SB_S5_SD_SB_S5_PS7_21rocsparse_index_base_SF_SF_SF_bbb
	.p2align	8
	.type	_ZN9rocsparseL41csrgemm_numeric_fill_block_per_row_kernelILj128ELj16ELj256ELj137ELj32Eii21rocsparse_complex_numIfEEEvT5_PKS3_S5_NS_24const_host_device_scalarIT6_EEPKT4_S5_PKS7_SB_S5_SD_S8_SB_S5_SD_SB_S5_PS7_21rocsparse_index_base_SF_SF_SF_bbb,@function
_ZN9rocsparseL41csrgemm_numeric_fill_block_per_row_kernelILj128ELj16ELj256ELj137ELj32Eii21rocsparse_complex_numIfEEEvT5_PKS3_S5_NS_24const_host_device_scalarIT6_EEPKT4_S5_PKS7_SB_S5_SD_S8_SB_S5_SD_SB_S5_PS7_21rocsparse_index_base_SF_SF_SF_bbb: ; @_ZN9rocsparseL41csrgemm_numeric_fill_block_per_row_kernelILj128ELj16ELj256ELj137ELj32Eii21rocsparse_complex_numIfEEEvT5_PKS3_S5_NS_24const_host_device_scalarIT6_EEPKT4_S5_PKS7_SB_S5_SD_S8_SB_S5_SD_SB_S5_PS7_21rocsparse_index_base_SF_SF_SF_bbb
; %bb.0:
	s_load_dwordx2 s[40:41], s[0:1], 0x70
	s_load_dwordx4 s[28:31], s[0:1], 0x60
	s_load_dwordx8 s[8:15], s[0:1], 0x40
	s_load_dword s3, s[0:1], 0x98
	s_load_dwordx4 s[36:39], s[0:1], 0x8
	s_load_dwordx8 s[16:23], s[0:1], 0x20
	s_load_dwordx2 s[34:35], s[0:1], 0x80
	s_load_dwordx4 s[24:27], s[0:1], 0x88
	s_waitcnt lgkmcnt(0)
	s_bitcmp1_b32 s3, 0
	s_cselect_b64 s[44:45], -1, 0
	s_bitcmp1_b32 s3, 16
	s_cselect_b64 s[4:5], -1, 0
	s_xor_b64 s[4:5], s[4:5], -1
	v_cndmask_b32_e64 v1, 0, 1, s[4:5]
	s_mov_b32 s7, 0
	s_bitcmp0_b32 s3, 0
	v_cmp_ne_u32_e64 s[4:5], 1, v1
	s_mov_b32 s54, 0
	s_cbranch_scc1 .LBB42_5
; %bb.1:
	s_load_dwordx2 s[6:7], s[0:1], 0x18
	s_and_b64 vcc, exec, s[4:5]
	s_waitcnt lgkmcnt(0)
	s_mov_b32 s54, s6
	s_cbranch_vccnz .LBB42_3
; %bb.2:
	s_load_dword s54, s[6:7], 0x0
.LBB42_3:
	s_and_b64 vcc, exec, s[4:5]
	s_cbranch_vccnz .LBB42_5
; %bb.4:
	s_load_dword s7, s[6:7], 0x4
.LBB42_5:
	s_bitcmp1_b32 s3, 8
	s_cselect_b64 s[42:43], -1, 0
	s_bfe_u32 s3, s3, 0x10008
	s_mov_b32 s52, 0
	s_cmp_eq_u32 s3, 0
	s_mov_b32 s53, 0
	s_cbranch_scc1 .LBB42_11
; %bb.6:
	s_and_b64 vcc, exec, s[4:5]
	s_mov_b32 s52, s12
	s_cbranch_vccnz .LBB42_8
; %bb.7:
	s_load_dword s52, s[12:13], 0x0
.LBB42_8:
	s_and_b64 vcc, exec, s[4:5]
	s_cbranch_vccnz .LBB42_10
; %bb.9:
	s_load_dword s13, s[12:13], 0x4
.LBB42_10:
	s_waitcnt lgkmcnt(0)
	s_mov_b32 s53, s13
.LBB42_11:
	s_load_dword s33, s[0:1], 0x0
	s_movk_i32 s0, 0x100
	v_cmp_gt_u32_e64 s[0:1], s0, v0
	v_lshl_add_u32 v8, v0, 3, 0
	v_lshl_add_u32 v1, v0, 2, 0
	s_and_saveexec_b64 s[4:5], s[0:1]
	s_cbranch_execz .LBB42_14
; %bb.12:
	v_add_u32_e32 v2, 0x400, v8
	v_or_b32_e32 v3, 0xffffff80, v0
	v_lshl_add_u32 v4, v0, 2, 0
	s_mov_b64 s[12:13], 0
	s_waitcnt lgkmcnt(0)
	v_mov_b32_e32 v6, s33
	v_mov_b32_e32 v5, 0
.LBB42_13:                              ; =>This Inner Loop Header: Depth=1
	v_add_co_u32_e32 v3, vcc, 0x80, v3
	s_xor_b64 s[46:47], vcc, -1
	s_and_b64 s[46:47], exec, s[46:47]
	ds_write_b32 v4, v6
	ds_write2_b32 v2, v5, v5 offset1:1
	v_add_u32_e32 v2, 0x400, v2
	s_or_b64 s[12:13], s[46:47], s[12:13]
	v_add_u32_e32 v4, 0x200, v4
	s_andn2_b64 exec, exec, s[12:13]
	s_cbranch_execnz .LBB42_13
.LBB42_14:
	s_or_b64 exec, exec, s[4:5]
	s_waitcnt lgkmcnt(0)
	s_barrier
	s_load_dword s3, s[36:37], 0x0
	s_waitcnt lgkmcnt(0)
	s_add_i32 s2, s3, s2
	s_mov_b32 s3, 0
	s_lshl_b64 s[2:3], s[2:3], 2
	s_add_u32 s2, s38, s2
	s_addc_u32 s3, s39, s3
	s_load_dword s12, s[2:3], 0x0
	s_and_b64 vcc, exec, s[44:45]
	s_cbranch_vccz .LBB42_32
; %bb.15:
	s_waitcnt lgkmcnt(0)
	s_ashr_i32 s13, s12, 31
	s_lshl_b64 s[2:3], s[12:13], 2
	s_add_u32 s2, s16, s2
	s_addc_u32 s3, s17, s3
	s_load_dwordx2 s[4:5], s[2:3], 0x0
	v_lshrrev_b32_e32 v2, 4, v0
	v_subrev_u32_e32 v2, s24, v2
	s_waitcnt lgkmcnt(0)
	s_sub_i32 s6, s5, s24
	v_add_u32_e32 v2, s4, v2
	v_cmp_gt_i32_e32 vcc, s6, v2
	s_and_saveexec_b64 s[2:3], vcc
	s_cbranch_execz .LBB42_31
; %bb.16:
	v_and_b32_e32 v3, 15, v0
	v_subrev_u32_e32 v9, s25, v3
	s_mov_b64 s[4:5], 0
	s_movk_i32 s13, 0x89
	s_branch .LBB42_18
.LBB42_17:                              ;   in Loop: Header=BB42_18 Depth=1
	s_or_b64 exec, exec, s[16:17]
	v_add_u32_e32 v2, 8, v2
	v_cmp_le_i32_e32 vcc, s6, v2
	s_or_b64 s[4:5], vcc, s[4:5]
	s_andn2_b64 exec, exec, s[4:5]
	s_cbranch_execz .LBB42_31
.LBB42_18:                              ; =>This Loop Header: Depth=1
                                        ;     Child Loop BB42_22 Depth 2
                                        ;       Child Loop BB42_25 Depth 3
	v_ashrrev_i32_e32 v3, 31, v2
	v_lshl_add_u64 v[4:5], v[2:3], 2, s[18:19]
	global_load_dword v4, v[4:5], off
	s_waitcnt vmcnt(0)
	v_subrev_u32_e32 v4, s24, v4
	v_ashrrev_i32_e32 v5, 31, v4
	v_lshl_add_u64 v[4:5], v[4:5], 2, s[22:23]
	global_load_dwordx2 v[4:5], v[4:5], off
	s_waitcnt vmcnt(0)
	v_subrev_u32_e32 v10, s25, v5
	v_add_u32_e32 v4, v4, v9
	v_cmp_lt_i32_e32 vcc, v4, v10
	s_and_saveexec_b64 s[16:17], vcc
	s_cbranch_execz .LBB42_17
; %bb.19:                               ;   in Loop: Header=BB42_18 Depth=1
	v_lshl_add_u64 v[6:7], v[2:3], 3, s[20:21]
	global_load_dwordx2 v[6:7], v[6:7], off
	s_mov_b64 s[36:37], 0
	s_waitcnt vmcnt(0)
	v_mul_f32_e64 v3, v7, -s7
	v_mul_f32_e32 v11, s54, v7
	v_fmac_f32_e32 v3, s54, v6
	v_fmac_f32_e32 v11, s7, v6
	s_branch .LBB42_22
.LBB42_20:                              ;   in Loop: Header=BB42_22 Depth=2
	s_or_b64 exec, exec, s[44:45]
.LBB42_21:                              ;   in Loop: Header=BB42_22 Depth=2
	s_or_b64 exec, exec, s[38:39]
	s_waitcnt vmcnt(0)
	v_mul_f32_e64 v12, v7, -v11
	v_fmac_f32_e32 v12, v3, v6
	v_mul_f32_e32 v7, v3, v7
	v_lshl_add_u32 v5, v5, 3, 0
	v_fmac_f32_e32 v7, v11, v6
	ds_add_f32 v5, v12 offset:1024
	ds_add_f32 v5, v7 offset:1028
	v_add_u32_e32 v4, 16, v4
	v_cmp_ge_i32_e32 vcc, v4, v10
	s_or_b64 s[36:37], vcc, s[36:37]
	s_andn2_b64 exec, exec, s[36:37]
	s_cbranch_execz .LBB42_17
.LBB42_22:                              ;   Parent Loop BB42_18 Depth=1
                                        ; =>  This Loop Header: Depth=2
                                        ;       Child Loop BB42_25 Depth 3
	v_ashrrev_i32_e32 v5, 31, v4
	v_lshl_add_u64 v[6:7], v[4:5], 2, s[8:9]
	global_load_dword v12, v[6:7], off
	v_lshl_add_u64 v[6:7], v[4:5], 3, s[10:11]
	global_load_dwordx2 v[6:7], v[6:7], off
	s_waitcnt vmcnt(1)
	v_subrev_u32_e32 v12, s25, v12
	v_mul_lo_u32 v5, v12, s13
	v_and_b32_e32 v5, 0xff, v5
	v_lshl_add_u32 v13, v5, 2, 0
	ds_read_b32 v14, v13
	s_waitcnt lgkmcnt(0)
	v_cmp_ne_u32_e32 vcc, v14, v12
	s_and_saveexec_b64 s[38:39], vcc
	s_cbranch_execz .LBB42_21
; %bb.23:                               ;   in Loop: Header=BB42_22 Depth=2
	s_mov_b64 s[44:45], 0
	s_branch .LBB42_25
.LBB42_24:                              ;   in Loop: Header=BB42_25 Depth=3
	s_or_b64 exec, exec, s[50:51]
	s_and_b64 s[46:47], exec, s[48:49]
	s_or_b64 s[44:45], s[46:47], s[44:45]
	s_andn2_b64 exec, exec, s[44:45]
	s_cbranch_execz .LBB42_20
.LBB42_25:                              ;   Parent Loop BB42_18 Depth=1
                                        ;     Parent Loop BB42_22 Depth=2
                                        ; =>    This Inner Loop Header: Depth=3
	v_cmp_ne_u32_e32 vcc, s33, v14
	s_mov_b64 s[46:47], 0
	s_and_saveexec_b64 s[48:49], vcc
	s_xor_b64 s[48:49], exec, s[48:49]
	s_cbranch_execz .LBB42_27
; %bb.26:                               ;   in Loop: Header=BB42_25 Depth=3
	v_add_u32_e32 v5, 1, v5
	s_mov_b64 s[46:47], exec
	v_and_b32_e32 v5, 0xff, v5
                                        ; implicit-def: $vgpr13
	s_andn2_saveexec_b64 s[48:49], s[48:49]
	s_cbranch_execz .LBB42_29
	s_branch .LBB42_28
.LBB42_27:                              ;   in Loop: Header=BB42_25 Depth=3
	s_andn2_saveexec_b64 s[48:49], s[48:49]
	s_cbranch_execz .LBB42_29
.LBB42_28:                              ;   in Loop: Header=BB42_25 Depth=3
	v_mov_b32_e32 v14, s33
	ds_cmpst_rtn_b32 v13, v13, v14, v12
	s_andn2_b64 s[46:47], s[46:47], exec
	s_waitcnt lgkmcnt(0)
	v_cmp_ne_u32_e32 vcc, s33, v13
	s_and_b64 s[50:51], vcc, exec
	s_or_b64 s[46:47], s[46:47], s[50:51]
.LBB42_29:                              ;   in Loop: Header=BB42_25 Depth=3
	s_or_b64 exec, exec, s[48:49]
	s_mov_b64 s[48:49], -1
                                        ; implicit-def: $vgpr13
                                        ; implicit-def: $vgpr14
	s_and_saveexec_b64 s[50:51], s[46:47]
	s_cbranch_execz .LBB42_24
; %bb.30:                               ;   in Loop: Header=BB42_25 Depth=3
	v_lshl_add_u32 v13, v5, 2, 0
	ds_read_b32 v14, v13
	s_waitcnt lgkmcnt(0)
	v_cmp_eq_u32_e32 vcc, v14, v12
	s_orn2_b64 s[48:49], vcc, exec
	s_branch .LBB42_24
.LBB42_31:
	s_or_b64 exec, exec, s[2:3]
.LBB42_32:
	s_andn2_b64 vcc, exec, s[42:43]
	s_cbranch_vccnz .LBB42_47
; %bb.33:
	s_waitcnt lgkmcnt(0)
	s_ashr_i32 s13, s12, 31
	s_lshl_b64 s[2:3], s[12:13], 2
	s_add_u32 s2, s14, s2
	s_addc_u32 s3, s15, s3
	s_load_dwordx2 s[4:5], s[2:3], 0x0
	v_subrev_u32_e32 v2, s27, v0
	s_waitcnt lgkmcnt(0)
	s_sub_i32 s13, s5, s27
	v_add_u32_e32 v2, s4, v2
	v_cmp_gt_i32_e32 vcc, s13, v2
	s_and_saveexec_b64 s[2:3], vcc
	s_cbranch_execz .LBB42_46
; %bb.34:
	s_mov_b64 s[4:5], 0
	s_movk_i32 s18, 0x89
	s_branch .LBB42_37
.LBB42_35:                              ;   in Loop: Header=BB42_37 Depth=1
	s_or_b64 exec, exec, s[8:9]
.LBB42_36:                              ;   in Loop: Header=BB42_37 Depth=1
	s_or_b64 exec, exec, s[6:7]
	s_waitcnt vmcnt(0)
	v_mul_f32_e64 v6, v5, -s53
	v_fmac_f32_e32 v6, s52, v4
	v_mul_f32_e32 v5, s52, v5
	v_lshl_add_u32 v3, v3, 3, 0
	v_fmac_f32_e32 v5, s53, v4
	ds_add_f32 v3, v6 offset:1024
	ds_add_f32 v3, v5 offset:1028
	v_add_u32_e32 v2, 0x80, v2
	v_cmp_le_i32_e32 vcc, s13, v2
	s_or_b64 s[4:5], vcc, s[4:5]
	s_andn2_b64 exec, exec, s[4:5]
	s_cbranch_execz .LBB42_46
.LBB42_37:                              ; =>This Loop Header: Depth=1
                                        ;     Child Loop BB42_40 Depth 2
	v_ashrrev_i32_e32 v3, 31, v2
	v_lshl_add_u64 v[4:5], v[2:3], 2, s[28:29]
	global_load_dword v6, v[4:5], off
	v_lshl_add_u64 v[4:5], v[2:3], 3, s[30:31]
	global_load_dwordx2 v[4:5], v[4:5], off
	s_waitcnt vmcnt(1)
	v_subrev_u32_e32 v6, s27, v6
	v_mul_lo_u32 v3, v6, s18
	v_and_b32_e32 v3, 0xff, v3
	v_lshl_add_u32 v7, v3, 2, 0
	ds_read_b32 v9, v7
	s_waitcnt lgkmcnt(0)
	v_cmp_ne_u32_e32 vcc, v9, v6
	s_and_saveexec_b64 s[6:7], vcc
	s_cbranch_execz .LBB42_36
; %bb.38:                               ;   in Loop: Header=BB42_37 Depth=1
	s_mov_b64 s[8:9], 0
	s_branch .LBB42_40
.LBB42_39:                              ;   in Loop: Header=BB42_40 Depth=2
	s_or_b64 exec, exec, s[16:17]
	s_and_b64 s[10:11], exec, s[14:15]
	s_or_b64 s[8:9], s[10:11], s[8:9]
	s_andn2_b64 exec, exec, s[8:9]
	s_cbranch_execz .LBB42_35
.LBB42_40:                              ;   Parent Loop BB42_37 Depth=1
                                        ; =>  This Inner Loop Header: Depth=2
	v_cmp_ne_u32_e32 vcc, s33, v9
	s_mov_b64 s[10:11], 0
	s_and_saveexec_b64 s[14:15], vcc
	s_xor_b64 s[14:15], exec, s[14:15]
	s_cbranch_execz .LBB42_42
; %bb.41:                               ;   in Loop: Header=BB42_40 Depth=2
	v_add_u32_e32 v3, 1, v3
	s_mov_b64 s[10:11], exec
	v_and_b32_e32 v3, 0xff, v3
                                        ; implicit-def: $vgpr7
	s_andn2_saveexec_b64 s[14:15], s[14:15]
	s_cbranch_execz .LBB42_44
	s_branch .LBB42_43
.LBB42_42:                              ;   in Loop: Header=BB42_40 Depth=2
	s_andn2_saveexec_b64 s[14:15], s[14:15]
	s_cbranch_execz .LBB42_44
.LBB42_43:                              ;   in Loop: Header=BB42_40 Depth=2
	v_mov_b32_e32 v9, s33
	ds_cmpst_rtn_b32 v7, v7, v9, v6
	s_andn2_b64 s[10:11], s[10:11], exec
	s_waitcnt lgkmcnt(0)
	v_cmp_ne_u32_e32 vcc, s33, v7
	s_and_b64 s[16:17], vcc, exec
	s_or_b64 s[10:11], s[10:11], s[16:17]
.LBB42_44:                              ;   in Loop: Header=BB42_40 Depth=2
	s_or_b64 exec, exec, s[14:15]
	s_mov_b64 s[14:15], -1
                                        ; implicit-def: $vgpr7
                                        ; implicit-def: $vgpr9
	s_and_saveexec_b64 s[16:17], s[10:11]
	s_cbranch_execz .LBB42_39
; %bb.45:                               ;   in Loop: Header=BB42_40 Depth=2
	v_lshl_add_u32 v7, v3, 2, 0
	ds_read_b32 v9, v7
	s_waitcnt lgkmcnt(0)
	v_cmp_eq_u32_e32 vcc, v9, v6
	s_orn2_b64 s[14:15], vcc, exec
	s_branch .LBB42_39
.LBB42_46:
	s_or_b64 exec, exec, s[2:3]
.LBB42_47:
	s_waitcnt lgkmcnt(0)
	s_barrier
	s_and_saveexec_b64 s[8:9], s[0:1]
	s_cbranch_execz .LBB42_60
; %bb.48:
	v_mbcnt_lo_u32_b32 v2, -1, 0
	v_mbcnt_hi_u32_b32 v2, -1, v2
	v_lshrrev_b32_e32 v4, 3, v0
	v_sub_u32_e32 v2, 63, v2
	v_and_b32_e32 v4, 12, v4
	s_movk_i32 s0, 0x7f
	s_movk_i32 s6, 0x5f
	v_mov_b32_e32 v6, 0
	v_lshrrev_b64 v[2:3], v2, -1
	v_add_u32_e32 v7, 0, v4
	v_cmp_eq_u32_e64 s[0:1], s0, v0
	v_cmp_lt_u32_e64 s[2:3], 31, v0
	v_cmp_lt_u32_e64 s[4:5], 63, v0
	;; [unrolled: 1-line block ×3, first 2 shown]
	v_add_u32_e32 v8, 0x400, v8
	v_or_b32_e32 v9, 0xffffff80, v0
	s_mov_b64 s[10:11], 0
	v_mov_b32_e32 v10, 0
	s_branch .LBB42_50
.LBB42_49:                              ;   in Loop: Header=BB42_50 Depth=1
	s_or_b64 exec, exec, s[14:15]
	s_waitcnt lgkmcnt(0)
	s_barrier
	ds_read_b32 v4, v6 offset:3084
	v_add_co_u32_e32 v9, vcc, 0x80, v9
	s_xor_b64 s[14:15], vcc, -1
	s_and_b64 s[14:15], exec, s[14:15]
	v_add_u32_e32 v8, 0x400, v8
	s_waitcnt lgkmcnt(0)
	v_add_u32_e32 v10, v4, v10
	s_or_b64 s[10:11], s[14:15], s[10:11]
	v_add_u32_e32 v1, 0x200, v1
	s_andn2_b64 exec, exec, s[10:11]
	s_cbranch_execz .LBB42_60
.LBB42_50:                              ; =>This Inner Loop Header: Depth=1
	ds_read_b32 v11, v1
	ds_read2_b32 v[4:5], v8 offset1:1
	s_waitcnt lgkmcnt(0)
	s_barrier
	v_cmp_gt_i32_e32 vcc, s33, v11
	s_bcnt1_i32_b64 s13, vcc
	s_nop 0
	v_and_b32_e32 v13, vcc_lo, v2
	v_and_b32_e32 v12, vcc_hi, v3
	v_bcnt_u32_b32 v13, v13, 0
	v_bcnt_u32_b32 v12, v12, v13
	v_mov_b32_e32 v13, s13
	ds_write_b32 v7, v13 offset:3072
	s_waitcnt lgkmcnt(0)
	s_barrier
	s_and_saveexec_b64 s[14:15], s[2:3]
	s_cbranch_execz .LBB42_55
; %bb.51:                               ;   in Loop: Header=BB42_50 Depth=1
	ds_read_b32 v13, v6 offset:3072
	s_waitcnt lgkmcnt(0)
	v_add_u32_e32 v12, v13, v12
	s_or_b64 exec, exec, s[14:15]
	s_and_saveexec_b64 s[14:15], s[4:5]
	s_cbranch_execnz .LBB42_56
.LBB42_52:                              ;   in Loop: Header=BB42_50 Depth=1
	s_or_b64 exec, exec, s[14:15]
	s_and_saveexec_b64 s[14:15], s[6:7]
	s_cbranch_execz .LBB42_57
.LBB42_53:                              ;   in Loop: Header=BB42_50 Depth=1
	ds_read_b32 v13, v6 offset:3080
	s_waitcnt lgkmcnt(0)
	v_add_u32_e32 v12, v13, v12
	s_or_b64 exec, exec, s[14:15]
	s_and_saveexec_b64 s[14:15], vcc
	s_cbranch_execnz .LBB42_58
.LBB42_54:                              ;   in Loop: Header=BB42_50 Depth=1
	s_or_b64 exec, exec, s[14:15]
	s_and_saveexec_b64 s[14:15], s[0:1]
	s_cbranch_execz .LBB42_49
	s_branch .LBB42_59
.LBB42_55:                              ;   in Loop: Header=BB42_50 Depth=1
	s_or_b64 exec, exec, s[14:15]
	s_and_saveexec_b64 s[14:15], s[4:5]
	s_cbranch_execz .LBB42_52
.LBB42_56:                              ;   in Loop: Header=BB42_50 Depth=1
	ds_read_b32 v13, v6 offset:3076
	s_waitcnt lgkmcnt(0)
	v_add_u32_e32 v12, v13, v12
	s_or_b64 exec, exec, s[14:15]
	s_and_saveexec_b64 s[14:15], s[6:7]
	s_cbranch_execnz .LBB42_53
.LBB42_57:                              ;   in Loop: Header=BB42_50 Depth=1
	s_or_b64 exec, exec, s[14:15]
	s_and_saveexec_b64 s[14:15], vcc
	s_cbranch_execz .LBB42_54
.LBB42_58:                              ;   in Loop: Header=BB42_50 Depth=1
	v_add3_u32 v13, v10, -1, v12
	v_lshl_add_u32 v13, v13, 2, 0
	v_add_u32_e32 v14, v10, v12
	v_lshl_add_u32 v14, v14, 3, 0
	ds_write_b32 v13, v11
	ds_write2_b32 v14, v4, v5 offset0:254 offset1:255
	s_or_b64 exec, exec, s[14:15]
	s_and_saveexec_b64 s[14:15], s[0:1]
	s_cbranch_execz .LBB42_49
.LBB42_59:                              ;   in Loop: Header=BB42_50 Depth=1
	ds_write_b32 v6, v12 offset:3084
	s_branch .LBB42_49
.LBB42_60:
	s_or_b64 exec, exec, s[8:9]
	s_ashr_i32 s13, s12, 31
	s_lshl_b64 s[0:1], s[12:13], 2
	s_add_u32 s2, s40, s0
	s_addc_u32 s3, s41, s1
	s_load_dwordx2 s[0:1], s[2:3], 0x0
	s_waitcnt lgkmcnt(0)
	s_sub_i32 s14, s1, s0
	v_cmp_gt_i32_e32 vcc, s14, v0
	s_and_saveexec_b64 s[2:3], vcc
	s_cbranch_execz .LBB42_74
; %bb.61:
	s_sub_i32 s8, s0, s26
	v_sub_co_u32_e64 v1, s[0:1], s14, 2
	s_nop 0
	v_readfirstlane_b32 s2, v1
	s_lshr_b32 s2, s2, 1
	s_add_i32 s2, s2, 1
	s_xor_b64 s[0:1], s[0:1], -1
	s_and_b32 s15, s14, -2
	s_and_b32 s3, s2, 7
	s_and_b32 s16, s2, -8
	s_cmp_lg_u32 s3, 0
	v_cmp_lt_u32_e32 vcc, 13, v1
	s_cselect_b64 s[4:5], -1, 0
	s_cmp_lg_u32 s14, s15
	v_cndmask_b32_e64 v1, 0, 1, vcc
	s_cselect_b64 s[10:11], -1, 0
	s_lshl_b32 s17, s3, 3
	v_cndmask_b32_e64 v2, 0, 1, s[0:1]
	v_cmp_ne_u32_e64 s[2:3], 1, v1
	v_cndmask_b32_e64 v1, 0, 1, s[4:5]
	s_mov_b32 s9, 0
	s_mov_b64 s[12:13], 0
	s_movk_i32 s18, 0x400
	v_cmp_ne_u32_e64 s[0:1], 1, v2
	v_cmp_ne_u32_e64 s[4:5], 1, v1
	s_branch .LBB42_63
.LBB42_62:                              ;   in Loop: Header=BB42_63 Depth=1
	v_add_u32_e32 v0, 0x80, v0
	v_ashrrev_i32_e32 v5, 31, v4
	v_cmp_le_i32_e32 vcc, s14, v0
	v_lshl_add_u64 v[4:5], v[4:5], 3, s[34:35]
	s_or_b64 s[12:13], vcc, s[12:13]
	s_waitcnt lgkmcnt(0)
	global_store_dwordx2 v[4:5], v[2:3], off
	s_andn2_b64 exec, exec, s[12:13]
	s_cbranch_execz .LBB42_74
.LBB42_63:                              ; =>This Loop Header: Depth=1
                                        ;     Child Loop BB42_66 Depth 2
                                        ;     Child Loop BB42_69 Depth 2
	;; [unrolled: 1-line block ×3, first 2 shown]
	v_lshlrev_b32_e32 v1, 2, v0
	v_add_u32_e32 v2, 0, v1
	v_add3_u32 v3, v2, v1, s18
	ds_read_b32 v1, v2
	ds_read2_b32 v[2:3], v3 offset1:1
	s_and_b64 vcc, exec, s[0:1]
	v_mov_b32_e32 v4, s8
	s_mov_b32 s19, 0
	s_mov_b64 s[6:7], -1
	s_cbranch_vccnz .LBB42_71
; %bb.64:                               ;   in Loop: Header=BB42_63 Depth=1
	s_and_b64 vcc, exec, s[2:3]
	v_mov_b64_e32 v[4:5], s[8:9]
	s_cbranch_vccnz .LBB42_67
; %bb.65:                               ;   in Loop: Header=BB42_63 Depth=1
	s_mov_b32 s20, 0
	v_mov_b32_e32 v4, s8
	v_mov_b32_e32 v5, 0
	s_mov_b32 s21, s16
.LBB42_66:                              ;   Parent Loop BB42_63 Depth=1
                                        ; =>  This Inner Loop Header: Depth=2
	v_mov_b32_e32 v20, s20
	ds_read2_b32 v[6:7], v20 offset1:1
	ds_read2_b32 v[8:9], v20 offset0:2 offset1:3
	ds_read2_b32 v[10:11], v20 offset0:4 offset1:5
	;; [unrolled: 1-line block ×7, first 2 shown]
	s_waitcnt lgkmcnt(7)
	v_cmp_gt_i32_e32 vcc, v1, v7
	s_waitcnt lgkmcnt(5)
	v_cmp_gt_i32_e64 s[6:7], v1, v10
	s_add_i32 s19, s19, 16
	v_cndmask_b32_e64 v7, 0, 1, vcc
	v_cmp_gt_i32_e32 vcc, v1, v6
	s_add_i32 s20, s20, 64
	s_add_i32 s21, s21, -8
	v_cndmask_b32_e64 v6, 0, 1, vcc
	v_cmp_gt_i32_e32 vcc, v1, v9
	v_cndmask_b32_e64 v9, 0, 1, s[6:7]
	v_cmp_gt_i32_e64 s[6:7], v1, v11
	v_addc_co_u32_e32 v5, vcc, v5, v7, vcc
	s_nop 0
	v_cndmask_b32_e64 v10, 0, 1, s[6:7]
	s_waitcnt lgkmcnt(3)
	v_cmp_gt_i32_e64 s[6:7], v1, v15
	v_cmp_gt_i32_e32 vcc, v1, v12
	s_cmp_lg_u32 s21, 0
	v_cndmask_b32_e64 v11, 0, 1, s[6:7]
	v_cmp_gt_i32_e64 s[6:7], v1, v14
	s_nop 1
	v_cndmask_b32_e64 v14, 0, 1, s[6:7]
	s_waitcnt lgkmcnt(1)
	v_cmp_gt_i32_e64 s[6:7], v1, v18
	s_nop 1
	v_cndmask_b32_e64 v15, 0, 1, s[6:7]
	v_cmp_gt_i32_e64 s[6:7], v1, v19
	s_nop 1
	v_cndmask_b32_e64 v18, 0, 1, s[6:7]
	v_cmp_gt_i32_e64 s[6:7], v1, v8
	s_nop 1
	v_addc_co_u32_e64 v4, s[6:7], v4, v6, s[6:7]
	v_cmp_gt_i32_e64 s[6:7], v1, v13
	v_addc_co_u32_e32 v4, vcc, v4, v9, vcc
	s_nop 0
	v_addc_co_u32_e64 v5, s[6:7], v5, v10, s[6:7]
	v_cmp_gt_i32_e32 vcc, v1, v17
	v_cmp_gt_i32_e64 s[6:7], v1, v16
	s_nop 0
	v_addc_co_u32_e32 v5, vcc, v5, v11, vcc
	v_addc_co_u32_e64 v4, s[6:7], v4, v14, s[6:7]
	s_waitcnt lgkmcnt(0)
	v_cmp_gt_i32_e32 vcc, v1, v20
	v_cmp_gt_i32_e64 s[6:7], v1, v21
	s_nop 0
	v_addc_co_u32_e32 v4, vcc, v4, v15, vcc
	v_addc_co_u32_e64 v5, s[6:7], v5, v18, s[6:7]
	s_cbranch_scc1 .LBB42_66
.LBB42_67:                              ;   in Loop: Header=BB42_63 Depth=1
	s_and_b64 vcc, exec, s[4:5]
	s_cbranch_vccnz .LBB42_70
; %bb.68:                               ;   in Loop: Header=BB42_63 Depth=1
	s_lshl_b32 s6, s19, 2
	s_add_i32 s6, s6, 0
	s_mov_b32 s7, s17
.LBB42_69:                              ;   Parent Loop BB42_63 Depth=1
                                        ; =>  This Inner Loop Header: Depth=2
	v_mov_b32_e32 v6, s6
	ds_read2_b32 v[6:7], v6 offset1:1
	s_add_i32 s6, s6, 8
	s_add_i32 s7, s7, -8
	s_cmp_lg_u32 s7, 0
	s_waitcnt lgkmcnt(0)
	v_cmp_gt_i32_e32 vcc, v1, v7
	s_nop 1
	v_addc_co_u32_e32 v5, vcc, 0, v5, vcc
	v_cmp_gt_i32_e32 vcc, v1, v6
	s_nop 1
	v_addc_co_u32_e32 v4, vcc, 0, v4, vcc
	s_cbranch_scc1 .LBB42_69
.LBB42_70:                              ;   in Loop: Header=BB42_63 Depth=1
	v_add_u32_e32 v4, v4, v5
	s_mov_b32 s19, s15
	s_mov_b64 s[6:7], s[10:11]
.LBB42_71:                              ;   in Loop: Header=BB42_63 Depth=1
	s_and_b64 vcc, exec, s[6:7]
	s_cbranch_vccz .LBB42_62
; %bb.72:                               ;   in Loop: Header=BB42_63 Depth=1
	s_lshl_b32 s6, s19, 2
	s_add_i32 s6, s6, 0
.LBB42_73:                              ;   Parent Loop BB42_63 Depth=1
                                        ; =>  This Inner Loop Header: Depth=2
	v_mov_b32_e32 v5, s6
	ds_read_b32 v5, v5
	s_add_i32 s19, s19, 1
	s_add_i32 s6, s6, 4
	s_cmp_ge_i32 s19, s14
	s_waitcnt lgkmcnt(0)
	v_cmp_gt_i32_e32 vcc, v1, v5
	s_nop 1
	v_addc_co_u32_e32 v4, vcc, 0, v4, vcc
	s_cbranch_scc0 .LBB42_73
	s_branch .LBB42_62
.LBB42_74:
	s_endpgm
	.section	.rodata,"a",@progbits
	.p2align	6, 0x0
	.amdhsa_kernel _ZN9rocsparseL41csrgemm_numeric_fill_block_per_row_kernelILj128ELj16ELj256ELj137ELj32Eii21rocsparse_complex_numIfEEEvT5_PKS3_S5_NS_24const_host_device_scalarIT6_EEPKT4_S5_PKS7_SB_S5_SD_S8_SB_S5_SD_SB_S5_PS7_21rocsparse_index_base_SF_SF_SF_bbb
		.amdhsa_group_segment_fixed_size 0
		.amdhsa_private_segment_fixed_size 0
		.amdhsa_kernarg_size 156
		.amdhsa_user_sgpr_count 2
		.amdhsa_user_sgpr_dispatch_ptr 0
		.amdhsa_user_sgpr_queue_ptr 0
		.amdhsa_user_sgpr_kernarg_segment_ptr 1
		.amdhsa_user_sgpr_dispatch_id 0
		.amdhsa_user_sgpr_kernarg_preload_length 0
		.amdhsa_user_sgpr_kernarg_preload_offset 0
		.amdhsa_user_sgpr_private_segment_size 0
		.amdhsa_uses_dynamic_stack 0
		.amdhsa_enable_private_segment 0
		.amdhsa_system_sgpr_workgroup_id_x 1
		.amdhsa_system_sgpr_workgroup_id_y 0
		.amdhsa_system_sgpr_workgroup_id_z 0
		.amdhsa_system_sgpr_workgroup_info 0
		.amdhsa_system_vgpr_workitem_id 0
		.amdhsa_next_free_vgpr 22
		.amdhsa_next_free_sgpr 55
		.amdhsa_accum_offset 24
		.amdhsa_reserve_vcc 1
		.amdhsa_float_round_mode_32 0
		.amdhsa_float_round_mode_16_64 0
		.amdhsa_float_denorm_mode_32 3
		.amdhsa_float_denorm_mode_16_64 3
		.amdhsa_dx10_clamp 1
		.amdhsa_ieee_mode 1
		.amdhsa_fp16_overflow 0
		.amdhsa_tg_split 0
		.amdhsa_exception_fp_ieee_invalid_op 0
		.amdhsa_exception_fp_denorm_src 0
		.amdhsa_exception_fp_ieee_div_zero 0
		.amdhsa_exception_fp_ieee_overflow 0
		.amdhsa_exception_fp_ieee_underflow 0
		.amdhsa_exception_fp_ieee_inexact 0
		.amdhsa_exception_int_div_zero 0
	.end_amdhsa_kernel
	.section	.text._ZN9rocsparseL41csrgemm_numeric_fill_block_per_row_kernelILj128ELj16ELj256ELj137ELj32Eii21rocsparse_complex_numIfEEEvT5_PKS3_S5_NS_24const_host_device_scalarIT6_EEPKT4_S5_PKS7_SB_S5_SD_S8_SB_S5_SD_SB_S5_PS7_21rocsparse_index_base_SF_SF_SF_bbb,"axG",@progbits,_ZN9rocsparseL41csrgemm_numeric_fill_block_per_row_kernelILj128ELj16ELj256ELj137ELj32Eii21rocsparse_complex_numIfEEEvT5_PKS3_S5_NS_24const_host_device_scalarIT6_EEPKT4_S5_PKS7_SB_S5_SD_S8_SB_S5_SD_SB_S5_PS7_21rocsparse_index_base_SF_SF_SF_bbb,comdat
.Lfunc_end42:
	.size	_ZN9rocsparseL41csrgemm_numeric_fill_block_per_row_kernelILj128ELj16ELj256ELj137ELj32Eii21rocsparse_complex_numIfEEEvT5_PKS3_S5_NS_24const_host_device_scalarIT6_EEPKT4_S5_PKS7_SB_S5_SD_S8_SB_S5_SD_SB_S5_PS7_21rocsparse_index_base_SF_SF_SF_bbb, .Lfunc_end42-_ZN9rocsparseL41csrgemm_numeric_fill_block_per_row_kernelILj128ELj16ELj256ELj137ELj32Eii21rocsparse_complex_numIfEEEvT5_PKS3_S5_NS_24const_host_device_scalarIT6_EEPKT4_S5_PKS7_SB_S5_SD_S8_SB_S5_SD_SB_S5_PS7_21rocsparse_index_base_SF_SF_SF_bbb
                                        ; -- End function
	.set _ZN9rocsparseL41csrgemm_numeric_fill_block_per_row_kernelILj128ELj16ELj256ELj137ELj32Eii21rocsparse_complex_numIfEEEvT5_PKS3_S5_NS_24const_host_device_scalarIT6_EEPKT4_S5_PKS7_SB_S5_SD_S8_SB_S5_SD_SB_S5_PS7_21rocsparse_index_base_SF_SF_SF_bbb.num_vgpr, 22
	.set _ZN9rocsparseL41csrgemm_numeric_fill_block_per_row_kernelILj128ELj16ELj256ELj137ELj32Eii21rocsparse_complex_numIfEEEvT5_PKS3_S5_NS_24const_host_device_scalarIT6_EEPKT4_S5_PKS7_SB_S5_SD_S8_SB_S5_SD_SB_S5_PS7_21rocsparse_index_base_SF_SF_SF_bbb.num_agpr, 0
	.set _ZN9rocsparseL41csrgemm_numeric_fill_block_per_row_kernelILj128ELj16ELj256ELj137ELj32Eii21rocsparse_complex_numIfEEEvT5_PKS3_S5_NS_24const_host_device_scalarIT6_EEPKT4_S5_PKS7_SB_S5_SD_S8_SB_S5_SD_SB_S5_PS7_21rocsparse_index_base_SF_SF_SF_bbb.numbered_sgpr, 55
	.set _ZN9rocsparseL41csrgemm_numeric_fill_block_per_row_kernelILj128ELj16ELj256ELj137ELj32Eii21rocsparse_complex_numIfEEEvT5_PKS3_S5_NS_24const_host_device_scalarIT6_EEPKT4_S5_PKS7_SB_S5_SD_S8_SB_S5_SD_SB_S5_PS7_21rocsparse_index_base_SF_SF_SF_bbb.num_named_barrier, 0
	.set _ZN9rocsparseL41csrgemm_numeric_fill_block_per_row_kernelILj128ELj16ELj256ELj137ELj32Eii21rocsparse_complex_numIfEEEvT5_PKS3_S5_NS_24const_host_device_scalarIT6_EEPKT4_S5_PKS7_SB_S5_SD_S8_SB_S5_SD_SB_S5_PS7_21rocsparse_index_base_SF_SF_SF_bbb.private_seg_size, 0
	.set _ZN9rocsparseL41csrgemm_numeric_fill_block_per_row_kernelILj128ELj16ELj256ELj137ELj32Eii21rocsparse_complex_numIfEEEvT5_PKS3_S5_NS_24const_host_device_scalarIT6_EEPKT4_S5_PKS7_SB_S5_SD_S8_SB_S5_SD_SB_S5_PS7_21rocsparse_index_base_SF_SF_SF_bbb.uses_vcc, 1
	.set _ZN9rocsparseL41csrgemm_numeric_fill_block_per_row_kernelILj128ELj16ELj256ELj137ELj32Eii21rocsparse_complex_numIfEEEvT5_PKS3_S5_NS_24const_host_device_scalarIT6_EEPKT4_S5_PKS7_SB_S5_SD_S8_SB_S5_SD_SB_S5_PS7_21rocsparse_index_base_SF_SF_SF_bbb.uses_flat_scratch, 0
	.set _ZN9rocsparseL41csrgemm_numeric_fill_block_per_row_kernelILj128ELj16ELj256ELj137ELj32Eii21rocsparse_complex_numIfEEEvT5_PKS3_S5_NS_24const_host_device_scalarIT6_EEPKT4_S5_PKS7_SB_S5_SD_S8_SB_S5_SD_SB_S5_PS7_21rocsparse_index_base_SF_SF_SF_bbb.has_dyn_sized_stack, 0
	.set _ZN9rocsparseL41csrgemm_numeric_fill_block_per_row_kernelILj128ELj16ELj256ELj137ELj32Eii21rocsparse_complex_numIfEEEvT5_PKS3_S5_NS_24const_host_device_scalarIT6_EEPKT4_S5_PKS7_SB_S5_SD_S8_SB_S5_SD_SB_S5_PS7_21rocsparse_index_base_SF_SF_SF_bbb.has_recursion, 0
	.set _ZN9rocsparseL41csrgemm_numeric_fill_block_per_row_kernelILj128ELj16ELj256ELj137ELj32Eii21rocsparse_complex_numIfEEEvT5_PKS3_S5_NS_24const_host_device_scalarIT6_EEPKT4_S5_PKS7_SB_S5_SD_S8_SB_S5_SD_SB_S5_PS7_21rocsparse_index_base_SF_SF_SF_bbb.has_indirect_call, 0
	.section	.AMDGPU.csdata,"",@progbits
; Kernel info:
; codeLenInByte = 2736
; TotalNumSgprs: 61
; NumVgprs: 22
; NumAgprs: 0
; TotalNumVgprs: 22
; ScratchSize: 0
; MemoryBound: 0
; FloatMode: 240
; IeeeMode: 1
; LDSByteSize: 0 bytes/workgroup (compile time only)
; SGPRBlocks: 7
; VGPRBlocks: 2
; NumSGPRsForWavesPerEU: 61
; NumVGPRsForWavesPerEU: 22
; AccumOffset: 24
; Occupancy: 8
; WaveLimiterHint : 1
; COMPUTE_PGM_RSRC2:SCRATCH_EN: 0
; COMPUTE_PGM_RSRC2:USER_SGPR: 2
; COMPUTE_PGM_RSRC2:TRAP_HANDLER: 0
; COMPUTE_PGM_RSRC2:TGID_X_EN: 1
; COMPUTE_PGM_RSRC2:TGID_Y_EN: 0
; COMPUTE_PGM_RSRC2:TGID_Z_EN: 0
; COMPUTE_PGM_RSRC2:TIDIG_COMP_CNT: 0
; COMPUTE_PGM_RSRC3_GFX90A:ACCUM_OFFSET: 5
; COMPUTE_PGM_RSRC3_GFX90A:TG_SPLIT: 0
	.section	.text._ZN9rocsparseL41csrgemm_numeric_fill_block_per_row_kernelILj128ELj16ELj256ELj137ELj64Eii21rocsparse_complex_numIfEEEvT5_PKS3_S5_NS_24const_host_device_scalarIT6_EEPKT4_S5_PKS7_SB_S5_SD_S8_SB_S5_SD_SB_S5_PS7_21rocsparse_index_base_SF_SF_SF_bbb,"axG",@progbits,_ZN9rocsparseL41csrgemm_numeric_fill_block_per_row_kernelILj128ELj16ELj256ELj137ELj64Eii21rocsparse_complex_numIfEEEvT5_PKS3_S5_NS_24const_host_device_scalarIT6_EEPKT4_S5_PKS7_SB_S5_SD_S8_SB_S5_SD_SB_S5_PS7_21rocsparse_index_base_SF_SF_SF_bbb,comdat
	.globl	_ZN9rocsparseL41csrgemm_numeric_fill_block_per_row_kernelILj128ELj16ELj256ELj137ELj64Eii21rocsparse_complex_numIfEEEvT5_PKS3_S5_NS_24const_host_device_scalarIT6_EEPKT4_S5_PKS7_SB_S5_SD_S8_SB_S5_SD_SB_S5_PS7_21rocsparse_index_base_SF_SF_SF_bbb ; -- Begin function _ZN9rocsparseL41csrgemm_numeric_fill_block_per_row_kernelILj128ELj16ELj256ELj137ELj64Eii21rocsparse_complex_numIfEEEvT5_PKS3_S5_NS_24const_host_device_scalarIT6_EEPKT4_S5_PKS7_SB_S5_SD_S8_SB_S5_SD_SB_S5_PS7_21rocsparse_index_base_SF_SF_SF_bbb
	.p2align	8
	.type	_ZN9rocsparseL41csrgemm_numeric_fill_block_per_row_kernelILj128ELj16ELj256ELj137ELj64Eii21rocsparse_complex_numIfEEEvT5_PKS3_S5_NS_24const_host_device_scalarIT6_EEPKT4_S5_PKS7_SB_S5_SD_S8_SB_S5_SD_SB_S5_PS7_21rocsparse_index_base_SF_SF_SF_bbb,@function
_ZN9rocsparseL41csrgemm_numeric_fill_block_per_row_kernelILj128ELj16ELj256ELj137ELj64Eii21rocsparse_complex_numIfEEEvT5_PKS3_S5_NS_24const_host_device_scalarIT6_EEPKT4_S5_PKS7_SB_S5_SD_S8_SB_S5_SD_SB_S5_PS7_21rocsparse_index_base_SF_SF_SF_bbb: ; @_ZN9rocsparseL41csrgemm_numeric_fill_block_per_row_kernelILj128ELj16ELj256ELj137ELj64Eii21rocsparse_complex_numIfEEEvT5_PKS3_S5_NS_24const_host_device_scalarIT6_EEPKT4_S5_PKS7_SB_S5_SD_S8_SB_S5_SD_SB_S5_PS7_21rocsparse_index_base_SF_SF_SF_bbb
; %bb.0:
	s_load_dwordx2 s[6:7], s[0:1], 0x70
	s_load_dwordx4 s[28:31], s[0:1], 0x60
	s_load_dwordx8 s[8:15], s[0:1], 0x40
	s_load_dword s3, s[0:1], 0x98
	s_load_dwordx4 s[36:39], s[0:1], 0x8
	s_load_dwordx8 s[16:23], s[0:1], 0x20
	s_load_dwordx2 s[34:35], s[0:1], 0x80
	s_load_dwordx4 s[24:27], s[0:1], 0x88
	s_waitcnt lgkmcnt(0)
	s_bitcmp1_b32 s3, 0
	s_cselect_b64 s[44:45], -1, 0
	s_bitcmp1_b32 s3, 16
	s_cselect_b64 s[4:5], -1, 0
	s_xor_b64 s[4:5], s[4:5], -1
	v_cndmask_b32_e64 v1, 0, 1, s[4:5]
	s_mov_b32 s41, 0
	s_bitcmp0_b32 s3, 0
	v_cmp_ne_u32_e64 s[4:5], 1, v1
	s_mov_b32 s53, 0
	s_cbranch_scc1 .LBB43_5
; %bb.1:
	s_load_dwordx2 s[40:41], s[0:1], 0x18
	s_and_b64 vcc, exec, s[4:5]
	s_waitcnt lgkmcnt(0)
	s_mov_b32 s53, s40
	s_cbranch_vccnz .LBB43_3
; %bb.2:
	s_load_dword s53, s[40:41], 0x0
.LBB43_3:
	s_and_b64 vcc, exec, s[4:5]
	s_cbranch_vccnz .LBB43_5
; %bb.4:
	s_load_dword s41, s[40:41], 0x4
.LBB43_5:
	s_bitcmp1_b32 s3, 8
	s_cselect_b64 s[42:43], -1, 0
	s_bfe_u32 s3, s3, 0x10008
	s_mov_b32 s40, 0
	s_cmp_eq_u32 s3, 0
	s_mov_b32 s52, 0
	s_cbranch_scc1 .LBB43_11
; %bb.6:
	s_and_b64 vcc, exec, s[4:5]
	s_mov_b32 s40, s12
	s_cbranch_vccnz .LBB43_8
; %bb.7:
	s_load_dword s40, s[12:13], 0x0
.LBB43_8:
	s_and_b64 vcc, exec, s[4:5]
	s_cbranch_vccnz .LBB43_10
; %bb.9:
	s_load_dword s13, s[12:13], 0x4
.LBB43_10:
	s_waitcnt lgkmcnt(0)
	s_mov_b32 s52, s13
.LBB43_11:
	s_load_dword s33, s[0:1], 0x0
	s_movk_i32 s0, 0x100
	v_cmp_gt_u32_e64 s[0:1], s0, v0
	v_lshl_add_u32 v8, v0, 3, 0
	v_lshl_add_u32 v1, v0, 2, 0
	s_and_saveexec_b64 s[4:5], s[0:1]
	s_cbranch_execz .LBB43_14
; %bb.12:
	v_add_u32_e32 v2, 0x400, v8
	v_or_b32_e32 v3, 0xffffff80, v0
	v_lshl_add_u32 v4, v0, 2, 0
	s_mov_b64 s[12:13], 0
	s_waitcnt lgkmcnt(0)
	v_mov_b32_e32 v6, s33
	v_mov_b32_e32 v5, 0
.LBB43_13:                              ; =>This Inner Loop Header: Depth=1
	v_add_co_u32_e32 v3, vcc, 0x80, v3
	s_xor_b64 s[46:47], vcc, -1
	s_and_b64 s[46:47], exec, s[46:47]
	ds_write_b32 v4, v6
	ds_write2_b32 v2, v5, v5 offset1:1
	v_add_u32_e32 v2, 0x400, v2
	s_or_b64 s[12:13], s[46:47], s[12:13]
	v_add_u32_e32 v4, 0x200, v4
	s_andn2_b64 exec, exec, s[12:13]
	s_cbranch_execnz .LBB43_13
.LBB43_14:
	s_or_b64 exec, exec, s[4:5]
	s_waitcnt lgkmcnt(0)
	s_barrier
	s_load_dword s3, s[36:37], 0x0
	v_lshrrev_b32_e32 v9, 4, v0
	s_waitcnt lgkmcnt(0)
	s_add_i32 s2, s3, s2
	s_mov_b32 s3, 0
	s_lshl_b64 s[2:3], s[2:3], 2
	s_add_u32 s2, s38, s2
	s_addc_u32 s3, s39, s3
	s_load_dword s4, s[2:3], 0x0
	s_and_b64 vcc, exec, s[44:45]
	s_cbranch_vccz .LBB43_32
; %bb.15:
	s_waitcnt lgkmcnt(0)
	s_ashr_i32 s5, s4, 31
	s_lshl_b64 s[2:3], s[4:5], 2
	s_add_u32 s2, s16, s2
	s_addc_u32 s3, s17, s3
	s_load_dwordx2 s[12:13], s[2:3], 0x0
	v_subrev_u32_e32 v2, s24, v9
	s_waitcnt lgkmcnt(0)
	s_sub_i32 s5, s13, s24
	v_add_u32_e32 v2, s12, v2
	v_cmp_gt_i32_e32 vcc, s5, v2
	s_and_saveexec_b64 s[2:3], vcc
	s_cbranch_execz .LBB43_31
; %bb.16:
	v_and_b32_e32 v3, 15, v0
	v_subrev_u32_e32 v10, s25, v3
	s_mov_b64 s[12:13], 0
	s_movk_i32 s54, 0x89
	s_branch .LBB43_18
.LBB43_17:                              ;   in Loop: Header=BB43_18 Depth=1
	s_or_b64 exec, exec, s[16:17]
	v_add_u32_e32 v2, 8, v2
	v_cmp_le_i32_e32 vcc, s5, v2
	s_or_b64 s[12:13], vcc, s[12:13]
	s_andn2_b64 exec, exec, s[12:13]
	s_cbranch_execz .LBB43_31
.LBB43_18:                              ; =>This Loop Header: Depth=1
                                        ;     Child Loop BB43_22 Depth 2
                                        ;       Child Loop BB43_25 Depth 3
	v_ashrrev_i32_e32 v3, 31, v2
	v_lshl_add_u64 v[4:5], v[2:3], 2, s[18:19]
	global_load_dword v4, v[4:5], off
	s_waitcnt vmcnt(0)
	v_subrev_u32_e32 v4, s24, v4
	v_ashrrev_i32_e32 v5, 31, v4
	v_lshl_add_u64 v[4:5], v[4:5], 2, s[22:23]
	global_load_dwordx2 v[4:5], v[4:5], off
	s_waitcnt vmcnt(0)
	v_subrev_u32_e32 v11, s25, v5
	v_add_u32_e32 v4, v4, v10
	v_cmp_lt_i32_e32 vcc, v4, v11
	s_and_saveexec_b64 s[16:17], vcc
	s_cbranch_execz .LBB43_17
; %bb.19:                               ;   in Loop: Header=BB43_18 Depth=1
	v_lshl_add_u64 v[6:7], v[2:3], 3, s[20:21]
	global_load_dwordx2 v[6:7], v[6:7], off
	s_mov_b64 s[36:37], 0
	s_waitcnt vmcnt(0)
	v_mul_f32_e64 v3, v7, -s41
	v_mul_f32_e32 v12, s53, v7
	v_fmac_f32_e32 v3, s53, v6
	v_fmac_f32_e32 v12, s41, v6
	s_branch .LBB43_22
.LBB43_20:                              ;   in Loop: Header=BB43_22 Depth=2
	s_or_b64 exec, exec, s[44:45]
.LBB43_21:                              ;   in Loop: Header=BB43_22 Depth=2
	s_or_b64 exec, exec, s[38:39]
	s_waitcnt vmcnt(0)
	v_mul_f32_e64 v13, v7, -v12
	v_fmac_f32_e32 v13, v3, v6
	v_mul_f32_e32 v7, v3, v7
	v_lshl_add_u32 v5, v5, 3, 0
	v_fmac_f32_e32 v7, v12, v6
	ds_add_f32 v5, v13 offset:1024
	ds_add_f32 v5, v7 offset:1028
	v_add_u32_e32 v4, 16, v4
	v_cmp_ge_i32_e32 vcc, v4, v11
	s_or_b64 s[36:37], vcc, s[36:37]
	s_andn2_b64 exec, exec, s[36:37]
	s_cbranch_execz .LBB43_17
.LBB43_22:                              ;   Parent Loop BB43_18 Depth=1
                                        ; =>  This Loop Header: Depth=2
                                        ;       Child Loop BB43_25 Depth 3
	v_ashrrev_i32_e32 v5, 31, v4
	v_lshl_add_u64 v[6:7], v[4:5], 2, s[8:9]
	global_load_dword v13, v[6:7], off
	v_lshl_add_u64 v[6:7], v[4:5], 3, s[10:11]
	global_load_dwordx2 v[6:7], v[6:7], off
	s_waitcnt vmcnt(1)
	v_subrev_u32_e32 v13, s25, v13
	v_mul_lo_u32 v5, v13, s54
	v_and_b32_e32 v5, 0xff, v5
	v_lshl_add_u32 v14, v5, 2, 0
	ds_read_b32 v15, v14
	s_waitcnt lgkmcnt(0)
	v_cmp_ne_u32_e32 vcc, v15, v13
	s_and_saveexec_b64 s[38:39], vcc
	s_cbranch_execz .LBB43_21
; %bb.23:                               ;   in Loop: Header=BB43_22 Depth=2
	s_mov_b64 s[44:45], 0
	s_branch .LBB43_25
.LBB43_24:                              ;   in Loop: Header=BB43_25 Depth=3
	s_or_b64 exec, exec, s[50:51]
	s_and_b64 s[46:47], exec, s[48:49]
	s_or_b64 s[44:45], s[46:47], s[44:45]
	s_andn2_b64 exec, exec, s[44:45]
	s_cbranch_execz .LBB43_20
.LBB43_25:                              ;   Parent Loop BB43_18 Depth=1
                                        ;     Parent Loop BB43_22 Depth=2
                                        ; =>    This Inner Loop Header: Depth=3
	v_cmp_ne_u32_e32 vcc, s33, v15
	s_mov_b64 s[46:47], 0
	s_and_saveexec_b64 s[48:49], vcc
	s_xor_b64 s[48:49], exec, s[48:49]
	s_cbranch_execz .LBB43_27
; %bb.26:                               ;   in Loop: Header=BB43_25 Depth=3
	v_add_u32_e32 v5, 1, v5
	s_mov_b64 s[46:47], exec
	v_and_b32_e32 v5, 0xff, v5
                                        ; implicit-def: $vgpr14
	s_andn2_saveexec_b64 s[48:49], s[48:49]
	s_cbranch_execz .LBB43_29
	s_branch .LBB43_28
.LBB43_27:                              ;   in Loop: Header=BB43_25 Depth=3
	s_andn2_saveexec_b64 s[48:49], s[48:49]
	s_cbranch_execz .LBB43_29
.LBB43_28:                              ;   in Loop: Header=BB43_25 Depth=3
	v_mov_b32_e32 v15, s33
	ds_cmpst_rtn_b32 v14, v14, v15, v13
	s_andn2_b64 s[46:47], s[46:47], exec
	s_waitcnt lgkmcnt(0)
	v_cmp_ne_u32_e32 vcc, s33, v14
	s_and_b64 s[50:51], vcc, exec
	s_or_b64 s[46:47], s[46:47], s[50:51]
.LBB43_29:                              ;   in Loop: Header=BB43_25 Depth=3
	s_or_b64 exec, exec, s[48:49]
	s_mov_b64 s[48:49], -1
                                        ; implicit-def: $vgpr14
                                        ; implicit-def: $vgpr15
	s_and_saveexec_b64 s[50:51], s[46:47]
	s_cbranch_execz .LBB43_24
; %bb.30:                               ;   in Loop: Header=BB43_25 Depth=3
	v_lshl_add_u32 v14, v5, 2, 0
	ds_read_b32 v15, v14
	s_waitcnt lgkmcnt(0)
	v_cmp_eq_u32_e32 vcc, v15, v13
	s_orn2_b64 s[48:49], vcc, exec
	s_branch .LBB43_24
.LBB43_31:
	s_or_b64 exec, exec, s[2:3]
.LBB43_32:
	s_andn2_b64 vcc, exec, s[42:43]
	s_cbranch_vccnz .LBB43_47
; %bb.33:
	s_waitcnt lgkmcnt(0)
	s_ashr_i32 s5, s4, 31
	s_lshl_b64 s[2:3], s[4:5], 2
	s_add_u32 s2, s14, s2
	s_addc_u32 s3, s15, s3
	s_load_dwordx2 s[8:9], s[2:3], 0x0
	v_subrev_u32_e32 v2, s27, v0
	s_waitcnt lgkmcnt(0)
	s_sub_i32 s5, s9, s27
	v_add_u32_e32 v2, s8, v2
	v_cmp_gt_i32_e32 vcc, s5, v2
	s_and_saveexec_b64 s[2:3], vcc
	s_cbranch_execz .LBB43_46
; %bb.34:
	s_mov_b64 s[8:9], 0
	s_movk_i32 s20, 0x89
	s_branch .LBB43_37
.LBB43_35:                              ;   in Loop: Header=BB43_37 Depth=1
	s_or_b64 exec, exec, s[12:13]
.LBB43_36:                              ;   in Loop: Header=BB43_37 Depth=1
	s_or_b64 exec, exec, s[10:11]
	s_waitcnt vmcnt(0)
	v_mul_f32_e64 v6, v5, -s52
	v_fmac_f32_e32 v6, s40, v4
	v_mul_f32_e32 v5, s40, v5
	v_lshl_add_u32 v3, v3, 3, 0
	v_fmac_f32_e32 v5, s52, v4
	ds_add_f32 v3, v6 offset:1024
	ds_add_f32 v3, v5 offset:1028
	v_add_u32_e32 v2, 0x80, v2
	v_cmp_le_i32_e32 vcc, s5, v2
	s_or_b64 s[8:9], vcc, s[8:9]
	s_andn2_b64 exec, exec, s[8:9]
	s_cbranch_execz .LBB43_46
.LBB43_37:                              ; =>This Loop Header: Depth=1
                                        ;     Child Loop BB43_40 Depth 2
	v_ashrrev_i32_e32 v3, 31, v2
	v_lshl_add_u64 v[4:5], v[2:3], 2, s[28:29]
	global_load_dword v6, v[4:5], off
	v_lshl_add_u64 v[4:5], v[2:3], 3, s[30:31]
	global_load_dwordx2 v[4:5], v[4:5], off
	s_waitcnt vmcnt(1)
	v_subrev_u32_e32 v6, s27, v6
	v_mul_lo_u32 v3, v6, s20
	v_and_b32_e32 v3, 0xff, v3
	v_lshl_add_u32 v7, v3, 2, 0
	ds_read_b32 v10, v7
	s_waitcnt lgkmcnt(0)
	v_cmp_ne_u32_e32 vcc, v10, v6
	s_and_saveexec_b64 s[10:11], vcc
	s_cbranch_execz .LBB43_36
; %bb.38:                               ;   in Loop: Header=BB43_37 Depth=1
	s_mov_b64 s[12:13], 0
	s_branch .LBB43_40
.LBB43_39:                              ;   in Loop: Header=BB43_40 Depth=2
	s_or_b64 exec, exec, s[18:19]
	s_and_b64 s[14:15], exec, s[16:17]
	s_or_b64 s[12:13], s[14:15], s[12:13]
	s_andn2_b64 exec, exec, s[12:13]
	s_cbranch_execz .LBB43_35
.LBB43_40:                              ;   Parent Loop BB43_37 Depth=1
                                        ; =>  This Inner Loop Header: Depth=2
	v_cmp_ne_u32_e32 vcc, s33, v10
	s_mov_b64 s[14:15], 0
	s_and_saveexec_b64 s[16:17], vcc
	s_xor_b64 s[16:17], exec, s[16:17]
	s_cbranch_execz .LBB43_42
; %bb.41:                               ;   in Loop: Header=BB43_40 Depth=2
	v_add_u32_e32 v3, 1, v3
	s_mov_b64 s[14:15], exec
	v_and_b32_e32 v3, 0xff, v3
                                        ; implicit-def: $vgpr7
	s_andn2_saveexec_b64 s[16:17], s[16:17]
	s_cbranch_execz .LBB43_44
	s_branch .LBB43_43
.LBB43_42:                              ;   in Loop: Header=BB43_40 Depth=2
	s_andn2_saveexec_b64 s[16:17], s[16:17]
	s_cbranch_execz .LBB43_44
.LBB43_43:                              ;   in Loop: Header=BB43_40 Depth=2
	v_mov_b32_e32 v10, s33
	ds_cmpst_rtn_b32 v7, v7, v10, v6
	s_andn2_b64 s[14:15], s[14:15], exec
	s_waitcnt lgkmcnt(0)
	v_cmp_ne_u32_e32 vcc, s33, v7
	s_and_b64 s[18:19], vcc, exec
	s_or_b64 s[14:15], s[14:15], s[18:19]
.LBB43_44:                              ;   in Loop: Header=BB43_40 Depth=2
	s_or_b64 exec, exec, s[16:17]
	s_mov_b64 s[16:17], -1
                                        ; implicit-def: $vgpr7
                                        ; implicit-def: $vgpr10
	s_and_saveexec_b64 s[18:19], s[14:15]
	s_cbranch_execz .LBB43_39
; %bb.45:                               ;   in Loop: Header=BB43_40 Depth=2
	v_lshl_add_u32 v7, v3, 2, 0
	ds_read_b32 v10, v7
	s_waitcnt lgkmcnt(0)
	v_cmp_eq_u32_e32 vcc, v10, v6
	s_orn2_b64 s[16:17], vcc, exec
	s_branch .LBB43_39
.LBB43_46:
	s_or_b64 exec, exec, s[2:3]
.LBB43_47:
	s_waitcnt lgkmcnt(0)
	s_barrier
	s_and_saveexec_b64 s[8:9], s[0:1]
	s_cbranch_execz .LBB43_56
; %bb.48:
	v_mbcnt_lo_u32_b32 v2, -1, 0
	v_mbcnt_hi_u32_b32 v2, -1, v2
	v_sub_u32_e32 v2, 63, v2
	v_and_b32_e32 v4, 4, v9
	s_movk_i32 s2, 0x7f
	v_mov_b32_e32 v6, 0
	v_lshrrev_b64 v[2:3], v2, -1
	v_add_u32_e32 v7, 0, v4
	v_cmp_lt_u32_e64 s[0:1], 63, v0
	v_cmp_eq_u32_e64 s[2:3], s2, v0
	v_add_u32_e32 v8, 0x400, v8
	v_or_b32_e32 v9, 0xffffff80, v0
	s_mov_b64 s[10:11], 0
	v_mov_b32_e32 v10, 0
	s_branch .LBB43_50
.LBB43_49:                              ;   in Loop: Header=BB43_50 Depth=1
	s_or_b64 exec, exec, s[12:13]
	s_waitcnt lgkmcnt(0)
	s_barrier
	ds_read_b32 v4, v6 offset:3076
	v_add_co_u32_e32 v9, vcc, 0x80, v9
	s_xor_b64 s[12:13], vcc, -1
	s_and_b64 s[12:13], exec, s[12:13]
	v_add_u32_e32 v8, 0x400, v8
	s_waitcnt lgkmcnt(0)
	v_add_u32_e32 v10, v4, v10
	s_or_b64 s[10:11], s[12:13], s[10:11]
	v_add_u32_e32 v1, 0x200, v1
	s_andn2_b64 exec, exec, s[10:11]
	s_cbranch_execz .LBB43_56
.LBB43_50:                              ; =>This Inner Loop Header: Depth=1
	ds_read_b32 v11, v1
	ds_read2_b32 v[4:5], v8 offset1:1
	s_waitcnt lgkmcnt(0)
	s_barrier
	v_cmp_gt_i32_e32 vcc, s33, v11
	s_bcnt1_i32_b64 s5, vcc
	s_nop 0
	v_and_b32_e32 v13, vcc_lo, v2
	v_and_b32_e32 v12, vcc_hi, v3
	v_bcnt_u32_b32 v13, v13, 0
	v_bcnt_u32_b32 v12, v12, v13
	v_mov_b32_e32 v13, s5
	ds_write_b32 v7, v13 offset:3072
	s_waitcnt lgkmcnt(0)
	s_barrier
	s_and_saveexec_b64 s[12:13], s[0:1]
	s_cbranch_execz .LBB43_53
; %bb.51:                               ;   in Loop: Header=BB43_50 Depth=1
	ds_read_b32 v13, v6 offset:3072
	s_waitcnt lgkmcnt(0)
	v_add_u32_e32 v12, v13, v12
	s_or_b64 exec, exec, s[12:13]
	s_and_saveexec_b64 s[12:13], vcc
	s_cbranch_execnz .LBB43_54
.LBB43_52:                              ;   in Loop: Header=BB43_50 Depth=1
	s_or_b64 exec, exec, s[12:13]
	s_and_saveexec_b64 s[12:13], s[2:3]
	s_cbranch_execz .LBB43_49
	s_branch .LBB43_55
.LBB43_53:                              ;   in Loop: Header=BB43_50 Depth=1
	s_or_b64 exec, exec, s[12:13]
	s_and_saveexec_b64 s[12:13], vcc
	s_cbranch_execz .LBB43_52
.LBB43_54:                              ;   in Loop: Header=BB43_50 Depth=1
	v_add3_u32 v13, v10, -1, v12
	v_lshl_add_u32 v13, v13, 2, 0
	v_add_u32_e32 v14, v10, v12
	v_lshl_add_u32 v14, v14, 3, 0
	ds_write_b32 v13, v11
	ds_write2_b32 v14, v4, v5 offset0:254 offset1:255
	s_or_b64 exec, exec, s[12:13]
	s_and_saveexec_b64 s[12:13], s[2:3]
	s_cbranch_execz .LBB43_49
.LBB43_55:                              ;   in Loop: Header=BB43_50 Depth=1
	ds_write_b32 v6, v12 offset:3076
	s_branch .LBB43_49
.LBB43_56:
	s_or_b64 exec, exec, s[8:9]
	s_ashr_i32 s5, s4, 31
	s_lshl_b64 s[0:1], s[4:5], 2
	s_add_u32 s2, s6, s0
	s_addc_u32 s3, s7, s1
	s_load_dwordx2 s[0:1], s[2:3], 0x0
	s_waitcnt lgkmcnt(0)
	s_sub_i32 s14, s1, s0
	v_cmp_gt_i32_e32 vcc, s14, v0
	s_and_saveexec_b64 s[2:3], vcc
	s_cbranch_execz .LBB43_70
; %bb.57:
	s_sub_i32 s8, s0, s26
	v_sub_co_u32_e64 v1, s[0:1], s14, 2
	s_nop 0
	v_readfirstlane_b32 s2, v1
	s_lshr_b32 s2, s2, 1
	s_add_i32 s2, s2, 1
	s_xor_b64 s[0:1], s[0:1], -1
	s_and_b32 s15, s14, -2
	s_and_b32 s3, s2, 7
	s_and_b32 s16, s2, -8
	s_cmp_lg_u32 s3, 0
	v_cmp_lt_u32_e32 vcc, 13, v1
	s_cselect_b64 s[4:5], -1, 0
	s_cmp_lg_u32 s14, s15
	v_cndmask_b32_e64 v1, 0, 1, vcc
	s_cselect_b64 s[10:11], -1, 0
	s_lshl_b32 s17, s3, 3
	v_cndmask_b32_e64 v2, 0, 1, s[0:1]
	v_cmp_ne_u32_e64 s[2:3], 1, v1
	v_cndmask_b32_e64 v1, 0, 1, s[4:5]
	s_mov_b32 s9, 0
	s_mov_b64 s[12:13], 0
	s_movk_i32 s18, 0x400
	v_cmp_ne_u32_e64 s[0:1], 1, v2
	v_cmp_ne_u32_e64 s[4:5], 1, v1
	s_branch .LBB43_59
.LBB43_58:                              ;   in Loop: Header=BB43_59 Depth=1
	v_add_u32_e32 v0, 0x80, v0
	v_ashrrev_i32_e32 v5, 31, v4
	v_cmp_le_i32_e32 vcc, s14, v0
	v_lshl_add_u64 v[4:5], v[4:5], 3, s[34:35]
	s_or_b64 s[12:13], vcc, s[12:13]
	s_waitcnt lgkmcnt(0)
	global_store_dwordx2 v[4:5], v[2:3], off
	s_andn2_b64 exec, exec, s[12:13]
	s_cbranch_execz .LBB43_70
.LBB43_59:                              ; =>This Loop Header: Depth=1
                                        ;     Child Loop BB43_62 Depth 2
                                        ;     Child Loop BB43_65 Depth 2
	;; [unrolled: 1-line block ×3, first 2 shown]
	v_lshlrev_b32_e32 v1, 2, v0
	v_add_u32_e32 v2, 0, v1
	v_add3_u32 v3, v2, v1, s18
	ds_read_b32 v1, v2
	ds_read2_b32 v[2:3], v3 offset1:1
	s_and_b64 vcc, exec, s[0:1]
	v_mov_b32_e32 v4, s8
	s_mov_b32 s19, 0
	s_mov_b64 s[6:7], -1
	s_cbranch_vccnz .LBB43_67
; %bb.60:                               ;   in Loop: Header=BB43_59 Depth=1
	s_and_b64 vcc, exec, s[2:3]
	v_mov_b64_e32 v[4:5], s[8:9]
	s_cbranch_vccnz .LBB43_63
; %bb.61:                               ;   in Loop: Header=BB43_59 Depth=1
	s_mov_b32 s20, 0
	v_mov_b32_e32 v4, s8
	v_mov_b32_e32 v5, 0
	s_mov_b32 s21, s16
.LBB43_62:                              ;   Parent Loop BB43_59 Depth=1
                                        ; =>  This Inner Loop Header: Depth=2
	v_mov_b32_e32 v20, s20
	ds_read2_b32 v[6:7], v20 offset1:1
	ds_read2_b32 v[8:9], v20 offset0:2 offset1:3
	ds_read2_b32 v[10:11], v20 offset0:4 offset1:5
	ds_read2_b32 v[12:13], v20 offset0:6 offset1:7
	ds_read2_b32 v[14:15], v20 offset0:8 offset1:9
	ds_read2_b32 v[16:17], v20 offset0:10 offset1:11
	ds_read2_b32 v[18:19], v20 offset0:12 offset1:13
	ds_read2_b32 v[20:21], v20 offset0:14 offset1:15
	s_waitcnt lgkmcnt(7)
	v_cmp_gt_i32_e32 vcc, v1, v7
	s_waitcnt lgkmcnt(5)
	v_cmp_gt_i32_e64 s[6:7], v1, v10
	s_add_i32 s19, s19, 16
	v_cndmask_b32_e64 v7, 0, 1, vcc
	v_cmp_gt_i32_e32 vcc, v1, v6
	s_add_i32 s20, s20, 64
	s_add_i32 s21, s21, -8
	v_cndmask_b32_e64 v6, 0, 1, vcc
	v_cmp_gt_i32_e32 vcc, v1, v9
	v_cndmask_b32_e64 v9, 0, 1, s[6:7]
	v_cmp_gt_i32_e64 s[6:7], v1, v11
	v_addc_co_u32_e32 v5, vcc, v5, v7, vcc
	s_nop 0
	v_cndmask_b32_e64 v10, 0, 1, s[6:7]
	s_waitcnt lgkmcnt(3)
	v_cmp_gt_i32_e64 s[6:7], v1, v15
	v_cmp_gt_i32_e32 vcc, v1, v12
	s_cmp_lg_u32 s21, 0
	v_cndmask_b32_e64 v11, 0, 1, s[6:7]
	v_cmp_gt_i32_e64 s[6:7], v1, v14
	s_nop 1
	v_cndmask_b32_e64 v14, 0, 1, s[6:7]
	s_waitcnt lgkmcnt(1)
	v_cmp_gt_i32_e64 s[6:7], v1, v18
	s_nop 1
	v_cndmask_b32_e64 v15, 0, 1, s[6:7]
	v_cmp_gt_i32_e64 s[6:7], v1, v19
	s_nop 1
	v_cndmask_b32_e64 v18, 0, 1, s[6:7]
	v_cmp_gt_i32_e64 s[6:7], v1, v8
	s_nop 1
	v_addc_co_u32_e64 v4, s[6:7], v4, v6, s[6:7]
	v_cmp_gt_i32_e64 s[6:7], v1, v13
	v_addc_co_u32_e32 v4, vcc, v4, v9, vcc
	s_nop 0
	v_addc_co_u32_e64 v5, s[6:7], v5, v10, s[6:7]
	v_cmp_gt_i32_e32 vcc, v1, v17
	v_cmp_gt_i32_e64 s[6:7], v1, v16
	s_nop 0
	v_addc_co_u32_e32 v5, vcc, v5, v11, vcc
	v_addc_co_u32_e64 v4, s[6:7], v4, v14, s[6:7]
	s_waitcnt lgkmcnt(0)
	v_cmp_gt_i32_e32 vcc, v1, v20
	v_cmp_gt_i32_e64 s[6:7], v1, v21
	s_nop 0
	v_addc_co_u32_e32 v4, vcc, v4, v15, vcc
	v_addc_co_u32_e64 v5, s[6:7], v5, v18, s[6:7]
	s_cbranch_scc1 .LBB43_62
.LBB43_63:                              ;   in Loop: Header=BB43_59 Depth=1
	s_and_b64 vcc, exec, s[4:5]
	s_cbranch_vccnz .LBB43_66
; %bb.64:                               ;   in Loop: Header=BB43_59 Depth=1
	s_lshl_b32 s6, s19, 2
	s_add_i32 s6, s6, 0
	s_mov_b32 s7, s17
.LBB43_65:                              ;   Parent Loop BB43_59 Depth=1
                                        ; =>  This Inner Loop Header: Depth=2
	v_mov_b32_e32 v6, s6
	ds_read2_b32 v[6:7], v6 offset1:1
	s_add_i32 s6, s6, 8
	s_add_i32 s7, s7, -8
	s_cmp_lg_u32 s7, 0
	s_waitcnt lgkmcnt(0)
	v_cmp_gt_i32_e32 vcc, v1, v7
	s_nop 1
	v_addc_co_u32_e32 v5, vcc, 0, v5, vcc
	v_cmp_gt_i32_e32 vcc, v1, v6
	s_nop 1
	v_addc_co_u32_e32 v4, vcc, 0, v4, vcc
	s_cbranch_scc1 .LBB43_65
.LBB43_66:                              ;   in Loop: Header=BB43_59 Depth=1
	v_add_u32_e32 v4, v4, v5
	s_mov_b32 s19, s15
	s_mov_b64 s[6:7], s[10:11]
.LBB43_67:                              ;   in Loop: Header=BB43_59 Depth=1
	s_and_b64 vcc, exec, s[6:7]
	s_cbranch_vccz .LBB43_58
; %bb.68:                               ;   in Loop: Header=BB43_59 Depth=1
	s_lshl_b32 s6, s19, 2
	s_add_i32 s6, s6, 0
.LBB43_69:                              ;   Parent Loop BB43_59 Depth=1
                                        ; =>  This Inner Loop Header: Depth=2
	v_mov_b32_e32 v5, s6
	ds_read_b32 v5, v5
	s_add_i32 s19, s19, 1
	s_add_i32 s6, s6, 4
	s_cmp_ge_i32 s19, s14
	s_waitcnt lgkmcnt(0)
	v_cmp_gt_i32_e32 vcc, v1, v5
	s_nop 1
	v_addc_co_u32_e32 v4, vcc, 0, v4, vcc
	s_cbranch_scc0 .LBB43_69
	s_branch .LBB43_58
.LBB43_70:
	s_endpgm
	.section	.rodata,"a",@progbits
	.p2align	6, 0x0
	.amdhsa_kernel _ZN9rocsparseL41csrgemm_numeric_fill_block_per_row_kernelILj128ELj16ELj256ELj137ELj64Eii21rocsparse_complex_numIfEEEvT5_PKS3_S5_NS_24const_host_device_scalarIT6_EEPKT4_S5_PKS7_SB_S5_SD_S8_SB_S5_SD_SB_S5_PS7_21rocsparse_index_base_SF_SF_SF_bbb
		.amdhsa_group_segment_fixed_size 0
		.amdhsa_private_segment_fixed_size 0
		.amdhsa_kernarg_size 156
		.amdhsa_user_sgpr_count 2
		.amdhsa_user_sgpr_dispatch_ptr 0
		.amdhsa_user_sgpr_queue_ptr 0
		.amdhsa_user_sgpr_kernarg_segment_ptr 1
		.amdhsa_user_sgpr_dispatch_id 0
		.amdhsa_user_sgpr_kernarg_preload_length 0
		.amdhsa_user_sgpr_kernarg_preload_offset 0
		.amdhsa_user_sgpr_private_segment_size 0
		.amdhsa_uses_dynamic_stack 0
		.amdhsa_enable_private_segment 0
		.amdhsa_system_sgpr_workgroup_id_x 1
		.amdhsa_system_sgpr_workgroup_id_y 0
		.amdhsa_system_sgpr_workgroup_id_z 0
		.amdhsa_system_sgpr_workgroup_info 0
		.amdhsa_system_vgpr_workitem_id 0
		.amdhsa_next_free_vgpr 22
		.amdhsa_next_free_sgpr 55
		.amdhsa_accum_offset 24
		.amdhsa_reserve_vcc 1
		.amdhsa_float_round_mode_32 0
		.amdhsa_float_round_mode_16_64 0
		.amdhsa_float_denorm_mode_32 3
		.amdhsa_float_denorm_mode_16_64 3
		.amdhsa_dx10_clamp 1
		.amdhsa_ieee_mode 1
		.amdhsa_fp16_overflow 0
		.amdhsa_tg_split 0
		.amdhsa_exception_fp_ieee_invalid_op 0
		.amdhsa_exception_fp_denorm_src 0
		.amdhsa_exception_fp_ieee_div_zero 0
		.amdhsa_exception_fp_ieee_overflow 0
		.amdhsa_exception_fp_ieee_underflow 0
		.amdhsa_exception_fp_ieee_inexact 0
		.amdhsa_exception_int_div_zero 0
	.end_amdhsa_kernel
	.section	.text._ZN9rocsparseL41csrgemm_numeric_fill_block_per_row_kernelILj128ELj16ELj256ELj137ELj64Eii21rocsparse_complex_numIfEEEvT5_PKS3_S5_NS_24const_host_device_scalarIT6_EEPKT4_S5_PKS7_SB_S5_SD_S8_SB_S5_SD_SB_S5_PS7_21rocsparse_index_base_SF_SF_SF_bbb,"axG",@progbits,_ZN9rocsparseL41csrgemm_numeric_fill_block_per_row_kernelILj128ELj16ELj256ELj137ELj64Eii21rocsparse_complex_numIfEEEvT5_PKS3_S5_NS_24const_host_device_scalarIT6_EEPKT4_S5_PKS7_SB_S5_SD_S8_SB_S5_SD_SB_S5_PS7_21rocsparse_index_base_SF_SF_SF_bbb,comdat
.Lfunc_end43:
	.size	_ZN9rocsparseL41csrgemm_numeric_fill_block_per_row_kernelILj128ELj16ELj256ELj137ELj64Eii21rocsparse_complex_numIfEEEvT5_PKS3_S5_NS_24const_host_device_scalarIT6_EEPKT4_S5_PKS7_SB_S5_SD_S8_SB_S5_SD_SB_S5_PS7_21rocsparse_index_base_SF_SF_SF_bbb, .Lfunc_end43-_ZN9rocsparseL41csrgemm_numeric_fill_block_per_row_kernelILj128ELj16ELj256ELj137ELj64Eii21rocsparse_complex_numIfEEEvT5_PKS3_S5_NS_24const_host_device_scalarIT6_EEPKT4_S5_PKS7_SB_S5_SD_S8_SB_S5_SD_SB_S5_PS7_21rocsparse_index_base_SF_SF_SF_bbb
                                        ; -- End function
	.set _ZN9rocsparseL41csrgemm_numeric_fill_block_per_row_kernelILj128ELj16ELj256ELj137ELj64Eii21rocsparse_complex_numIfEEEvT5_PKS3_S5_NS_24const_host_device_scalarIT6_EEPKT4_S5_PKS7_SB_S5_SD_S8_SB_S5_SD_SB_S5_PS7_21rocsparse_index_base_SF_SF_SF_bbb.num_vgpr, 22
	.set _ZN9rocsparseL41csrgemm_numeric_fill_block_per_row_kernelILj128ELj16ELj256ELj137ELj64Eii21rocsparse_complex_numIfEEEvT5_PKS3_S5_NS_24const_host_device_scalarIT6_EEPKT4_S5_PKS7_SB_S5_SD_S8_SB_S5_SD_SB_S5_PS7_21rocsparse_index_base_SF_SF_SF_bbb.num_agpr, 0
	.set _ZN9rocsparseL41csrgemm_numeric_fill_block_per_row_kernelILj128ELj16ELj256ELj137ELj64Eii21rocsparse_complex_numIfEEEvT5_PKS3_S5_NS_24const_host_device_scalarIT6_EEPKT4_S5_PKS7_SB_S5_SD_S8_SB_S5_SD_SB_S5_PS7_21rocsparse_index_base_SF_SF_SF_bbb.numbered_sgpr, 55
	.set _ZN9rocsparseL41csrgemm_numeric_fill_block_per_row_kernelILj128ELj16ELj256ELj137ELj64Eii21rocsparse_complex_numIfEEEvT5_PKS3_S5_NS_24const_host_device_scalarIT6_EEPKT4_S5_PKS7_SB_S5_SD_S8_SB_S5_SD_SB_S5_PS7_21rocsparse_index_base_SF_SF_SF_bbb.num_named_barrier, 0
	.set _ZN9rocsparseL41csrgemm_numeric_fill_block_per_row_kernelILj128ELj16ELj256ELj137ELj64Eii21rocsparse_complex_numIfEEEvT5_PKS3_S5_NS_24const_host_device_scalarIT6_EEPKT4_S5_PKS7_SB_S5_SD_S8_SB_S5_SD_SB_S5_PS7_21rocsparse_index_base_SF_SF_SF_bbb.private_seg_size, 0
	.set _ZN9rocsparseL41csrgemm_numeric_fill_block_per_row_kernelILj128ELj16ELj256ELj137ELj64Eii21rocsparse_complex_numIfEEEvT5_PKS3_S5_NS_24const_host_device_scalarIT6_EEPKT4_S5_PKS7_SB_S5_SD_S8_SB_S5_SD_SB_S5_PS7_21rocsparse_index_base_SF_SF_SF_bbb.uses_vcc, 1
	.set _ZN9rocsparseL41csrgemm_numeric_fill_block_per_row_kernelILj128ELj16ELj256ELj137ELj64Eii21rocsparse_complex_numIfEEEvT5_PKS3_S5_NS_24const_host_device_scalarIT6_EEPKT4_S5_PKS7_SB_S5_SD_S8_SB_S5_SD_SB_S5_PS7_21rocsparse_index_base_SF_SF_SF_bbb.uses_flat_scratch, 0
	.set _ZN9rocsparseL41csrgemm_numeric_fill_block_per_row_kernelILj128ELj16ELj256ELj137ELj64Eii21rocsparse_complex_numIfEEEvT5_PKS3_S5_NS_24const_host_device_scalarIT6_EEPKT4_S5_PKS7_SB_S5_SD_S8_SB_S5_SD_SB_S5_PS7_21rocsparse_index_base_SF_SF_SF_bbb.has_dyn_sized_stack, 0
	.set _ZN9rocsparseL41csrgemm_numeric_fill_block_per_row_kernelILj128ELj16ELj256ELj137ELj64Eii21rocsparse_complex_numIfEEEvT5_PKS3_S5_NS_24const_host_device_scalarIT6_EEPKT4_S5_PKS7_SB_S5_SD_S8_SB_S5_SD_SB_S5_PS7_21rocsparse_index_base_SF_SF_SF_bbb.has_recursion, 0
	.set _ZN9rocsparseL41csrgemm_numeric_fill_block_per_row_kernelILj128ELj16ELj256ELj137ELj64Eii21rocsparse_complex_numIfEEEvT5_PKS3_S5_NS_24const_host_device_scalarIT6_EEPKT4_S5_PKS7_SB_S5_SD_S8_SB_S5_SD_SB_S5_PS7_21rocsparse_index_base_SF_SF_SF_bbb.has_indirect_call, 0
	.section	.AMDGPU.csdata,"",@progbits
; Kernel info:
; codeLenInByte = 2632
; TotalNumSgprs: 61
; NumVgprs: 22
; NumAgprs: 0
; TotalNumVgprs: 22
; ScratchSize: 0
; MemoryBound: 0
; FloatMode: 240
; IeeeMode: 1
; LDSByteSize: 0 bytes/workgroup (compile time only)
; SGPRBlocks: 7
; VGPRBlocks: 2
; NumSGPRsForWavesPerEU: 61
; NumVGPRsForWavesPerEU: 22
; AccumOffset: 24
; Occupancy: 8
; WaveLimiterHint : 1
; COMPUTE_PGM_RSRC2:SCRATCH_EN: 0
; COMPUTE_PGM_RSRC2:USER_SGPR: 2
; COMPUTE_PGM_RSRC2:TRAP_HANDLER: 0
; COMPUTE_PGM_RSRC2:TGID_X_EN: 1
; COMPUTE_PGM_RSRC2:TGID_Y_EN: 0
; COMPUTE_PGM_RSRC2:TGID_Z_EN: 0
; COMPUTE_PGM_RSRC2:TIDIG_COMP_CNT: 0
; COMPUTE_PGM_RSRC3_GFX90A:ACCUM_OFFSET: 5
; COMPUTE_PGM_RSRC3_GFX90A:TG_SPLIT: 0
	.section	.text._ZN9rocsparseL41csrgemm_numeric_fill_block_per_row_kernelILj256ELj32ELj512ELj137ELj32Eii21rocsparse_complex_numIfEEEvT5_PKS3_S5_NS_24const_host_device_scalarIT6_EEPKT4_S5_PKS7_SB_S5_SD_S8_SB_S5_SD_SB_S5_PS7_21rocsparse_index_base_SF_SF_SF_bbb,"axG",@progbits,_ZN9rocsparseL41csrgemm_numeric_fill_block_per_row_kernelILj256ELj32ELj512ELj137ELj32Eii21rocsparse_complex_numIfEEEvT5_PKS3_S5_NS_24const_host_device_scalarIT6_EEPKT4_S5_PKS7_SB_S5_SD_S8_SB_S5_SD_SB_S5_PS7_21rocsparse_index_base_SF_SF_SF_bbb,comdat
	.globl	_ZN9rocsparseL41csrgemm_numeric_fill_block_per_row_kernelILj256ELj32ELj512ELj137ELj32Eii21rocsparse_complex_numIfEEEvT5_PKS3_S5_NS_24const_host_device_scalarIT6_EEPKT4_S5_PKS7_SB_S5_SD_S8_SB_S5_SD_SB_S5_PS7_21rocsparse_index_base_SF_SF_SF_bbb ; -- Begin function _ZN9rocsparseL41csrgemm_numeric_fill_block_per_row_kernelILj256ELj32ELj512ELj137ELj32Eii21rocsparse_complex_numIfEEEvT5_PKS3_S5_NS_24const_host_device_scalarIT6_EEPKT4_S5_PKS7_SB_S5_SD_S8_SB_S5_SD_SB_S5_PS7_21rocsparse_index_base_SF_SF_SF_bbb
	.p2align	8
	.type	_ZN9rocsparseL41csrgemm_numeric_fill_block_per_row_kernelILj256ELj32ELj512ELj137ELj32Eii21rocsparse_complex_numIfEEEvT5_PKS3_S5_NS_24const_host_device_scalarIT6_EEPKT4_S5_PKS7_SB_S5_SD_S8_SB_S5_SD_SB_S5_PS7_21rocsparse_index_base_SF_SF_SF_bbb,@function
_ZN9rocsparseL41csrgemm_numeric_fill_block_per_row_kernelILj256ELj32ELj512ELj137ELj32Eii21rocsparse_complex_numIfEEEvT5_PKS3_S5_NS_24const_host_device_scalarIT6_EEPKT4_S5_PKS7_SB_S5_SD_S8_SB_S5_SD_SB_S5_PS7_21rocsparse_index_base_SF_SF_SF_bbb: ; @_ZN9rocsparseL41csrgemm_numeric_fill_block_per_row_kernelILj256ELj32ELj512ELj137ELj32Eii21rocsparse_complex_numIfEEEvT5_PKS3_S5_NS_24const_host_device_scalarIT6_EEPKT4_S5_PKS7_SB_S5_SD_S8_SB_S5_SD_SB_S5_PS7_21rocsparse_index_base_SF_SF_SF_bbb
; %bb.0:
	s_load_dwordx2 s[40:41], s[0:1], 0x70
	s_load_dwordx4 s[28:31], s[0:1], 0x60
	s_load_dwordx8 s[8:15], s[0:1], 0x40
	s_load_dword s3, s[0:1], 0x98
	s_load_dwordx4 s[36:39], s[0:1], 0x8
	s_load_dwordx8 s[16:23], s[0:1], 0x20
	s_load_dwordx2 s[34:35], s[0:1], 0x80
	s_load_dwordx4 s[24:27], s[0:1], 0x88
	s_waitcnt lgkmcnt(0)
	s_bitcmp1_b32 s3, 0
	s_cselect_b64 s[44:45], -1, 0
	s_bitcmp1_b32 s3, 16
	s_cselect_b64 s[4:5], -1, 0
	s_xor_b64 s[4:5], s[4:5], -1
	v_cndmask_b32_e64 v1, 0, 1, s[4:5]
	s_mov_b32 s7, 0
	s_bitcmp0_b32 s3, 0
	v_cmp_ne_u32_e64 s[4:5], 1, v1
	s_mov_b32 s54, 0
	s_cbranch_scc1 .LBB44_5
; %bb.1:
	s_load_dwordx2 s[6:7], s[0:1], 0x18
	s_and_b64 vcc, exec, s[4:5]
	s_waitcnt lgkmcnt(0)
	s_mov_b32 s54, s6
	s_cbranch_vccnz .LBB44_3
; %bb.2:
	s_load_dword s54, s[6:7], 0x0
.LBB44_3:
	s_and_b64 vcc, exec, s[4:5]
	s_cbranch_vccnz .LBB44_5
; %bb.4:
	s_load_dword s7, s[6:7], 0x4
.LBB44_5:
	s_bitcmp1_b32 s3, 8
	s_cselect_b64 s[42:43], -1, 0
	s_bfe_u32 s3, s3, 0x10008
	s_mov_b32 s52, 0
	s_cmp_eq_u32 s3, 0
	s_mov_b32 s53, 0
	s_cbranch_scc1 .LBB44_11
; %bb.6:
	s_and_b64 vcc, exec, s[4:5]
	s_mov_b32 s52, s12
	s_cbranch_vccnz .LBB44_8
; %bb.7:
	s_load_dword s52, s[12:13], 0x0
.LBB44_8:
	s_and_b64 vcc, exec, s[4:5]
	s_cbranch_vccnz .LBB44_10
; %bb.9:
	s_load_dword s13, s[12:13], 0x4
.LBB44_10:
	s_waitcnt lgkmcnt(0)
	s_mov_b32 s53, s13
.LBB44_11:
	s_load_dword s33, s[0:1], 0x0
	s_movk_i32 s0, 0x200
	v_cmp_gt_u32_e64 s[0:1], s0, v0
	v_lshl_add_u32 v8, v0, 3, 0
	v_lshl_add_u32 v1, v0, 2, 0
	s_and_saveexec_b64 s[4:5], s[0:1]
	s_cbranch_execz .LBB44_14
; %bb.12:
	v_add_u32_e32 v2, 0x800, v8
	v_or_b32_e32 v3, 0xffffff00, v0
	v_lshl_add_u32 v4, v0, 2, 0
	s_mov_b64 s[12:13], 0
	s_waitcnt lgkmcnt(0)
	v_mov_b32_e32 v6, s33
	v_mov_b32_e32 v5, 0
.LBB44_13:                              ; =>This Inner Loop Header: Depth=1
	v_add_co_u32_e32 v3, vcc, 0x100, v3
	s_xor_b64 s[46:47], vcc, -1
	s_and_b64 s[46:47], exec, s[46:47]
	ds_write_b32 v4, v6
	ds_write2_b32 v2, v5, v5 offset1:1
	v_add_u32_e32 v2, 0x800, v2
	s_or_b64 s[12:13], s[46:47], s[12:13]
	v_add_u32_e32 v4, 0x400, v4
	s_andn2_b64 exec, exec, s[12:13]
	s_cbranch_execnz .LBB44_13
.LBB44_14:
	s_or_b64 exec, exec, s[4:5]
	s_waitcnt lgkmcnt(0)
	s_barrier
	s_load_dword s3, s[36:37], 0x0
	v_lshrrev_b32_e32 v9, 5, v0
	s_waitcnt lgkmcnt(0)
	s_add_i32 s2, s3, s2
	s_mov_b32 s3, 0
	s_lshl_b64 s[2:3], s[2:3], 2
	s_add_u32 s2, s38, s2
	s_addc_u32 s3, s39, s3
	s_load_dword s36, s[2:3], 0x0
	s_and_b64 vcc, exec, s[44:45]
	s_cbranch_vccz .LBB44_32
; %bb.15:
	s_waitcnt lgkmcnt(0)
	s_ashr_i32 s37, s36, 31
	s_lshl_b64 s[2:3], s[36:37], 2
	s_add_u32 s2, s16, s2
	s_addc_u32 s3, s17, s3
	s_load_dwordx2 s[4:5], s[2:3], 0x0
	v_subrev_u32_e32 v2, s24, v9
	s_waitcnt lgkmcnt(0)
	s_sub_i32 s6, s5, s24
	v_add_u32_e32 v2, s4, v2
	v_cmp_gt_i32_e32 vcc, s6, v2
	s_and_saveexec_b64 s[2:3], vcc
	s_cbranch_execz .LBB44_31
; %bb.16:
	v_and_b32_e32 v3, 31, v0
	v_subrev_u32_e32 v10, s25, v3
	s_mov_b64 s[4:5], 0
	s_movk_i32 s37, 0x89
	s_branch .LBB44_18
.LBB44_17:                              ;   in Loop: Header=BB44_18 Depth=1
	s_or_b64 exec, exec, s[12:13]
	v_add_u32_e32 v2, 8, v2
	v_cmp_le_i32_e32 vcc, s6, v2
	s_or_b64 s[4:5], vcc, s[4:5]
	s_andn2_b64 exec, exec, s[4:5]
	s_cbranch_execz .LBB44_31
.LBB44_18:                              ; =>This Loop Header: Depth=1
                                        ;     Child Loop BB44_22 Depth 2
                                        ;       Child Loop BB44_25 Depth 3
	v_ashrrev_i32_e32 v3, 31, v2
	v_lshl_add_u64 v[4:5], v[2:3], 2, s[18:19]
	global_load_dword v4, v[4:5], off
	s_waitcnt vmcnt(0)
	v_subrev_u32_e32 v4, s24, v4
	v_ashrrev_i32_e32 v5, 31, v4
	v_lshl_add_u64 v[4:5], v[4:5], 2, s[22:23]
	global_load_dwordx2 v[4:5], v[4:5], off
	s_waitcnt vmcnt(0)
	v_subrev_u32_e32 v11, s25, v5
	v_add_u32_e32 v4, v4, v10
	v_cmp_lt_i32_e32 vcc, v4, v11
	s_and_saveexec_b64 s[12:13], vcc
	s_cbranch_execz .LBB44_17
; %bb.19:                               ;   in Loop: Header=BB44_18 Depth=1
	v_lshl_add_u64 v[6:7], v[2:3], 3, s[20:21]
	global_load_dwordx2 v[6:7], v[6:7], off
	s_mov_b64 s[16:17], 0
	s_waitcnt vmcnt(0)
	v_mul_f32_e64 v3, v7, -s7
	v_mul_f32_e32 v12, s54, v7
	v_fmac_f32_e32 v3, s54, v6
	v_fmac_f32_e32 v12, s7, v6
	s_branch .LBB44_22
.LBB44_20:                              ;   in Loop: Header=BB44_22 Depth=2
	s_or_b64 exec, exec, s[44:45]
.LBB44_21:                              ;   in Loop: Header=BB44_22 Depth=2
	s_or_b64 exec, exec, s[38:39]
	s_waitcnt vmcnt(0)
	v_mul_f32_e64 v13, v7, -v12
	v_fmac_f32_e32 v13, v3, v6
	v_mul_f32_e32 v7, v3, v7
	v_lshl_add_u32 v5, v5, 3, 0
	v_fmac_f32_e32 v7, v12, v6
	ds_add_f32 v5, v13 offset:2048
	ds_add_f32 v5, v7 offset:2052
	v_add_u32_e32 v4, 32, v4
	v_cmp_ge_i32_e32 vcc, v4, v11
	s_or_b64 s[16:17], vcc, s[16:17]
	s_andn2_b64 exec, exec, s[16:17]
	s_cbranch_execz .LBB44_17
.LBB44_22:                              ;   Parent Loop BB44_18 Depth=1
                                        ; =>  This Loop Header: Depth=2
                                        ;       Child Loop BB44_25 Depth 3
	v_ashrrev_i32_e32 v5, 31, v4
	v_lshl_add_u64 v[6:7], v[4:5], 2, s[8:9]
	global_load_dword v13, v[6:7], off
	v_lshl_add_u64 v[6:7], v[4:5], 3, s[10:11]
	global_load_dwordx2 v[6:7], v[6:7], off
	s_waitcnt vmcnt(1)
	v_subrev_u32_e32 v13, s25, v13
	v_mul_lo_u32 v5, v13, s37
	v_and_b32_e32 v5, 0x1ff, v5
	v_lshl_add_u32 v14, v5, 2, 0
	ds_read_b32 v15, v14
	s_waitcnt lgkmcnt(0)
	v_cmp_ne_u32_e32 vcc, v15, v13
	s_and_saveexec_b64 s[38:39], vcc
	s_cbranch_execz .LBB44_21
; %bb.23:                               ;   in Loop: Header=BB44_22 Depth=2
	s_mov_b64 s[44:45], 0
	s_branch .LBB44_25
.LBB44_24:                              ;   in Loop: Header=BB44_25 Depth=3
	s_or_b64 exec, exec, s[50:51]
	s_and_b64 s[46:47], exec, s[48:49]
	s_or_b64 s[44:45], s[46:47], s[44:45]
	s_andn2_b64 exec, exec, s[44:45]
	s_cbranch_execz .LBB44_20
.LBB44_25:                              ;   Parent Loop BB44_18 Depth=1
                                        ;     Parent Loop BB44_22 Depth=2
                                        ; =>    This Inner Loop Header: Depth=3
	v_cmp_ne_u32_e32 vcc, s33, v15
	s_mov_b64 s[46:47], 0
	s_and_saveexec_b64 s[48:49], vcc
	s_xor_b64 s[48:49], exec, s[48:49]
	s_cbranch_execz .LBB44_27
; %bb.26:                               ;   in Loop: Header=BB44_25 Depth=3
	v_add_u32_e32 v5, 1, v5
	s_mov_b64 s[46:47], exec
	v_and_b32_e32 v5, 0x1ff, v5
                                        ; implicit-def: $vgpr14
	s_andn2_saveexec_b64 s[48:49], s[48:49]
	s_cbranch_execz .LBB44_29
	s_branch .LBB44_28
.LBB44_27:                              ;   in Loop: Header=BB44_25 Depth=3
	s_andn2_saveexec_b64 s[48:49], s[48:49]
	s_cbranch_execz .LBB44_29
.LBB44_28:                              ;   in Loop: Header=BB44_25 Depth=3
	v_mov_b32_e32 v15, s33
	ds_cmpst_rtn_b32 v14, v14, v15, v13
	s_andn2_b64 s[46:47], s[46:47], exec
	s_waitcnt lgkmcnt(0)
	v_cmp_ne_u32_e32 vcc, s33, v14
	s_and_b64 s[50:51], vcc, exec
	s_or_b64 s[46:47], s[46:47], s[50:51]
.LBB44_29:                              ;   in Loop: Header=BB44_25 Depth=3
	s_or_b64 exec, exec, s[48:49]
	s_mov_b64 s[48:49], -1
                                        ; implicit-def: $vgpr14
                                        ; implicit-def: $vgpr15
	s_and_saveexec_b64 s[50:51], s[46:47]
	s_cbranch_execz .LBB44_24
; %bb.30:                               ;   in Loop: Header=BB44_25 Depth=3
	v_lshl_add_u32 v14, v5, 2, 0
	ds_read_b32 v15, v14
	s_waitcnt lgkmcnt(0)
	v_cmp_eq_u32_e32 vcc, v15, v13
	s_orn2_b64 s[48:49], vcc, exec
	s_branch .LBB44_24
.LBB44_31:
	s_or_b64 exec, exec, s[2:3]
.LBB44_32:
	s_andn2_b64 vcc, exec, s[42:43]
	s_cbranch_vccnz .LBB44_47
; %bb.33:
	s_waitcnt lgkmcnt(0)
	s_ashr_i32 s37, s36, 31
	s_lshl_b64 s[2:3], s[36:37], 2
	s_add_u32 s2, s14, s2
	s_addc_u32 s3, s15, s3
	s_load_dwordx2 s[4:5], s[2:3], 0x0
	v_subrev_u32_e32 v2, s27, v0
	s_waitcnt lgkmcnt(0)
	s_sub_i32 s16, s5, s27
	v_add_u32_e32 v2, s4, v2
	v_cmp_gt_i32_e32 vcc, s16, v2
	s_and_saveexec_b64 s[2:3], vcc
	s_cbranch_execz .LBB44_46
; %bb.34:
	s_mov_b64 s[4:5], 0
	s_movk_i32 s17, 0x89
	s_branch .LBB44_37
.LBB44_35:                              ;   in Loop: Header=BB44_37 Depth=1
	s_or_b64 exec, exec, s[8:9]
.LBB44_36:                              ;   in Loop: Header=BB44_37 Depth=1
	s_or_b64 exec, exec, s[6:7]
	s_waitcnt vmcnt(0)
	v_mul_f32_e64 v6, v5, -s53
	v_fmac_f32_e32 v6, s52, v4
	v_mul_f32_e32 v5, s52, v5
	v_lshl_add_u32 v3, v3, 3, 0
	v_fmac_f32_e32 v5, s53, v4
	ds_add_f32 v3, v6 offset:2048
	ds_add_f32 v3, v5 offset:2052
	v_add_u32_e32 v2, 0x100, v2
	v_cmp_le_i32_e32 vcc, s16, v2
	s_or_b64 s[4:5], vcc, s[4:5]
	s_andn2_b64 exec, exec, s[4:5]
	s_cbranch_execz .LBB44_46
.LBB44_37:                              ; =>This Loop Header: Depth=1
                                        ;     Child Loop BB44_40 Depth 2
	v_ashrrev_i32_e32 v3, 31, v2
	v_lshl_add_u64 v[4:5], v[2:3], 2, s[28:29]
	global_load_dword v6, v[4:5], off
	v_lshl_add_u64 v[4:5], v[2:3], 3, s[30:31]
	global_load_dwordx2 v[4:5], v[4:5], off
	s_waitcnt vmcnt(1)
	v_subrev_u32_e32 v6, s27, v6
	v_mul_lo_u32 v3, v6, s17
	v_and_b32_e32 v3, 0x1ff, v3
	v_lshl_add_u32 v7, v3, 2, 0
	ds_read_b32 v10, v7
	s_waitcnt lgkmcnt(0)
	v_cmp_ne_u32_e32 vcc, v10, v6
	s_and_saveexec_b64 s[6:7], vcc
	s_cbranch_execz .LBB44_36
; %bb.38:                               ;   in Loop: Header=BB44_37 Depth=1
	s_mov_b64 s[8:9], 0
	s_branch .LBB44_40
.LBB44_39:                              ;   in Loop: Header=BB44_40 Depth=2
	s_or_b64 exec, exec, s[14:15]
	s_and_b64 s[10:11], exec, s[12:13]
	s_or_b64 s[8:9], s[10:11], s[8:9]
	s_andn2_b64 exec, exec, s[8:9]
	s_cbranch_execz .LBB44_35
.LBB44_40:                              ;   Parent Loop BB44_37 Depth=1
                                        ; =>  This Inner Loop Header: Depth=2
	v_cmp_ne_u32_e32 vcc, s33, v10
	s_mov_b64 s[10:11], 0
	s_and_saveexec_b64 s[12:13], vcc
	s_xor_b64 s[12:13], exec, s[12:13]
	s_cbranch_execz .LBB44_42
; %bb.41:                               ;   in Loop: Header=BB44_40 Depth=2
	v_add_u32_e32 v3, 1, v3
	s_mov_b64 s[10:11], exec
	v_and_b32_e32 v3, 0x1ff, v3
                                        ; implicit-def: $vgpr7
	s_andn2_saveexec_b64 s[12:13], s[12:13]
	s_cbranch_execz .LBB44_44
	s_branch .LBB44_43
.LBB44_42:                              ;   in Loop: Header=BB44_40 Depth=2
	s_andn2_saveexec_b64 s[12:13], s[12:13]
	s_cbranch_execz .LBB44_44
.LBB44_43:                              ;   in Loop: Header=BB44_40 Depth=2
	v_mov_b32_e32 v10, s33
	ds_cmpst_rtn_b32 v7, v7, v10, v6
	s_andn2_b64 s[10:11], s[10:11], exec
	s_waitcnt lgkmcnt(0)
	v_cmp_ne_u32_e32 vcc, s33, v7
	s_and_b64 s[14:15], vcc, exec
	s_or_b64 s[10:11], s[10:11], s[14:15]
.LBB44_44:                              ;   in Loop: Header=BB44_40 Depth=2
	s_or_b64 exec, exec, s[12:13]
	s_mov_b64 s[12:13], -1
                                        ; implicit-def: $vgpr7
                                        ; implicit-def: $vgpr10
	s_and_saveexec_b64 s[14:15], s[10:11]
	s_cbranch_execz .LBB44_39
; %bb.45:                               ;   in Loop: Header=BB44_40 Depth=2
	v_lshl_add_u32 v7, v3, 2, 0
	ds_read_b32 v10, v7
	s_waitcnt lgkmcnt(0)
	v_cmp_eq_u32_e32 vcc, v10, v6
	s_orn2_b64 s[12:13], vcc, exec
	s_branch .LBB44_39
.LBB44_46:
	s_or_b64 exec, exec, s[2:3]
.LBB44_47:
	s_waitcnt lgkmcnt(0)
	s_barrier
	s_and_saveexec_b64 s[16:17], s[0:1]
	s_cbranch_execz .LBB44_68
; %bb.48:
	v_mbcnt_lo_u32_b32 v2, -1, 0
	v_mbcnt_hi_u32_b32 v2, -1, v2
	v_sub_u32_e32 v2, 63, v2
	s_movk_i32 s0, 0xff
	s_movk_i32 s6, 0x5f
	;; [unrolled: 1-line block ×6, first 2 shown]
	v_mov_b32_e32 v6, 0
	v_lshrrev_b64 v[2:3], v2, -1
	v_lshl_add_u32 v7, v9, 2, 0
	v_cmp_eq_u32_e64 s[0:1], s0, v0
	v_cmp_lt_u32_e64 s[2:3], 31, v0
	v_cmp_lt_u32_e64 s[4:5], 63, v0
	;; [unrolled: 1-line block ×7, first 2 shown]
	v_add_u32_e32 v8, 0x800, v8
	v_or_b32_e32 v9, 0xffffff00, v0
	s_mov_b64 s[18:19], 0
	v_mov_b32_e32 v10, 0
	s_branch .LBB44_50
.LBB44_49:                              ;   in Loop: Header=BB44_50 Depth=1
	s_or_b64 exec, exec, s[20:21]
	s_waitcnt lgkmcnt(0)
	s_barrier
	ds_read_b32 v4, v6 offset:6172
	v_add_co_u32_e32 v9, vcc, 0x100, v9
	s_xor_b64 s[20:21], vcc, -1
	s_and_b64 s[20:21], exec, s[20:21]
	v_add_u32_e32 v8, 0x800, v8
	s_waitcnt lgkmcnt(0)
	v_add_u32_e32 v10, v4, v10
	s_or_b64 s[18:19], s[20:21], s[18:19]
	v_add_u32_e32 v1, 0x400, v1
	s_andn2_b64 exec, exec, s[18:19]
	s_cbranch_execz .LBB44_68
.LBB44_50:                              ; =>This Inner Loop Header: Depth=1
	ds_read_b32 v11, v1
	ds_read2_b32 v[4:5], v8 offset1:1
	s_waitcnt lgkmcnt(0)
	s_barrier
	v_cmp_gt_i32_e32 vcc, s33, v11
	s_bcnt1_i32_b64 s20, vcc
	s_nop 0
	v_and_b32_e32 v13, vcc_lo, v2
	v_and_b32_e32 v12, vcc_hi, v3
	v_bcnt_u32_b32 v13, v13, 0
	v_bcnt_u32_b32 v12, v12, v13
	v_mov_b32_e32 v13, s20
	ds_write_b32 v7, v13 offset:6144
	s_waitcnt lgkmcnt(0)
	s_barrier
	s_and_saveexec_b64 s[20:21], s[2:3]
	s_cbranch_execz .LBB44_59
; %bb.51:                               ;   in Loop: Header=BB44_50 Depth=1
	ds_read_b32 v13, v6 offset:6144
	s_waitcnt lgkmcnt(0)
	v_add_u32_e32 v12, v13, v12
	s_or_b64 exec, exec, s[20:21]
	s_and_saveexec_b64 s[20:21], s[4:5]
	s_cbranch_execnz .LBB44_60
.LBB44_52:                              ;   in Loop: Header=BB44_50 Depth=1
	s_or_b64 exec, exec, s[20:21]
	s_and_saveexec_b64 s[20:21], s[6:7]
	s_cbranch_execz .LBB44_61
.LBB44_53:                              ;   in Loop: Header=BB44_50 Depth=1
	ds_read_b32 v13, v6 offset:6152
	s_waitcnt lgkmcnt(0)
	v_add_u32_e32 v12, v13, v12
	s_or_b64 exec, exec, s[20:21]
	s_and_saveexec_b64 s[20:21], s[8:9]
	s_cbranch_execnz .LBB44_62
.LBB44_54:                              ;   in Loop: Header=BB44_50 Depth=1
	s_or_b64 exec, exec, s[20:21]
	s_and_saveexec_b64 s[20:21], s[10:11]
	s_cbranch_execz .LBB44_63
.LBB44_55:                              ;   in Loop: Header=BB44_50 Depth=1
	ds_read_b32 v13, v6 offset:6160
	s_waitcnt lgkmcnt(0)
	v_add_u32_e32 v12, v13, v12
	s_or_b64 exec, exec, s[20:21]
	s_and_saveexec_b64 s[20:21], s[12:13]
	s_cbranch_execnz .LBB44_64
.LBB44_56:                              ;   in Loop: Header=BB44_50 Depth=1
	s_or_b64 exec, exec, s[20:21]
	s_and_saveexec_b64 s[20:21], s[14:15]
	s_cbranch_execz .LBB44_65
.LBB44_57:                              ;   in Loop: Header=BB44_50 Depth=1
	ds_read_b32 v13, v6 offset:6168
	s_waitcnt lgkmcnt(0)
	v_add_u32_e32 v12, v13, v12
	s_or_b64 exec, exec, s[20:21]
	s_and_saveexec_b64 s[20:21], vcc
	s_cbranch_execnz .LBB44_66
.LBB44_58:                              ;   in Loop: Header=BB44_50 Depth=1
	s_or_b64 exec, exec, s[20:21]
	s_and_saveexec_b64 s[20:21], s[0:1]
	s_cbranch_execz .LBB44_49
	s_branch .LBB44_67
.LBB44_59:                              ;   in Loop: Header=BB44_50 Depth=1
	s_or_b64 exec, exec, s[20:21]
	s_and_saveexec_b64 s[20:21], s[4:5]
	s_cbranch_execz .LBB44_52
.LBB44_60:                              ;   in Loop: Header=BB44_50 Depth=1
	ds_read_b32 v13, v6 offset:6148
	s_waitcnt lgkmcnt(0)
	v_add_u32_e32 v12, v13, v12
	s_or_b64 exec, exec, s[20:21]
	s_and_saveexec_b64 s[20:21], s[6:7]
	s_cbranch_execnz .LBB44_53
.LBB44_61:                              ;   in Loop: Header=BB44_50 Depth=1
	s_or_b64 exec, exec, s[20:21]
	s_and_saveexec_b64 s[20:21], s[8:9]
	s_cbranch_execz .LBB44_54
.LBB44_62:                              ;   in Loop: Header=BB44_50 Depth=1
	ds_read_b32 v13, v6 offset:6156
	s_waitcnt lgkmcnt(0)
	v_add_u32_e32 v12, v13, v12
	s_or_b64 exec, exec, s[20:21]
	s_and_saveexec_b64 s[20:21], s[10:11]
	s_cbranch_execnz .LBB44_55
.LBB44_63:                              ;   in Loop: Header=BB44_50 Depth=1
	s_or_b64 exec, exec, s[20:21]
	s_and_saveexec_b64 s[20:21], s[12:13]
	s_cbranch_execz .LBB44_56
.LBB44_64:                              ;   in Loop: Header=BB44_50 Depth=1
	ds_read_b32 v13, v6 offset:6164
	s_waitcnt lgkmcnt(0)
	v_add_u32_e32 v12, v13, v12
	s_or_b64 exec, exec, s[20:21]
	s_and_saveexec_b64 s[20:21], s[14:15]
	s_cbranch_execnz .LBB44_57
.LBB44_65:                              ;   in Loop: Header=BB44_50 Depth=1
	s_or_b64 exec, exec, s[20:21]
	s_and_saveexec_b64 s[20:21], vcc
	s_cbranch_execz .LBB44_58
.LBB44_66:                              ;   in Loop: Header=BB44_50 Depth=1
	v_add3_u32 v13, v10, -1, v12
	v_add_u32_e32 v14, v10, v12
	v_lshl_add_u32 v13, v13, 2, 0
	v_lshl_add_u32 v14, v14, 3, 0
	v_add_u32_e32 v14, 0x7f8, v14
	ds_write_b32 v13, v11
	ds_write2_b32 v14, v4, v5 offset1:1
	s_or_b64 exec, exec, s[20:21]
	s_and_saveexec_b64 s[20:21], s[0:1]
	s_cbranch_execz .LBB44_49
.LBB44_67:                              ;   in Loop: Header=BB44_50 Depth=1
	ds_write_b32 v6, v12 offset:6172
	s_branch .LBB44_49
.LBB44_68:
	s_or_b64 exec, exec, s[16:17]
	s_ashr_i32 s37, s36, 31
	s_lshl_b64 s[0:1], s[36:37], 2
	s_add_u32 s2, s40, s0
	s_addc_u32 s3, s41, s1
	s_load_dwordx2 s[0:1], s[2:3], 0x0
	s_waitcnt lgkmcnt(0)
	s_sub_i32 s14, s1, s0
	v_cmp_gt_i32_e32 vcc, s14, v0
	s_and_saveexec_b64 s[2:3], vcc
	s_cbranch_execz .LBB44_82
; %bb.69:
	s_sub_i32 s8, s0, s26
	v_sub_co_u32_e64 v1, s[0:1], s14, 2
	s_nop 0
	v_readfirstlane_b32 s2, v1
	s_lshr_b32 s2, s2, 1
	s_add_i32 s2, s2, 1
	s_xor_b64 s[0:1], s[0:1], -1
	s_and_b32 s15, s14, -2
	s_and_b32 s3, s2, 7
	s_and_b32 s16, s2, -8
	s_cmp_lg_u32 s3, 0
	v_cmp_lt_u32_e32 vcc, 13, v1
	s_cselect_b64 s[4:5], -1, 0
	s_cmp_lg_u32 s14, s15
	v_cndmask_b32_e64 v1, 0, 1, vcc
	s_cselect_b64 s[10:11], -1, 0
	s_lshl_b32 s17, s3, 3
	v_cndmask_b32_e64 v2, 0, 1, s[0:1]
	v_cmp_ne_u32_e64 s[2:3], 1, v1
	v_cndmask_b32_e64 v1, 0, 1, s[4:5]
	s_mov_b32 s9, 0
	s_mov_b64 s[12:13], 0
	s_movk_i32 s18, 0x800
	v_cmp_ne_u32_e64 s[0:1], 1, v2
	v_cmp_ne_u32_e64 s[4:5], 1, v1
	s_branch .LBB44_71
.LBB44_70:                              ;   in Loop: Header=BB44_71 Depth=1
	v_add_u32_e32 v0, 0x100, v0
	v_ashrrev_i32_e32 v5, 31, v4
	v_cmp_le_i32_e32 vcc, s14, v0
	v_lshl_add_u64 v[4:5], v[4:5], 3, s[34:35]
	s_or_b64 s[12:13], vcc, s[12:13]
	s_waitcnt lgkmcnt(0)
	global_store_dwordx2 v[4:5], v[2:3], off
	s_andn2_b64 exec, exec, s[12:13]
	s_cbranch_execz .LBB44_82
.LBB44_71:                              ; =>This Loop Header: Depth=1
                                        ;     Child Loop BB44_74 Depth 2
                                        ;     Child Loop BB44_77 Depth 2
                                        ;     Child Loop BB44_81 Depth 2
	v_lshlrev_b32_e32 v1, 2, v0
	v_add_u32_e32 v2, 0, v1
	v_add3_u32 v3, v2, v1, s18
	ds_read_b32 v1, v2
	ds_read2_b32 v[2:3], v3 offset1:1
	s_and_b64 vcc, exec, s[0:1]
	v_mov_b32_e32 v4, s8
	s_mov_b32 s19, 0
	s_mov_b64 s[6:7], -1
	s_cbranch_vccnz .LBB44_79
; %bb.72:                               ;   in Loop: Header=BB44_71 Depth=1
	s_and_b64 vcc, exec, s[2:3]
	v_mov_b64_e32 v[4:5], s[8:9]
	s_cbranch_vccnz .LBB44_75
; %bb.73:                               ;   in Loop: Header=BB44_71 Depth=1
	s_mov_b32 s20, 0
	v_mov_b32_e32 v4, s8
	v_mov_b32_e32 v5, 0
	s_mov_b32 s21, s16
.LBB44_74:                              ;   Parent Loop BB44_71 Depth=1
                                        ; =>  This Inner Loop Header: Depth=2
	v_mov_b32_e32 v20, s20
	ds_read2_b32 v[6:7], v20 offset1:1
	ds_read2_b32 v[8:9], v20 offset0:2 offset1:3
	ds_read2_b32 v[10:11], v20 offset0:4 offset1:5
	;; [unrolled: 1-line block ×7, first 2 shown]
	s_waitcnt lgkmcnt(7)
	v_cmp_gt_i32_e32 vcc, v1, v7
	s_waitcnt lgkmcnt(5)
	v_cmp_gt_i32_e64 s[6:7], v1, v10
	s_add_i32 s19, s19, 16
	v_cndmask_b32_e64 v7, 0, 1, vcc
	v_cmp_gt_i32_e32 vcc, v1, v6
	s_add_i32 s20, s20, 64
	s_add_i32 s21, s21, -8
	v_cndmask_b32_e64 v6, 0, 1, vcc
	v_cmp_gt_i32_e32 vcc, v1, v9
	v_cndmask_b32_e64 v9, 0, 1, s[6:7]
	v_cmp_gt_i32_e64 s[6:7], v1, v11
	v_addc_co_u32_e32 v5, vcc, v5, v7, vcc
	s_nop 0
	v_cndmask_b32_e64 v10, 0, 1, s[6:7]
	s_waitcnt lgkmcnt(3)
	v_cmp_gt_i32_e64 s[6:7], v1, v15
	v_cmp_gt_i32_e32 vcc, v1, v12
	s_cmp_lg_u32 s21, 0
	v_cndmask_b32_e64 v11, 0, 1, s[6:7]
	v_cmp_gt_i32_e64 s[6:7], v1, v14
	s_nop 1
	v_cndmask_b32_e64 v14, 0, 1, s[6:7]
	s_waitcnt lgkmcnt(1)
	v_cmp_gt_i32_e64 s[6:7], v1, v18
	s_nop 1
	v_cndmask_b32_e64 v15, 0, 1, s[6:7]
	v_cmp_gt_i32_e64 s[6:7], v1, v19
	s_nop 1
	v_cndmask_b32_e64 v18, 0, 1, s[6:7]
	v_cmp_gt_i32_e64 s[6:7], v1, v8
	s_nop 1
	v_addc_co_u32_e64 v4, s[6:7], v4, v6, s[6:7]
	v_cmp_gt_i32_e64 s[6:7], v1, v13
	v_addc_co_u32_e32 v4, vcc, v4, v9, vcc
	s_nop 0
	v_addc_co_u32_e64 v5, s[6:7], v5, v10, s[6:7]
	v_cmp_gt_i32_e32 vcc, v1, v17
	v_cmp_gt_i32_e64 s[6:7], v1, v16
	s_nop 0
	v_addc_co_u32_e32 v5, vcc, v5, v11, vcc
	v_addc_co_u32_e64 v4, s[6:7], v4, v14, s[6:7]
	s_waitcnt lgkmcnt(0)
	v_cmp_gt_i32_e32 vcc, v1, v20
	v_cmp_gt_i32_e64 s[6:7], v1, v21
	s_nop 0
	v_addc_co_u32_e32 v4, vcc, v4, v15, vcc
	v_addc_co_u32_e64 v5, s[6:7], v5, v18, s[6:7]
	s_cbranch_scc1 .LBB44_74
.LBB44_75:                              ;   in Loop: Header=BB44_71 Depth=1
	s_and_b64 vcc, exec, s[4:5]
	s_cbranch_vccnz .LBB44_78
; %bb.76:                               ;   in Loop: Header=BB44_71 Depth=1
	s_lshl_b32 s6, s19, 2
	s_add_i32 s6, s6, 0
	s_mov_b32 s7, s17
.LBB44_77:                              ;   Parent Loop BB44_71 Depth=1
                                        ; =>  This Inner Loop Header: Depth=2
	v_mov_b32_e32 v6, s6
	ds_read2_b32 v[6:7], v6 offset1:1
	s_add_i32 s6, s6, 8
	s_add_i32 s7, s7, -8
	s_cmp_lg_u32 s7, 0
	s_waitcnt lgkmcnt(0)
	v_cmp_gt_i32_e32 vcc, v1, v7
	s_nop 1
	v_addc_co_u32_e32 v5, vcc, 0, v5, vcc
	v_cmp_gt_i32_e32 vcc, v1, v6
	s_nop 1
	v_addc_co_u32_e32 v4, vcc, 0, v4, vcc
	s_cbranch_scc1 .LBB44_77
.LBB44_78:                              ;   in Loop: Header=BB44_71 Depth=1
	v_add_u32_e32 v4, v4, v5
	s_mov_b32 s19, s15
	s_mov_b64 s[6:7], s[10:11]
.LBB44_79:                              ;   in Loop: Header=BB44_71 Depth=1
	s_and_b64 vcc, exec, s[6:7]
	s_cbranch_vccz .LBB44_70
; %bb.80:                               ;   in Loop: Header=BB44_71 Depth=1
	s_lshl_b32 s6, s19, 2
	s_add_i32 s6, s6, 0
.LBB44_81:                              ;   Parent Loop BB44_71 Depth=1
                                        ; =>  This Inner Loop Header: Depth=2
	v_mov_b32_e32 v5, s6
	ds_read_b32 v5, v5
	s_add_i32 s19, s19, 1
	s_add_i32 s6, s6, 4
	s_cmp_ge_i32 s19, s14
	s_waitcnt lgkmcnt(0)
	v_cmp_gt_i32_e32 vcc, v1, v5
	s_nop 1
	v_addc_co_u32_e32 v4, vcc, 0, v4, vcc
	s_cbranch_scc0 .LBB44_81
	s_branch .LBB44_70
.LBB44_82:
	s_endpgm
	.section	.rodata,"a",@progbits
	.p2align	6, 0x0
	.amdhsa_kernel _ZN9rocsparseL41csrgemm_numeric_fill_block_per_row_kernelILj256ELj32ELj512ELj137ELj32Eii21rocsparse_complex_numIfEEEvT5_PKS3_S5_NS_24const_host_device_scalarIT6_EEPKT4_S5_PKS7_SB_S5_SD_S8_SB_S5_SD_SB_S5_PS7_21rocsparse_index_base_SF_SF_SF_bbb
		.amdhsa_group_segment_fixed_size 0
		.amdhsa_private_segment_fixed_size 0
		.amdhsa_kernarg_size 156
		.amdhsa_user_sgpr_count 2
		.amdhsa_user_sgpr_dispatch_ptr 0
		.amdhsa_user_sgpr_queue_ptr 0
		.amdhsa_user_sgpr_kernarg_segment_ptr 1
		.amdhsa_user_sgpr_dispatch_id 0
		.amdhsa_user_sgpr_kernarg_preload_length 0
		.amdhsa_user_sgpr_kernarg_preload_offset 0
		.amdhsa_user_sgpr_private_segment_size 0
		.amdhsa_uses_dynamic_stack 0
		.amdhsa_enable_private_segment 0
		.amdhsa_system_sgpr_workgroup_id_x 1
		.amdhsa_system_sgpr_workgroup_id_y 0
		.amdhsa_system_sgpr_workgroup_id_z 0
		.amdhsa_system_sgpr_workgroup_info 0
		.amdhsa_system_vgpr_workitem_id 0
		.amdhsa_next_free_vgpr 22
		.amdhsa_next_free_sgpr 55
		.amdhsa_accum_offset 24
		.amdhsa_reserve_vcc 1
		.amdhsa_float_round_mode_32 0
		.amdhsa_float_round_mode_16_64 0
		.amdhsa_float_denorm_mode_32 3
		.amdhsa_float_denorm_mode_16_64 3
		.amdhsa_dx10_clamp 1
		.amdhsa_ieee_mode 1
		.amdhsa_fp16_overflow 0
		.amdhsa_tg_split 0
		.amdhsa_exception_fp_ieee_invalid_op 0
		.amdhsa_exception_fp_denorm_src 0
		.amdhsa_exception_fp_ieee_div_zero 0
		.amdhsa_exception_fp_ieee_overflow 0
		.amdhsa_exception_fp_ieee_underflow 0
		.amdhsa_exception_fp_ieee_inexact 0
		.amdhsa_exception_int_div_zero 0
	.end_amdhsa_kernel
	.section	.text._ZN9rocsparseL41csrgemm_numeric_fill_block_per_row_kernelILj256ELj32ELj512ELj137ELj32Eii21rocsparse_complex_numIfEEEvT5_PKS3_S5_NS_24const_host_device_scalarIT6_EEPKT4_S5_PKS7_SB_S5_SD_S8_SB_S5_SD_SB_S5_PS7_21rocsparse_index_base_SF_SF_SF_bbb,"axG",@progbits,_ZN9rocsparseL41csrgemm_numeric_fill_block_per_row_kernelILj256ELj32ELj512ELj137ELj32Eii21rocsparse_complex_numIfEEEvT5_PKS3_S5_NS_24const_host_device_scalarIT6_EEPKT4_S5_PKS7_SB_S5_SD_S8_SB_S5_SD_SB_S5_PS7_21rocsparse_index_base_SF_SF_SF_bbb,comdat
.Lfunc_end44:
	.size	_ZN9rocsparseL41csrgemm_numeric_fill_block_per_row_kernelILj256ELj32ELj512ELj137ELj32Eii21rocsparse_complex_numIfEEEvT5_PKS3_S5_NS_24const_host_device_scalarIT6_EEPKT4_S5_PKS7_SB_S5_SD_S8_SB_S5_SD_SB_S5_PS7_21rocsparse_index_base_SF_SF_SF_bbb, .Lfunc_end44-_ZN9rocsparseL41csrgemm_numeric_fill_block_per_row_kernelILj256ELj32ELj512ELj137ELj32Eii21rocsparse_complex_numIfEEEvT5_PKS3_S5_NS_24const_host_device_scalarIT6_EEPKT4_S5_PKS7_SB_S5_SD_S8_SB_S5_SD_SB_S5_PS7_21rocsparse_index_base_SF_SF_SF_bbb
                                        ; -- End function
	.set _ZN9rocsparseL41csrgemm_numeric_fill_block_per_row_kernelILj256ELj32ELj512ELj137ELj32Eii21rocsparse_complex_numIfEEEvT5_PKS3_S5_NS_24const_host_device_scalarIT6_EEPKT4_S5_PKS7_SB_S5_SD_S8_SB_S5_SD_SB_S5_PS7_21rocsparse_index_base_SF_SF_SF_bbb.num_vgpr, 22
	.set _ZN9rocsparseL41csrgemm_numeric_fill_block_per_row_kernelILj256ELj32ELj512ELj137ELj32Eii21rocsparse_complex_numIfEEEvT5_PKS3_S5_NS_24const_host_device_scalarIT6_EEPKT4_S5_PKS7_SB_S5_SD_S8_SB_S5_SD_SB_S5_PS7_21rocsparse_index_base_SF_SF_SF_bbb.num_agpr, 0
	.set _ZN9rocsparseL41csrgemm_numeric_fill_block_per_row_kernelILj256ELj32ELj512ELj137ELj32Eii21rocsparse_complex_numIfEEEvT5_PKS3_S5_NS_24const_host_device_scalarIT6_EEPKT4_S5_PKS7_SB_S5_SD_S8_SB_S5_SD_SB_S5_PS7_21rocsparse_index_base_SF_SF_SF_bbb.numbered_sgpr, 55
	.set _ZN9rocsparseL41csrgemm_numeric_fill_block_per_row_kernelILj256ELj32ELj512ELj137ELj32Eii21rocsparse_complex_numIfEEEvT5_PKS3_S5_NS_24const_host_device_scalarIT6_EEPKT4_S5_PKS7_SB_S5_SD_S8_SB_S5_SD_SB_S5_PS7_21rocsparse_index_base_SF_SF_SF_bbb.num_named_barrier, 0
	.set _ZN9rocsparseL41csrgemm_numeric_fill_block_per_row_kernelILj256ELj32ELj512ELj137ELj32Eii21rocsparse_complex_numIfEEEvT5_PKS3_S5_NS_24const_host_device_scalarIT6_EEPKT4_S5_PKS7_SB_S5_SD_S8_SB_S5_SD_SB_S5_PS7_21rocsparse_index_base_SF_SF_SF_bbb.private_seg_size, 0
	.set _ZN9rocsparseL41csrgemm_numeric_fill_block_per_row_kernelILj256ELj32ELj512ELj137ELj32Eii21rocsparse_complex_numIfEEEvT5_PKS3_S5_NS_24const_host_device_scalarIT6_EEPKT4_S5_PKS7_SB_S5_SD_S8_SB_S5_SD_SB_S5_PS7_21rocsparse_index_base_SF_SF_SF_bbb.uses_vcc, 1
	.set _ZN9rocsparseL41csrgemm_numeric_fill_block_per_row_kernelILj256ELj32ELj512ELj137ELj32Eii21rocsparse_complex_numIfEEEvT5_PKS3_S5_NS_24const_host_device_scalarIT6_EEPKT4_S5_PKS7_SB_S5_SD_S8_SB_S5_SD_SB_S5_PS7_21rocsparse_index_base_SF_SF_SF_bbb.uses_flat_scratch, 0
	.set _ZN9rocsparseL41csrgemm_numeric_fill_block_per_row_kernelILj256ELj32ELj512ELj137ELj32Eii21rocsparse_complex_numIfEEEvT5_PKS3_S5_NS_24const_host_device_scalarIT6_EEPKT4_S5_PKS7_SB_S5_SD_S8_SB_S5_SD_SB_S5_PS7_21rocsparse_index_base_SF_SF_SF_bbb.has_dyn_sized_stack, 0
	.set _ZN9rocsparseL41csrgemm_numeric_fill_block_per_row_kernelILj256ELj32ELj512ELj137ELj32Eii21rocsparse_complex_numIfEEEvT5_PKS3_S5_NS_24const_host_device_scalarIT6_EEPKT4_S5_PKS7_SB_S5_SD_S8_SB_S5_SD_SB_S5_PS7_21rocsparse_index_base_SF_SF_SF_bbb.has_recursion, 0
	.set _ZN9rocsparseL41csrgemm_numeric_fill_block_per_row_kernelILj256ELj32ELj512ELj137ELj32Eii21rocsparse_complex_numIfEEEvT5_PKS3_S5_NS_24const_host_device_scalarIT6_EEPKT4_S5_PKS7_SB_S5_SD_S8_SB_S5_SD_SB_S5_PS7_21rocsparse_index_base_SF_SF_SF_bbb.has_indirect_call, 0
	.section	.AMDGPU.csdata,"",@progbits
; Kernel info:
; codeLenInByte = 2948
; TotalNumSgprs: 61
; NumVgprs: 22
; NumAgprs: 0
; TotalNumVgprs: 22
; ScratchSize: 0
; MemoryBound: 0
; FloatMode: 240
; IeeeMode: 1
; LDSByteSize: 0 bytes/workgroup (compile time only)
; SGPRBlocks: 7
; VGPRBlocks: 2
; NumSGPRsForWavesPerEU: 61
; NumVGPRsForWavesPerEU: 22
; AccumOffset: 24
; Occupancy: 8
; WaveLimiterHint : 1
; COMPUTE_PGM_RSRC2:SCRATCH_EN: 0
; COMPUTE_PGM_RSRC2:USER_SGPR: 2
; COMPUTE_PGM_RSRC2:TRAP_HANDLER: 0
; COMPUTE_PGM_RSRC2:TGID_X_EN: 1
; COMPUTE_PGM_RSRC2:TGID_Y_EN: 0
; COMPUTE_PGM_RSRC2:TGID_Z_EN: 0
; COMPUTE_PGM_RSRC2:TIDIG_COMP_CNT: 0
; COMPUTE_PGM_RSRC3_GFX90A:ACCUM_OFFSET: 5
; COMPUTE_PGM_RSRC3_GFX90A:TG_SPLIT: 0
	.section	.text._ZN9rocsparseL41csrgemm_numeric_fill_block_per_row_kernelILj256ELj32ELj512ELj137ELj64Eii21rocsparse_complex_numIfEEEvT5_PKS3_S5_NS_24const_host_device_scalarIT6_EEPKT4_S5_PKS7_SB_S5_SD_S8_SB_S5_SD_SB_S5_PS7_21rocsparse_index_base_SF_SF_SF_bbb,"axG",@progbits,_ZN9rocsparseL41csrgemm_numeric_fill_block_per_row_kernelILj256ELj32ELj512ELj137ELj64Eii21rocsparse_complex_numIfEEEvT5_PKS3_S5_NS_24const_host_device_scalarIT6_EEPKT4_S5_PKS7_SB_S5_SD_S8_SB_S5_SD_SB_S5_PS7_21rocsparse_index_base_SF_SF_SF_bbb,comdat
	.globl	_ZN9rocsparseL41csrgemm_numeric_fill_block_per_row_kernelILj256ELj32ELj512ELj137ELj64Eii21rocsparse_complex_numIfEEEvT5_PKS3_S5_NS_24const_host_device_scalarIT6_EEPKT4_S5_PKS7_SB_S5_SD_S8_SB_S5_SD_SB_S5_PS7_21rocsparse_index_base_SF_SF_SF_bbb ; -- Begin function _ZN9rocsparseL41csrgemm_numeric_fill_block_per_row_kernelILj256ELj32ELj512ELj137ELj64Eii21rocsparse_complex_numIfEEEvT5_PKS3_S5_NS_24const_host_device_scalarIT6_EEPKT4_S5_PKS7_SB_S5_SD_S8_SB_S5_SD_SB_S5_PS7_21rocsparse_index_base_SF_SF_SF_bbb
	.p2align	8
	.type	_ZN9rocsparseL41csrgemm_numeric_fill_block_per_row_kernelILj256ELj32ELj512ELj137ELj64Eii21rocsparse_complex_numIfEEEvT5_PKS3_S5_NS_24const_host_device_scalarIT6_EEPKT4_S5_PKS7_SB_S5_SD_S8_SB_S5_SD_SB_S5_PS7_21rocsparse_index_base_SF_SF_SF_bbb,@function
_ZN9rocsparseL41csrgemm_numeric_fill_block_per_row_kernelILj256ELj32ELj512ELj137ELj64Eii21rocsparse_complex_numIfEEEvT5_PKS3_S5_NS_24const_host_device_scalarIT6_EEPKT4_S5_PKS7_SB_S5_SD_S8_SB_S5_SD_SB_S5_PS7_21rocsparse_index_base_SF_SF_SF_bbb: ; @_ZN9rocsparseL41csrgemm_numeric_fill_block_per_row_kernelILj256ELj32ELj512ELj137ELj64Eii21rocsparse_complex_numIfEEEvT5_PKS3_S5_NS_24const_host_device_scalarIT6_EEPKT4_S5_PKS7_SB_S5_SD_S8_SB_S5_SD_SB_S5_PS7_21rocsparse_index_base_SF_SF_SF_bbb
; %bb.0:
	s_load_dwordx2 s[40:41], s[0:1], 0x70
	s_load_dwordx4 s[28:31], s[0:1], 0x60
	s_load_dwordx8 s[8:15], s[0:1], 0x40
	s_load_dword s3, s[0:1], 0x98
	s_load_dwordx4 s[36:39], s[0:1], 0x8
	s_load_dwordx8 s[16:23], s[0:1], 0x20
	s_load_dwordx2 s[34:35], s[0:1], 0x80
	s_load_dwordx4 s[24:27], s[0:1], 0x88
	s_waitcnt lgkmcnt(0)
	s_bitcmp1_b32 s3, 0
	s_cselect_b64 s[44:45], -1, 0
	s_bitcmp1_b32 s3, 16
	s_cselect_b64 s[4:5], -1, 0
	s_xor_b64 s[4:5], s[4:5], -1
	v_cndmask_b32_e64 v1, 0, 1, s[4:5]
	s_mov_b32 s7, 0
	s_bitcmp0_b32 s3, 0
	v_cmp_ne_u32_e64 s[4:5], 1, v1
	s_mov_b32 s54, 0
	s_cbranch_scc1 .LBB45_5
; %bb.1:
	s_load_dwordx2 s[6:7], s[0:1], 0x18
	s_and_b64 vcc, exec, s[4:5]
	s_waitcnt lgkmcnt(0)
	s_mov_b32 s54, s6
	s_cbranch_vccnz .LBB45_3
; %bb.2:
	s_load_dword s54, s[6:7], 0x0
.LBB45_3:
	s_and_b64 vcc, exec, s[4:5]
	s_cbranch_vccnz .LBB45_5
; %bb.4:
	s_load_dword s7, s[6:7], 0x4
.LBB45_5:
	s_bitcmp1_b32 s3, 8
	s_cselect_b64 s[42:43], -1, 0
	s_bfe_u32 s3, s3, 0x10008
	s_mov_b32 s52, 0
	s_cmp_eq_u32 s3, 0
	s_mov_b32 s53, 0
	s_cbranch_scc1 .LBB45_11
; %bb.6:
	s_and_b64 vcc, exec, s[4:5]
	s_mov_b32 s52, s12
	s_cbranch_vccnz .LBB45_8
; %bb.7:
	s_load_dword s52, s[12:13], 0x0
.LBB45_8:
	s_and_b64 vcc, exec, s[4:5]
	s_cbranch_vccnz .LBB45_10
; %bb.9:
	s_load_dword s13, s[12:13], 0x4
.LBB45_10:
	s_waitcnt lgkmcnt(0)
	s_mov_b32 s53, s13
.LBB45_11:
	s_load_dword s33, s[0:1], 0x0
	s_movk_i32 s0, 0x200
	v_cmp_gt_u32_e64 s[0:1], s0, v0
	v_lshl_add_u32 v8, v0, 3, 0
	v_lshl_add_u32 v1, v0, 2, 0
	s_and_saveexec_b64 s[4:5], s[0:1]
	s_cbranch_execz .LBB45_14
; %bb.12:
	v_add_u32_e32 v2, 0x800, v8
	v_or_b32_e32 v3, 0xffffff00, v0
	v_lshl_add_u32 v4, v0, 2, 0
	s_mov_b64 s[12:13], 0
	s_waitcnt lgkmcnt(0)
	v_mov_b32_e32 v6, s33
	v_mov_b32_e32 v5, 0
.LBB45_13:                              ; =>This Inner Loop Header: Depth=1
	v_add_co_u32_e32 v3, vcc, 0x100, v3
	s_xor_b64 s[46:47], vcc, -1
	s_and_b64 s[46:47], exec, s[46:47]
	ds_write_b32 v4, v6
	ds_write2_b32 v2, v5, v5 offset1:1
	v_add_u32_e32 v2, 0x800, v2
	s_or_b64 s[12:13], s[46:47], s[12:13]
	v_add_u32_e32 v4, 0x400, v4
	s_andn2_b64 exec, exec, s[12:13]
	s_cbranch_execnz .LBB45_13
.LBB45_14:
	s_or_b64 exec, exec, s[4:5]
	s_waitcnt lgkmcnt(0)
	s_barrier
	s_load_dword s3, s[36:37], 0x0
	s_waitcnt lgkmcnt(0)
	s_add_i32 s2, s3, s2
	s_mov_b32 s3, 0
	s_lshl_b64 s[2:3], s[2:3], 2
	s_add_u32 s2, s38, s2
	s_addc_u32 s3, s39, s3
	s_load_dword s12, s[2:3], 0x0
	s_and_b64 vcc, exec, s[44:45]
	s_cbranch_vccz .LBB45_32
; %bb.15:
	s_waitcnt lgkmcnt(0)
	s_ashr_i32 s13, s12, 31
	s_lshl_b64 s[2:3], s[12:13], 2
	s_add_u32 s2, s16, s2
	s_addc_u32 s3, s17, s3
	s_load_dwordx2 s[4:5], s[2:3], 0x0
	v_lshrrev_b32_e32 v2, 5, v0
	v_subrev_u32_e32 v2, s24, v2
	s_waitcnt lgkmcnt(0)
	s_sub_i32 s6, s5, s24
	v_add_u32_e32 v2, s4, v2
	v_cmp_gt_i32_e32 vcc, s6, v2
	s_and_saveexec_b64 s[2:3], vcc
	s_cbranch_execz .LBB45_31
; %bb.16:
	v_and_b32_e32 v3, 31, v0
	v_subrev_u32_e32 v9, s25, v3
	s_mov_b64 s[4:5], 0
	s_movk_i32 s13, 0x89
	s_branch .LBB45_18
.LBB45_17:                              ;   in Loop: Header=BB45_18 Depth=1
	s_or_b64 exec, exec, s[16:17]
	v_add_u32_e32 v2, 8, v2
	v_cmp_le_i32_e32 vcc, s6, v2
	s_or_b64 s[4:5], vcc, s[4:5]
	s_andn2_b64 exec, exec, s[4:5]
	s_cbranch_execz .LBB45_31
.LBB45_18:                              ; =>This Loop Header: Depth=1
                                        ;     Child Loop BB45_22 Depth 2
                                        ;       Child Loop BB45_25 Depth 3
	v_ashrrev_i32_e32 v3, 31, v2
	v_lshl_add_u64 v[4:5], v[2:3], 2, s[18:19]
	global_load_dword v4, v[4:5], off
	s_waitcnt vmcnt(0)
	v_subrev_u32_e32 v4, s24, v4
	v_ashrrev_i32_e32 v5, 31, v4
	v_lshl_add_u64 v[4:5], v[4:5], 2, s[22:23]
	global_load_dwordx2 v[4:5], v[4:5], off
	s_waitcnt vmcnt(0)
	v_subrev_u32_e32 v10, s25, v5
	v_add_u32_e32 v4, v4, v9
	v_cmp_lt_i32_e32 vcc, v4, v10
	s_and_saveexec_b64 s[16:17], vcc
	s_cbranch_execz .LBB45_17
; %bb.19:                               ;   in Loop: Header=BB45_18 Depth=1
	v_lshl_add_u64 v[6:7], v[2:3], 3, s[20:21]
	global_load_dwordx2 v[6:7], v[6:7], off
	s_mov_b64 s[36:37], 0
	s_waitcnt vmcnt(0)
	v_mul_f32_e64 v3, v7, -s7
	v_mul_f32_e32 v11, s54, v7
	v_fmac_f32_e32 v3, s54, v6
	v_fmac_f32_e32 v11, s7, v6
	s_branch .LBB45_22
.LBB45_20:                              ;   in Loop: Header=BB45_22 Depth=2
	s_or_b64 exec, exec, s[44:45]
.LBB45_21:                              ;   in Loop: Header=BB45_22 Depth=2
	s_or_b64 exec, exec, s[38:39]
	s_waitcnt vmcnt(0)
	v_mul_f32_e64 v12, v7, -v11
	v_fmac_f32_e32 v12, v3, v6
	v_mul_f32_e32 v7, v3, v7
	v_lshl_add_u32 v5, v5, 3, 0
	v_fmac_f32_e32 v7, v11, v6
	ds_add_f32 v5, v12 offset:2048
	ds_add_f32 v5, v7 offset:2052
	v_add_u32_e32 v4, 32, v4
	v_cmp_ge_i32_e32 vcc, v4, v10
	s_or_b64 s[36:37], vcc, s[36:37]
	s_andn2_b64 exec, exec, s[36:37]
	s_cbranch_execz .LBB45_17
.LBB45_22:                              ;   Parent Loop BB45_18 Depth=1
                                        ; =>  This Loop Header: Depth=2
                                        ;       Child Loop BB45_25 Depth 3
	v_ashrrev_i32_e32 v5, 31, v4
	v_lshl_add_u64 v[6:7], v[4:5], 2, s[8:9]
	global_load_dword v12, v[6:7], off
	v_lshl_add_u64 v[6:7], v[4:5], 3, s[10:11]
	global_load_dwordx2 v[6:7], v[6:7], off
	s_waitcnt vmcnt(1)
	v_subrev_u32_e32 v12, s25, v12
	v_mul_lo_u32 v5, v12, s13
	v_and_b32_e32 v5, 0x1ff, v5
	v_lshl_add_u32 v13, v5, 2, 0
	ds_read_b32 v14, v13
	s_waitcnt lgkmcnt(0)
	v_cmp_ne_u32_e32 vcc, v14, v12
	s_and_saveexec_b64 s[38:39], vcc
	s_cbranch_execz .LBB45_21
; %bb.23:                               ;   in Loop: Header=BB45_22 Depth=2
	s_mov_b64 s[44:45], 0
	s_branch .LBB45_25
.LBB45_24:                              ;   in Loop: Header=BB45_25 Depth=3
	s_or_b64 exec, exec, s[50:51]
	s_and_b64 s[46:47], exec, s[48:49]
	s_or_b64 s[44:45], s[46:47], s[44:45]
	s_andn2_b64 exec, exec, s[44:45]
	s_cbranch_execz .LBB45_20
.LBB45_25:                              ;   Parent Loop BB45_18 Depth=1
                                        ;     Parent Loop BB45_22 Depth=2
                                        ; =>    This Inner Loop Header: Depth=3
	v_cmp_ne_u32_e32 vcc, s33, v14
	s_mov_b64 s[46:47], 0
	s_and_saveexec_b64 s[48:49], vcc
	s_xor_b64 s[48:49], exec, s[48:49]
	s_cbranch_execz .LBB45_27
; %bb.26:                               ;   in Loop: Header=BB45_25 Depth=3
	v_add_u32_e32 v5, 1, v5
	s_mov_b64 s[46:47], exec
	v_and_b32_e32 v5, 0x1ff, v5
                                        ; implicit-def: $vgpr13
	s_andn2_saveexec_b64 s[48:49], s[48:49]
	s_cbranch_execz .LBB45_29
	s_branch .LBB45_28
.LBB45_27:                              ;   in Loop: Header=BB45_25 Depth=3
	s_andn2_saveexec_b64 s[48:49], s[48:49]
	s_cbranch_execz .LBB45_29
.LBB45_28:                              ;   in Loop: Header=BB45_25 Depth=3
	v_mov_b32_e32 v14, s33
	ds_cmpst_rtn_b32 v13, v13, v14, v12
	s_andn2_b64 s[46:47], s[46:47], exec
	s_waitcnt lgkmcnt(0)
	v_cmp_ne_u32_e32 vcc, s33, v13
	s_and_b64 s[50:51], vcc, exec
	s_or_b64 s[46:47], s[46:47], s[50:51]
.LBB45_29:                              ;   in Loop: Header=BB45_25 Depth=3
	s_or_b64 exec, exec, s[48:49]
	s_mov_b64 s[48:49], -1
                                        ; implicit-def: $vgpr13
                                        ; implicit-def: $vgpr14
	s_and_saveexec_b64 s[50:51], s[46:47]
	s_cbranch_execz .LBB45_24
; %bb.30:                               ;   in Loop: Header=BB45_25 Depth=3
	v_lshl_add_u32 v13, v5, 2, 0
	ds_read_b32 v14, v13
	s_waitcnt lgkmcnt(0)
	v_cmp_eq_u32_e32 vcc, v14, v12
	s_orn2_b64 s[48:49], vcc, exec
	s_branch .LBB45_24
.LBB45_31:
	s_or_b64 exec, exec, s[2:3]
.LBB45_32:
	s_andn2_b64 vcc, exec, s[42:43]
	s_cbranch_vccnz .LBB45_47
; %bb.33:
	s_waitcnt lgkmcnt(0)
	s_ashr_i32 s13, s12, 31
	s_lshl_b64 s[2:3], s[12:13], 2
	s_add_u32 s2, s14, s2
	s_addc_u32 s3, s15, s3
	s_load_dwordx2 s[4:5], s[2:3], 0x0
	v_subrev_u32_e32 v2, s27, v0
	s_waitcnt lgkmcnt(0)
	s_sub_i32 s13, s5, s27
	v_add_u32_e32 v2, s4, v2
	v_cmp_gt_i32_e32 vcc, s13, v2
	s_and_saveexec_b64 s[2:3], vcc
	s_cbranch_execz .LBB45_46
; %bb.34:
	s_mov_b64 s[4:5], 0
	s_movk_i32 s18, 0x89
	s_branch .LBB45_37
.LBB45_35:                              ;   in Loop: Header=BB45_37 Depth=1
	s_or_b64 exec, exec, s[8:9]
.LBB45_36:                              ;   in Loop: Header=BB45_37 Depth=1
	s_or_b64 exec, exec, s[6:7]
	s_waitcnt vmcnt(0)
	v_mul_f32_e64 v6, v5, -s53
	v_fmac_f32_e32 v6, s52, v4
	v_mul_f32_e32 v5, s52, v5
	v_lshl_add_u32 v3, v3, 3, 0
	v_fmac_f32_e32 v5, s53, v4
	ds_add_f32 v3, v6 offset:2048
	ds_add_f32 v3, v5 offset:2052
	v_add_u32_e32 v2, 0x100, v2
	v_cmp_le_i32_e32 vcc, s13, v2
	s_or_b64 s[4:5], vcc, s[4:5]
	s_andn2_b64 exec, exec, s[4:5]
	s_cbranch_execz .LBB45_46
.LBB45_37:                              ; =>This Loop Header: Depth=1
                                        ;     Child Loop BB45_40 Depth 2
	v_ashrrev_i32_e32 v3, 31, v2
	v_lshl_add_u64 v[4:5], v[2:3], 2, s[28:29]
	global_load_dword v6, v[4:5], off
	v_lshl_add_u64 v[4:5], v[2:3], 3, s[30:31]
	global_load_dwordx2 v[4:5], v[4:5], off
	s_waitcnt vmcnt(1)
	v_subrev_u32_e32 v6, s27, v6
	v_mul_lo_u32 v3, v6, s18
	v_and_b32_e32 v3, 0x1ff, v3
	v_lshl_add_u32 v7, v3, 2, 0
	ds_read_b32 v9, v7
	s_waitcnt lgkmcnt(0)
	v_cmp_ne_u32_e32 vcc, v9, v6
	s_and_saveexec_b64 s[6:7], vcc
	s_cbranch_execz .LBB45_36
; %bb.38:                               ;   in Loop: Header=BB45_37 Depth=1
	s_mov_b64 s[8:9], 0
	s_branch .LBB45_40
.LBB45_39:                              ;   in Loop: Header=BB45_40 Depth=2
	s_or_b64 exec, exec, s[16:17]
	s_and_b64 s[10:11], exec, s[14:15]
	s_or_b64 s[8:9], s[10:11], s[8:9]
	s_andn2_b64 exec, exec, s[8:9]
	s_cbranch_execz .LBB45_35
.LBB45_40:                              ;   Parent Loop BB45_37 Depth=1
                                        ; =>  This Inner Loop Header: Depth=2
	v_cmp_ne_u32_e32 vcc, s33, v9
	s_mov_b64 s[10:11], 0
	s_and_saveexec_b64 s[14:15], vcc
	s_xor_b64 s[14:15], exec, s[14:15]
	s_cbranch_execz .LBB45_42
; %bb.41:                               ;   in Loop: Header=BB45_40 Depth=2
	v_add_u32_e32 v3, 1, v3
	s_mov_b64 s[10:11], exec
	v_and_b32_e32 v3, 0x1ff, v3
                                        ; implicit-def: $vgpr7
	s_andn2_saveexec_b64 s[14:15], s[14:15]
	s_cbranch_execz .LBB45_44
	s_branch .LBB45_43
.LBB45_42:                              ;   in Loop: Header=BB45_40 Depth=2
	s_andn2_saveexec_b64 s[14:15], s[14:15]
	s_cbranch_execz .LBB45_44
.LBB45_43:                              ;   in Loop: Header=BB45_40 Depth=2
	v_mov_b32_e32 v9, s33
	ds_cmpst_rtn_b32 v7, v7, v9, v6
	s_andn2_b64 s[10:11], s[10:11], exec
	s_waitcnt lgkmcnt(0)
	v_cmp_ne_u32_e32 vcc, s33, v7
	s_and_b64 s[16:17], vcc, exec
	s_or_b64 s[10:11], s[10:11], s[16:17]
.LBB45_44:                              ;   in Loop: Header=BB45_40 Depth=2
	s_or_b64 exec, exec, s[14:15]
	s_mov_b64 s[14:15], -1
                                        ; implicit-def: $vgpr7
                                        ; implicit-def: $vgpr9
	s_and_saveexec_b64 s[16:17], s[10:11]
	s_cbranch_execz .LBB45_39
; %bb.45:                               ;   in Loop: Header=BB45_40 Depth=2
	v_lshl_add_u32 v7, v3, 2, 0
	ds_read_b32 v9, v7
	s_waitcnt lgkmcnt(0)
	v_cmp_eq_u32_e32 vcc, v9, v6
	s_orn2_b64 s[14:15], vcc, exec
	s_branch .LBB45_39
.LBB45_46:
	s_or_b64 exec, exec, s[2:3]
.LBB45_47:
	s_waitcnt lgkmcnt(0)
	s_barrier
	s_and_saveexec_b64 s[8:9], s[0:1]
	s_cbranch_execz .LBB45_60
; %bb.48:
	v_mbcnt_lo_u32_b32 v2, -1, 0
	v_mbcnt_hi_u32_b32 v2, -1, v2
	v_lshrrev_b32_e32 v4, 4, v0
	v_sub_u32_e32 v2, 63, v2
	v_and_b32_e32 v4, 12, v4
	s_movk_i32 s0, 0xff
	s_movk_i32 s4, 0x7f
	;; [unrolled: 1-line block ×3, first 2 shown]
	v_mov_b32_e32 v6, 0
	v_lshrrev_b64 v[2:3], v2, -1
	v_add_u32_e32 v7, 0, v4
	v_cmp_eq_u32_e64 s[0:1], s0, v0
	v_cmp_lt_u32_e64 s[2:3], 63, v0
	v_cmp_lt_u32_e64 s[4:5], s4, v0
	;; [unrolled: 1-line block ×3, first 2 shown]
	v_add_u32_e32 v8, 0x800, v8
	v_or_b32_e32 v9, 0xffffff00, v0
	s_mov_b64 s[10:11], 0
	v_mov_b32_e32 v10, 0
	s_branch .LBB45_50
.LBB45_49:                              ;   in Loop: Header=BB45_50 Depth=1
	s_or_b64 exec, exec, s[14:15]
	s_waitcnt lgkmcnt(0)
	s_barrier
	ds_read_b32 v4, v6 offset:6156
	v_add_co_u32_e32 v9, vcc, 0x100, v9
	s_xor_b64 s[14:15], vcc, -1
	s_and_b64 s[14:15], exec, s[14:15]
	v_add_u32_e32 v8, 0x800, v8
	s_waitcnt lgkmcnt(0)
	v_add_u32_e32 v10, v4, v10
	s_or_b64 s[10:11], s[14:15], s[10:11]
	v_add_u32_e32 v1, 0x400, v1
	s_andn2_b64 exec, exec, s[10:11]
	s_cbranch_execz .LBB45_60
.LBB45_50:                              ; =>This Inner Loop Header: Depth=1
	ds_read_b32 v11, v1
	ds_read2_b32 v[4:5], v8 offset1:1
	s_waitcnt lgkmcnt(0)
	s_barrier
	v_cmp_gt_i32_e32 vcc, s33, v11
	s_bcnt1_i32_b64 s13, vcc
	s_nop 0
	v_and_b32_e32 v13, vcc_lo, v2
	v_and_b32_e32 v12, vcc_hi, v3
	v_bcnt_u32_b32 v13, v13, 0
	v_bcnt_u32_b32 v12, v12, v13
	v_mov_b32_e32 v13, s13
	ds_write_b32 v7, v13 offset:6144
	s_waitcnt lgkmcnt(0)
	s_barrier
	s_and_saveexec_b64 s[14:15], s[2:3]
	s_cbranch_execz .LBB45_55
; %bb.51:                               ;   in Loop: Header=BB45_50 Depth=1
	ds_read_b32 v13, v6 offset:6144
	s_waitcnt lgkmcnt(0)
	v_add_u32_e32 v12, v13, v12
	s_or_b64 exec, exec, s[14:15]
	s_and_saveexec_b64 s[14:15], s[4:5]
	s_cbranch_execnz .LBB45_56
.LBB45_52:                              ;   in Loop: Header=BB45_50 Depth=1
	s_or_b64 exec, exec, s[14:15]
	s_and_saveexec_b64 s[14:15], s[6:7]
	s_cbranch_execz .LBB45_57
.LBB45_53:                              ;   in Loop: Header=BB45_50 Depth=1
	ds_read_b32 v13, v6 offset:6152
	s_waitcnt lgkmcnt(0)
	v_add_u32_e32 v12, v13, v12
	s_or_b64 exec, exec, s[14:15]
	s_and_saveexec_b64 s[14:15], vcc
	s_cbranch_execnz .LBB45_58
.LBB45_54:                              ;   in Loop: Header=BB45_50 Depth=1
	s_or_b64 exec, exec, s[14:15]
	s_and_saveexec_b64 s[14:15], s[0:1]
	s_cbranch_execz .LBB45_49
	s_branch .LBB45_59
.LBB45_55:                              ;   in Loop: Header=BB45_50 Depth=1
	s_or_b64 exec, exec, s[14:15]
	s_and_saveexec_b64 s[14:15], s[4:5]
	s_cbranch_execz .LBB45_52
.LBB45_56:                              ;   in Loop: Header=BB45_50 Depth=1
	ds_read_b32 v13, v6 offset:6148
	s_waitcnt lgkmcnt(0)
	v_add_u32_e32 v12, v13, v12
	s_or_b64 exec, exec, s[14:15]
	s_and_saveexec_b64 s[14:15], s[6:7]
	s_cbranch_execnz .LBB45_53
.LBB45_57:                              ;   in Loop: Header=BB45_50 Depth=1
	s_or_b64 exec, exec, s[14:15]
	s_and_saveexec_b64 s[14:15], vcc
	s_cbranch_execz .LBB45_54
.LBB45_58:                              ;   in Loop: Header=BB45_50 Depth=1
	v_add3_u32 v13, v10, -1, v12
	v_add_u32_e32 v14, v10, v12
	v_lshl_add_u32 v13, v13, 2, 0
	v_lshl_add_u32 v14, v14, 3, 0
	v_add_u32_e32 v14, 0x7f8, v14
	ds_write_b32 v13, v11
	ds_write2_b32 v14, v4, v5 offset1:1
	s_or_b64 exec, exec, s[14:15]
	s_and_saveexec_b64 s[14:15], s[0:1]
	s_cbranch_execz .LBB45_49
.LBB45_59:                              ;   in Loop: Header=BB45_50 Depth=1
	ds_write_b32 v6, v12 offset:6156
	s_branch .LBB45_49
.LBB45_60:
	s_or_b64 exec, exec, s[8:9]
	s_ashr_i32 s13, s12, 31
	s_lshl_b64 s[0:1], s[12:13], 2
	s_add_u32 s2, s40, s0
	s_addc_u32 s3, s41, s1
	s_load_dwordx2 s[0:1], s[2:3], 0x0
	s_waitcnt lgkmcnt(0)
	s_sub_i32 s14, s1, s0
	v_cmp_gt_i32_e32 vcc, s14, v0
	s_and_saveexec_b64 s[2:3], vcc
	s_cbranch_execz .LBB45_74
; %bb.61:
	s_sub_i32 s8, s0, s26
	v_sub_co_u32_e64 v1, s[0:1], s14, 2
	s_nop 0
	v_readfirstlane_b32 s2, v1
	s_lshr_b32 s2, s2, 1
	s_add_i32 s2, s2, 1
	s_xor_b64 s[0:1], s[0:1], -1
	s_and_b32 s15, s14, -2
	s_and_b32 s3, s2, 7
	s_and_b32 s16, s2, -8
	s_cmp_lg_u32 s3, 0
	v_cmp_lt_u32_e32 vcc, 13, v1
	s_cselect_b64 s[4:5], -1, 0
	s_cmp_lg_u32 s14, s15
	v_cndmask_b32_e64 v1, 0, 1, vcc
	s_cselect_b64 s[10:11], -1, 0
	s_lshl_b32 s17, s3, 3
	v_cndmask_b32_e64 v2, 0, 1, s[0:1]
	v_cmp_ne_u32_e64 s[2:3], 1, v1
	v_cndmask_b32_e64 v1, 0, 1, s[4:5]
	s_mov_b32 s9, 0
	s_mov_b64 s[12:13], 0
	s_movk_i32 s18, 0x800
	v_cmp_ne_u32_e64 s[0:1], 1, v2
	v_cmp_ne_u32_e64 s[4:5], 1, v1
	s_branch .LBB45_63
.LBB45_62:                              ;   in Loop: Header=BB45_63 Depth=1
	v_add_u32_e32 v0, 0x100, v0
	v_ashrrev_i32_e32 v5, 31, v4
	v_cmp_le_i32_e32 vcc, s14, v0
	v_lshl_add_u64 v[4:5], v[4:5], 3, s[34:35]
	s_or_b64 s[12:13], vcc, s[12:13]
	s_waitcnt lgkmcnt(0)
	global_store_dwordx2 v[4:5], v[2:3], off
	s_andn2_b64 exec, exec, s[12:13]
	s_cbranch_execz .LBB45_74
.LBB45_63:                              ; =>This Loop Header: Depth=1
                                        ;     Child Loop BB45_66 Depth 2
                                        ;     Child Loop BB45_69 Depth 2
	;; [unrolled: 1-line block ×3, first 2 shown]
	v_lshlrev_b32_e32 v1, 2, v0
	v_add_u32_e32 v2, 0, v1
	v_add3_u32 v3, v2, v1, s18
	ds_read_b32 v1, v2
	ds_read2_b32 v[2:3], v3 offset1:1
	s_and_b64 vcc, exec, s[0:1]
	v_mov_b32_e32 v4, s8
	s_mov_b32 s19, 0
	s_mov_b64 s[6:7], -1
	s_cbranch_vccnz .LBB45_71
; %bb.64:                               ;   in Loop: Header=BB45_63 Depth=1
	s_and_b64 vcc, exec, s[2:3]
	v_mov_b64_e32 v[4:5], s[8:9]
	s_cbranch_vccnz .LBB45_67
; %bb.65:                               ;   in Loop: Header=BB45_63 Depth=1
	s_mov_b32 s20, 0
	v_mov_b32_e32 v4, s8
	v_mov_b32_e32 v5, 0
	s_mov_b32 s21, s16
.LBB45_66:                              ;   Parent Loop BB45_63 Depth=1
                                        ; =>  This Inner Loop Header: Depth=2
	v_mov_b32_e32 v20, s20
	ds_read2_b32 v[6:7], v20 offset1:1
	ds_read2_b32 v[8:9], v20 offset0:2 offset1:3
	ds_read2_b32 v[10:11], v20 offset0:4 offset1:5
	;; [unrolled: 1-line block ×7, first 2 shown]
	s_waitcnt lgkmcnt(7)
	v_cmp_gt_i32_e32 vcc, v1, v7
	s_waitcnt lgkmcnt(5)
	v_cmp_gt_i32_e64 s[6:7], v1, v10
	s_add_i32 s19, s19, 16
	v_cndmask_b32_e64 v7, 0, 1, vcc
	v_cmp_gt_i32_e32 vcc, v1, v6
	s_add_i32 s20, s20, 64
	s_add_i32 s21, s21, -8
	v_cndmask_b32_e64 v6, 0, 1, vcc
	v_cmp_gt_i32_e32 vcc, v1, v9
	v_cndmask_b32_e64 v9, 0, 1, s[6:7]
	v_cmp_gt_i32_e64 s[6:7], v1, v11
	v_addc_co_u32_e32 v5, vcc, v5, v7, vcc
	s_nop 0
	v_cndmask_b32_e64 v10, 0, 1, s[6:7]
	s_waitcnt lgkmcnt(3)
	v_cmp_gt_i32_e64 s[6:7], v1, v15
	v_cmp_gt_i32_e32 vcc, v1, v12
	s_cmp_lg_u32 s21, 0
	v_cndmask_b32_e64 v11, 0, 1, s[6:7]
	v_cmp_gt_i32_e64 s[6:7], v1, v14
	s_nop 1
	v_cndmask_b32_e64 v14, 0, 1, s[6:7]
	s_waitcnt lgkmcnt(1)
	v_cmp_gt_i32_e64 s[6:7], v1, v18
	s_nop 1
	v_cndmask_b32_e64 v15, 0, 1, s[6:7]
	v_cmp_gt_i32_e64 s[6:7], v1, v19
	s_nop 1
	v_cndmask_b32_e64 v18, 0, 1, s[6:7]
	v_cmp_gt_i32_e64 s[6:7], v1, v8
	s_nop 1
	v_addc_co_u32_e64 v4, s[6:7], v4, v6, s[6:7]
	v_cmp_gt_i32_e64 s[6:7], v1, v13
	v_addc_co_u32_e32 v4, vcc, v4, v9, vcc
	s_nop 0
	v_addc_co_u32_e64 v5, s[6:7], v5, v10, s[6:7]
	v_cmp_gt_i32_e32 vcc, v1, v17
	v_cmp_gt_i32_e64 s[6:7], v1, v16
	s_nop 0
	v_addc_co_u32_e32 v5, vcc, v5, v11, vcc
	v_addc_co_u32_e64 v4, s[6:7], v4, v14, s[6:7]
	s_waitcnt lgkmcnt(0)
	v_cmp_gt_i32_e32 vcc, v1, v20
	v_cmp_gt_i32_e64 s[6:7], v1, v21
	s_nop 0
	v_addc_co_u32_e32 v4, vcc, v4, v15, vcc
	v_addc_co_u32_e64 v5, s[6:7], v5, v18, s[6:7]
	s_cbranch_scc1 .LBB45_66
.LBB45_67:                              ;   in Loop: Header=BB45_63 Depth=1
	s_and_b64 vcc, exec, s[4:5]
	s_cbranch_vccnz .LBB45_70
; %bb.68:                               ;   in Loop: Header=BB45_63 Depth=1
	s_lshl_b32 s6, s19, 2
	s_add_i32 s6, s6, 0
	s_mov_b32 s7, s17
.LBB45_69:                              ;   Parent Loop BB45_63 Depth=1
                                        ; =>  This Inner Loop Header: Depth=2
	v_mov_b32_e32 v6, s6
	ds_read2_b32 v[6:7], v6 offset1:1
	s_add_i32 s6, s6, 8
	s_add_i32 s7, s7, -8
	s_cmp_lg_u32 s7, 0
	s_waitcnt lgkmcnt(0)
	v_cmp_gt_i32_e32 vcc, v1, v7
	s_nop 1
	v_addc_co_u32_e32 v5, vcc, 0, v5, vcc
	v_cmp_gt_i32_e32 vcc, v1, v6
	s_nop 1
	v_addc_co_u32_e32 v4, vcc, 0, v4, vcc
	s_cbranch_scc1 .LBB45_69
.LBB45_70:                              ;   in Loop: Header=BB45_63 Depth=1
	v_add_u32_e32 v4, v4, v5
	s_mov_b32 s19, s15
	s_mov_b64 s[6:7], s[10:11]
.LBB45_71:                              ;   in Loop: Header=BB45_63 Depth=1
	s_and_b64 vcc, exec, s[6:7]
	s_cbranch_vccz .LBB45_62
; %bb.72:                               ;   in Loop: Header=BB45_63 Depth=1
	s_lshl_b32 s6, s19, 2
	s_add_i32 s6, s6, 0
.LBB45_73:                              ;   Parent Loop BB45_63 Depth=1
                                        ; =>  This Inner Loop Header: Depth=2
	v_mov_b32_e32 v5, s6
	ds_read_b32 v5, v5
	s_add_i32 s19, s19, 1
	s_add_i32 s6, s6, 4
	s_cmp_ge_i32 s19, s14
	s_waitcnt lgkmcnt(0)
	v_cmp_gt_i32_e32 vcc, v1, v5
	s_nop 1
	v_addc_co_u32_e32 v4, vcc, 0, v4, vcc
	s_cbranch_scc0 .LBB45_73
	s_branch .LBB45_62
.LBB45_74:
	s_endpgm
	.section	.rodata,"a",@progbits
	.p2align	6, 0x0
	.amdhsa_kernel _ZN9rocsparseL41csrgemm_numeric_fill_block_per_row_kernelILj256ELj32ELj512ELj137ELj64Eii21rocsparse_complex_numIfEEEvT5_PKS3_S5_NS_24const_host_device_scalarIT6_EEPKT4_S5_PKS7_SB_S5_SD_S8_SB_S5_SD_SB_S5_PS7_21rocsparse_index_base_SF_SF_SF_bbb
		.amdhsa_group_segment_fixed_size 0
		.amdhsa_private_segment_fixed_size 0
		.amdhsa_kernarg_size 156
		.amdhsa_user_sgpr_count 2
		.amdhsa_user_sgpr_dispatch_ptr 0
		.amdhsa_user_sgpr_queue_ptr 0
		.amdhsa_user_sgpr_kernarg_segment_ptr 1
		.amdhsa_user_sgpr_dispatch_id 0
		.amdhsa_user_sgpr_kernarg_preload_length 0
		.amdhsa_user_sgpr_kernarg_preload_offset 0
		.amdhsa_user_sgpr_private_segment_size 0
		.amdhsa_uses_dynamic_stack 0
		.amdhsa_enable_private_segment 0
		.amdhsa_system_sgpr_workgroup_id_x 1
		.amdhsa_system_sgpr_workgroup_id_y 0
		.amdhsa_system_sgpr_workgroup_id_z 0
		.amdhsa_system_sgpr_workgroup_info 0
		.amdhsa_system_vgpr_workitem_id 0
		.amdhsa_next_free_vgpr 22
		.amdhsa_next_free_sgpr 55
		.amdhsa_accum_offset 24
		.amdhsa_reserve_vcc 1
		.amdhsa_float_round_mode_32 0
		.amdhsa_float_round_mode_16_64 0
		.amdhsa_float_denorm_mode_32 3
		.amdhsa_float_denorm_mode_16_64 3
		.amdhsa_dx10_clamp 1
		.amdhsa_ieee_mode 1
		.amdhsa_fp16_overflow 0
		.amdhsa_tg_split 0
		.amdhsa_exception_fp_ieee_invalid_op 0
		.amdhsa_exception_fp_denorm_src 0
		.amdhsa_exception_fp_ieee_div_zero 0
		.amdhsa_exception_fp_ieee_overflow 0
		.amdhsa_exception_fp_ieee_underflow 0
		.amdhsa_exception_fp_ieee_inexact 0
		.amdhsa_exception_int_div_zero 0
	.end_amdhsa_kernel
	.section	.text._ZN9rocsparseL41csrgemm_numeric_fill_block_per_row_kernelILj256ELj32ELj512ELj137ELj64Eii21rocsparse_complex_numIfEEEvT5_PKS3_S5_NS_24const_host_device_scalarIT6_EEPKT4_S5_PKS7_SB_S5_SD_S8_SB_S5_SD_SB_S5_PS7_21rocsparse_index_base_SF_SF_SF_bbb,"axG",@progbits,_ZN9rocsparseL41csrgemm_numeric_fill_block_per_row_kernelILj256ELj32ELj512ELj137ELj64Eii21rocsparse_complex_numIfEEEvT5_PKS3_S5_NS_24const_host_device_scalarIT6_EEPKT4_S5_PKS7_SB_S5_SD_S8_SB_S5_SD_SB_S5_PS7_21rocsparse_index_base_SF_SF_SF_bbb,comdat
.Lfunc_end45:
	.size	_ZN9rocsparseL41csrgemm_numeric_fill_block_per_row_kernelILj256ELj32ELj512ELj137ELj64Eii21rocsparse_complex_numIfEEEvT5_PKS3_S5_NS_24const_host_device_scalarIT6_EEPKT4_S5_PKS7_SB_S5_SD_S8_SB_S5_SD_SB_S5_PS7_21rocsparse_index_base_SF_SF_SF_bbb, .Lfunc_end45-_ZN9rocsparseL41csrgemm_numeric_fill_block_per_row_kernelILj256ELj32ELj512ELj137ELj64Eii21rocsparse_complex_numIfEEEvT5_PKS3_S5_NS_24const_host_device_scalarIT6_EEPKT4_S5_PKS7_SB_S5_SD_S8_SB_S5_SD_SB_S5_PS7_21rocsparse_index_base_SF_SF_SF_bbb
                                        ; -- End function
	.set _ZN9rocsparseL41csrgemm_numeric_fill_block_per_row_kernelILj256ELj32ELj512ELj137ELj64Eii21rocsparse_complex_numIfEEEvT5_PKS3_S5_NS_24const_host_device_scalarIT6_EEPKT4_S5_PKS7_SB_S5_SD_S8_SB_S5_SD_SB_S5_PS7_21rocsparse_index_base_SF_SF_SF_bbb.num_vgpr, 22
	.set _ZN9rocsparseL41csrgemm_numeric_fill_block_per_row_kernelILj256ELj32ELj512ELj137ELj64Eii21rocsparse_complex_numIfEEEvT5_PKS3_S5_NS_24const_host_device_scalarIT6_EEPKT4_S5_PKS7_SB_S5_SD_S8_SB_S5_SD_SB_S5_PS7_21rocsparse_index_base_SF_SF_SF_bbb.num_agpr, 0
	.set _ZN9rocsparseL41csrgemm_numeric_fill_block_per_row_kernelILj256ELj32ELj512ELj137ELj64Eii21rocsparse_complex_numIfEEEvT5_PKS3_S5_NS_24const_host_device_scalarIT6_EEPKT4_S5_PKS7_SB_S5_SD_S8_SB_S5_SD_SB_S5_PS7_21rocsparse_index_base_SF_SF_SF_bbb.numbered_sgpr, 55
	.set _ZN9rocsparseL41csrgemm_numeric_fill_block_per_row_kernelILj256ELj32ELj512ELj137ELj64Eii21rocsparse_complex_numIfEEEvT5_PKS3_S5_NS_24const_host_device_scalarIT6_EEPKT4_S5_PKS7_SB_S5_SD_S8_SB_S5_SD_SB_S5_PS7_21rocsparse_index_base_SF_SF_SF_bbb.num_named_barrier, 0
	.set _ZN9rocsparseL41csrgemm_numeric_fill_block_per_row_kernelILj256ELj32ELj512ELj137ELj64Eii21rocsparse_complex_numIfEEEvT5_PKS3_S5_NS_24const_host_device_scalarIT6_EEPKT4_S5_PKS7_SB_S5_SD_S8_SB_S5_SD_SB_S5_PS7_21rocsparse_index_base_SF_SF_SF_bbb.private_seg_size, 0
	.set _ZN9rocsparseL41csrgemm_numeric_fill_block_per_row_kernelILj256ELj32ELj512ELj137ELj64Eii21rocsparse_complex_numIfEEEvT5_PKS3_S5_NS_24const_host_device_scalarIT6_EEPKT4_S5_PKS7_SB_S5_SD_S8_SB_S5_SD_SB_S5_PS7_21rocsparse_index_base_SF_SF_SF_bbb.uses_vcc, 1
	.set _ZN9rocsparseL41csrgemm_numeric_fill_block_per_row_kernelILj256ELj32ELj512ELj137ELj64Eii21rocsparse_complex_numIfEEEvT5_PKS3_S5_NS_24const_host_device_scalarIT6_EEPKT4_S5_PKS7_SB_S5_SD_S8_SB_S5_SD_SB_S5_PS7_21rocsparse_index_base_SF_SF_SF_bbb.uses_flat_scratch, 0
	.set _ZN9rocsparseL41csrgemm_numeric_fill_block_per_row_kernelILj256ELj32ELj512ELj137ELj64Eii21rocsparse_complex_numIfEEEvT5_PKS3_S5_NS_24const_host_device_scalarIT6_EEPKT4_S5_PKS7_SB_S5_SD_S8_SB_S5_SD_SB_S5_PS7_21rocsparse_index_base_SF_SF_SF_bbb.has_dyn_sized_stack, 0
	.set _ZN9rocsparseL41csrgemm_numeric_fill_block_per_row_kernelILj256ELj32ELj512ELj137ELj64Eii21rocsparse_complex_numIfEEEvT5_PKS3_S5_NS_24const_host_device_scalarIT6_EEPKT4_S5_PKS7_SB_S5_SD_S8_SB_S5_SD_SB_S5_PS7_21rocsparse_index_base_SF_SF_SF_bbb.has_recursion, 0
	.set _ZN9rocsparseL41csrgemm_numeric_fill_block_per_row_kernelILj256ELj32ELj512ELj137ELj64Eii21rocsparse_complex_numIfEEEvT5_PKS3_S5_NS_24const_host_device_scalarIT6_EEPKT4_S5_PKS7_SB_S5_SD_S8_SB_S5_SD_SB_S5_PS7_21rocsparse_index_base_SF_SF_SF_bbb.has_indirect_call, 0
	.section	.AMDGPU.csdata,"",@progbits
; Kernel info:
; codeLenInByte = 2748
; TotalNumSgprs: 61
; NumVgprs: 22
; NumAgprs: 0
; TotalNumVgprs: 22
; ScratchSize: 0
; MemoryBound: 0
; FloatMode: 240
; IeeeMode: 1
; LDSByteSize: 0 bytes/workgroup (compile time only)
; SGPRBlocks: 7
; VGPRBlocks: 2
; NumSGPRsForWavesPerEU: 61
; NumVGPRsForWavesPerEU: 22
; AccumOffset: 24
; Occupancy: 8
; WaveLimiterHint : 1
; COMPUTE_PGM_RSRC2:SCRATCH_EN: 0
; COMPUTE_PGM_RSRC2:USER_SGPR: 2
; COMPUTE_PGM_RSRC2:TRAP_HANDLER: 0
; COMPUTE_PGM_RSRC2:TGID_X_EN: 1
; COMPUTE_PGM_RSRC2:TGID_Y_EN: 0
; COMPUTE_PGM_RSRC2:TGID_Z_EN: 0
; COMPUTE_PGM_RSRC2:TIDIG_COMP_CNT: 0
; COMPUTE_PGM_RSRC3_GFX90A:ACCUM_OFFSET: 5
; COMPUTE_PGM_RSRC3_GFX90A:TG_SPLIT: 0
	.section	.text._ZN9rocsparseL41csrgemm_numeric_fill_block_per_row_kernelILj512ELj32ELj1024ELj137ELj32Eii21rocsparse_complex_numIfEEEvT5_PKS3_S5_NS_24const_host_device_scalarIT6_EEPKT4_S5_PKS7_SB_S5_SD_S8_SB_S5_SD_SB_S5_PS7_21rocsparse_index_base_SF_SF_SF_bbb,"axG",@progbits,_ZN9rocsparseL41csrgemm_numeric_fill_block_per_row_kernelILj512ELj32ELj1024ELj137ELj32Eii21rocsparse_complex_numIfEEEvT5_PKS3_S5_NS_24const_host_device_scalarIT6_EEPKT4_S5_PKS7_SB_S5_SD_S8_SB_S5_SD_SB_S5_PS7_21rocsparse_index_base_SF_SF_SF_bbb,comdat
	.globl	_ZN9rocsparseL41csrgemm_numeric_fill_block_per_row_kernelILj512ELj32ELj1024ELj137ELj32Eii21rocsparse_complex_numIfEEEvT5_PKS3_S5_NS_24const_host_device_scalarIT6_EEPKT4_S5_PKS7_SB_S5_SD_S8_SB_S5_SD_SB_S5_PS7_21rocsparse_index_base_SF_SF_SF_bbb ; -- Begin function _ZN9rocsparseL41csrgemm_numeric_fill_block_per_row_kernelILj512ELj32ELj1024ELj137ELj32Eii21rocsparse_complex_numIfEEEvT5_PKS3_S5_NS_24const_host_device_scalarIT6_EEPKT4_S5_PKS7_SB_S5_SD_S8_SB_S5_SD_SB_S5_PS7_21rocsparse_index_base_SF_SF_SF_bbb
	.p2align	8
	.type	_ZN9rocsparseL41csrgemm_numeric_fill_block_per_row_kernelILj512ELj32ELj1024ELj137ELj32Eii21rocsparse_complex_numIfEEEvT5_PKS3_S5_NS_24const_host_device_scalarIT6_EEPKT4_S5_PKS7_SB_S5_SD_S8_SB_S5_SD_SB_S5_PS7_21rocsparse_index_base_SF_SF_SF_bbb,@function
_ZN9rocsparseL41csrgemm_numeric_fill_block_per_row_kernelILj512ELj32ELj1024ELj137ELj32Eii21rocsparse_complex_numIfEEEvT5_PKS3_S5_NS_24const_host_device_scalarIT6_EEPKT4_S5_PKS7_SB_S5_SD_S8_SB_S5_SD_SB_S5_PS7_21rocsparse_index_base_SF_SF_SF_bbb: ; @_ZN9rocsparseL41csrgemm_numeric_fill_block_per_row_kernelILj512ELj32ELj1024ELj137ELj32Eii21rocsparse_complex_numIfEEEvT5_PKS3_S5_NS_24const_host_device_scalarIT6_EEPKT4_S5_PKS7_SB_S5_SD_S8_SB_S5_SD_SB_S5_PS7_21rocsparse_index_base_SF_SF_SF_bbb
; %bb.0:
	s_load_dwordx2 s[40:41], s[0:1], 0x70
	s_load_dwordx4 s[24:27], s[0:1], 0x60
	s_load_dwordx8 s[8:15], s[0:1], 0x40
	s_load_dword s3, s[0:1], 0x98
	s_load_dwordx4 s[28:31], s[0:1], 0x8
	s_load_dwordx8 s[16:23], s[0:1], 0x20
	s_load_dwordx2 s[34:35], s[0:1], 0x80
	s_load_dwordx4 s[36:39], s[0:1], 0x88
	s_waitcnt lgkmcnt(0)
	s_bitcmp1_b32 s3, 0
	s_cselect_b64 s[46:47], -1, 0
	s_bitcmp1_b32 s3, 16
	s_cselect_b64 s[4:5], -1, 0
	s_xor_b64 s[4:5], s[4:5], -1
	v_cndmask_b32_e64 v1, 0, 1, s[4:5]
	s_mov_b32 s7, 0
	s_bitcmp0_b32 s3, 0
	v_cmp_ne_u32_e64 s[4:5], 1, v1
	s_mov_b32 s52, 0
	s_cbranch_scc1 .LBB46_5
; %bb.1:
	s_load_dwordx2 s[6:7], s[0:1], 0x18
	s_and_b64 vcc, exec, s[4:5]
	s_waitcnt lgkmcnt(0)
	s_mov_b32 s52, s6
	s_cbranch_vccnz .LBB46_3
; %bb.2:
	s_load_dword s52, s[6:7], 0x0
.LBB46_3:
	s_and_b64 vcc, exec, s[4:5]
	s_cbranch_vccnz .LBB46_5
; %bb.4:
	s_load_dword s7, s[6:7], 0x4
.LBB46_5:
	s_bitcmp1_b32 s3, 8
	s_cselect_b64 s[44:45], -1, 0
	s_bfe_u32 s3, s3, 0x10008
	s_mov_b32 s50, 0
	s_cmp_eq_u32 s3, 0
	s_mov_b32 s51, 0
	s_cbranch_scc1 .LBB46_11
; %bb.6:
	s_and_b64 vcc, exec, s[4:5]
	s_mov_b32 s50, s12
	s_cbranch_vccnz .LBB46_8
; %bb.7:
	s_load_dword s50, s[12:13], 0x0
.LBB46_8:
	s_and_b64 vcc, exec, s[4:5]
	s_cbranch_vccnz .LBB46_10
; %bb.9:
	s_load_dword s13, s[12:13], 0x4
.LBB46_10:
	s_waitcnt lgkmcnt(0)
	s_mov_b32 s51, s13
.LBB46_11:
	s_load_dword s33, s[0:1], 0x0
	v_lshl_add_u32 v1, v0, 3, 0
	v_add_u32_e32 v1, 0x1000, v1
	v_or_b32_e32 v8, 0xfffffe00, v0
	v_lshl_add_u32 v9, v0, 2, 0
	s_mov_b64 s[0:1], 0
	s_waitcnt lgkmcnt(0)
	v_mov_b32_e32 v6, s33
	v_mov_b32_e32 v2, 0
	;; [unrolled: 1-line block ×5, first 2 shown]
.LBB46_12:                              ; =>This Inner Loop Header: Depth=1
	v_add_co_u32_e32 v4, vcc, 0x200, v4
	s_xor_b64 s[4:5], vcc, -1
	s_and_b64 s[4:5], exec, s[4:5]
	ds_write_b32 v3, v6
	ds_write2_b32 v5, v2, v2 offset1:1
	v_add_u32_e32 v5, 0x1000, v5
	s_or_b64 s[0:1], s[4:5], s[0:1]
	v_add_u32_e32 v3, 0x800, v3
	s_andn2_b64 exec, exec, s[0:1]
	s_cbranch_execnz .LBB46_12
; %bb.13:
	s_or_b64 exec, exec, s[0:1]
	s_waitcnt lgkmcnt(0)
	s_barrier
	s_load_dword s0, s[28:29], 0x0
	s_mov_b32 s1, 0
	v_lshrrev_b32_e32 v10, 5, v0
	s_waitcnt lgkmcnt(0)
	s_add_i32 s0, s0, s2
	s_lshl_b64 s[0:1], s[0:1], 2
	s_add_u32 s0, s30, s0
	s_addc_u32 s1, s31, s1
	s_load_dword s42, s[0:1], 0x0
	s_and_b64 vcc, exec, s[46:47]
	s_cbranch_vccz .LBB46_31
; %bb.14:
	s_waitcnt lgkmcnt(0)
	s_ashr_i32 s43, s42, 31
	s_lshl_b64 s[0:1], s[42:43], 2
	s_add_u32 s0, s16, s0
	s_addc_u32 s1, s17, s1
	s_load_dwordx2 s[2:3], s[0:1], 0x0
	v_subrev_u32_e32 v2, s36, v10
	s_waitcnt lgkmcnt(0)
	s_sub_i32 s6, s3, s36
	v_add_u32_e32 v2, s2, v2
	v_cmp_gt_i32_e32 vcc, s6, v2
	s_and_saveexec_b64 s[0:1], vcc
	s_cbranch_execz .LBB46_30
; %bb.15:
	v_and_b32_e32 v3, 31, v0
	v_subrev_u32_e32 v11, s37, v3
	s_mov_b64 s[2:3], 0
	s_movk_i32 s43, 0x89
	s_branch .LBB46_17
.LBB46_16:                              ;   in Loop: Header=BB46_17 Depth=1
	s_or_b64 exec, exec, s[4:5]
	v_add_u32_e32 v2, 16, v2
	v_cmp_le_i32_e32 vcc, s6, v2
	s_or_b64 s[2:3], vcc, s[2:3]
	s_andn2_b64 exec, exec, s[2:3]
	s_cbranch_execz .LBB46_30
.LBB46_17:                              ; =>This Loop Header: Depth=1
                                        ;     Child Loop BB46_21 Depth 2
                                        ;       Child Loop BB46_24 Depth 3
	v_ashrrev_i32_e32 v3, 31, v2
	v_lshl_add_u64 v[4:5], v[2:3], 2, s[18:19]
	global_load_dword v4, v[4:5], off
	s_waitcnt vmcnt(0)
	v_subrev_u32_e32 v4, s36, v4
	v_ashrrev_i32_e32 v5, 31, v4
	v_lshl_add_u64 v[4:5], v[4:5], 2, s[22:23]
	global_load_dwordx2 v[4:5], v[4:5], off
	s_waitcnt vmcnt(0)
	v_subrev_u32_e32 v12, s37, v5
	v_add_u32_e32 v4, v4, v11
	v_cmp_lt_i32_e32 vcc, v4, v12
	s_and_saveexec_b64 s[4:5], vcc
	s_cbranch_execz .LBB46_16
; %bb.18:                               ;   in Loop: Header=BB46_17 Depth=1
	v_lshl_add_u64 v[6:7], v[2:3], 3, s[20:21]
	global_load_dwordx2 v[6:7], v[6:7], off
	s_mov_b64 s[12:13], 0
	s_waitcnt vmcnt(0)
	v_mul_f32_e64 v3, v7, -s7
	v_mul_f32_e32 v13, s52, v7
	v_fmac_f32_e32 v3, s52, v6
	v_fmac_f32_e32 v13, s7, v6
	s_branch .LBB46_21
.LBB46_19:                              ;   in Loop: Header=BB46_21 Depth=2
	s_or_b64 exec, exec, s[28:29]
.LBB46_20:                              ;   in Loop: Header=BB46_21 Depth=2
	s_or_b64 exec, exec, s[16:17]
	s_waitcnt vmcnt(0)
	v_mul_f32_e64 v14, v7, -v13
	v_fmac_f32_e32 v14, v3, v6
	v_mul_f32_e32 v7, v3, v7
	v_lshl_add_u32 v5, v5, 3, 0
	v_fmac_f32_e32 v7, v13, v6
	ds_add_f32 v5, v14 offset:4096
	ds_add_f32 v5, v7 offset:4100
	v_add_u32_e32 v4, 32, v4
	v_cmp_ge_i32_e32 vcc, v4, v12
	s_or_b64 s[12:13], vcc, s[12:13]
	s_andn2_b64 exec, exec, s[12:13]
	s_cbranch_execz .LBB46_16
.LBB46_21:                              ;   Parent Loop BB46_17 Depth=1
                                        ; =>  This Loop Header: Depth=2
                                        ;       Child Loop BB46_24 Depth 3
	v_ashrrev_i32_e32 v5, 31, v4
	v_lshl_add_u64 v[6:7], v[4:5], 2, s[8:9]
	global_load_dword v14, v[6:7], off
	v_lshl_add_u64 v[6:7], v[4:5], 3, s[10:11]
	global_load_dwordx2 v[6:7], v[6:7], off
	s_waitcnt vmcnt(1)
	v_subrev_u32_e32 v14, s37, v14
	v_mul_lo_u32 v5, v14, s43
	v_and_b32_e32 v5, 0x3ff, v5
	v_lshl_add_u32 v15, v5, 2, 0
	ds_read_b32 v16, v15
	s_waitcnt lgkmcnt(0)
	v_cmp_ne_u32_e32 vcc, v16, v14
	s_and_saveexec_b64 s[16:17], vcc
	s_cbranch_execz .LBB46_20
; %bb.22:                               ;   in Loop: Header=BB46_21 Depth=2
	s_mov_b64 s[28:29], 0
	s_branch .LBB46_24
.LBB46_23:                              ;   in Loop: Header=BB46_24 Depth=3
	s_or_b64 exec, exec, s[48:49]
	s_and_b64 s[30:31], exec, s[46:47]
	s_or_b64 s[28:29], s[30:31], s[28:29]
	s_andn2_b64 exec, exec, s[28:29]
	s_cbranch_execz .LBB46_19
.LBB46_24:                              ;   Parent Loop BB46_17 Depth=1
                                        ;     Parent Loop BB46_21 Depth=2
                                        ; =>    This Inner Loop Header: Depth=3
	v_cmp_ne_u32_e32 vcc, s33, v16
	s_mov_b64 s[30:31], 0
	s_and_saveexec_b64 s[46:47], vcc
	s_xor_b64 s[46:47], exec, s[46:47]
	s_cbranch_execz .LBB46_26
; %bb.25:                               ;   in Loop: Header=BB46_24 Depth=3
	v_add_u32_e32 v5, 1, v5
	s_mov_b64 s[30:31], exec
	v_and_b32_e32 v5, 0x3ff, v5
                                        ; implicit-def: $vgpr15
	s_andn2_saveexec_b64 s[46:47], s[46:47]
	s_cbranch_execz .LBB46_28
	s_branch .LBB46_27
.LBB46_26:                              ;   in Loop: Header=BB46_24 Depth=3
	s_andn2_saveexec_b64 s[46:47], s[46:47]
	s_cbranch_execz .LBB46_28
.LBB46_27:                              ;   in Loop: Header=BB46_24 Depth=3
	v_mov_b32_e32 v16, s33
	ds_cmpst_rtn_b32 v15, v15, v16, v14
	s_andn2_b64 s[30:31], s[30:31], exec
	s_waitcnt lgkmcnt(0)
	v_cmp_ne_u32_e32 vcc, s33, v15
	s_and_b64 s[48:49], vcc, exec
	s_or_b64 s[30:31], s[30:31], s[48:49]
.LBB46_28:                              ;   in Loop: Header=BB46_24 Depth=3
	s_or_b64 exec, exec, s[46:47]
	s_mov_b64 s[46:47], -1
                                        ; implicit-def: $vgpr15
                                        ; implicit-def: $vgpr16
	s_and_saveexec_b64 s[48:49], s[30:31]
	s_cbranch_execz .LBB46_23
; %bb.29:                               ;   in Loop: Header=BB46_24 Depth=3
	v_lshl_add_u32 v15, v5, 2, 0
	ds_read_b32 v16, v15
	s_waitcnt lgkmcnt(0)
	v_cmp_eq_u32_e32 vcc, v16, v14
	s_orn2_b64 s[46:47], vcc, exec
	s_branch .LBB46_23
.LBB46_30:
	s_or_b64 exec, exec, s[0:1]
.LBB46_31:
	s_andn2_b64 vcc, exec, s[44:45]
	s_cbranch_vccnz .LBB46_46
; %bb.32:
	s_waitcnt lgkmcnt(0)
	s_ashr_i32 s43, s42, 31
	s_lshl_b64 s[0:1], s[42:43], 2
	s_add_u32 s0, s14, s0
	s_addc_u32 s1, s15, s1
	s_load_dwordx2 s[2:3], s[0:1], 0x0
	v_subrev_u32_e32 v2, s39, v0
	s_waitcnt lgkmcnt(0)
	s_sub_i32 s14, s3, s39
	v_add_u32_e32 v2, s2, v2
	v_cmp_gt_i32_e32 vcc, s14, v2
	s_and_saveexec_b64 s[0:1], vcc
	s_cbranch_execz .LBB46_45
; %bb.33:
	s_mov_b64 s[2:3], 0
	s_movk_i32 s15, 0x89
	s_branch .LBB46_36
.LBB46_34:                              ;   in Loop: Header=BB46_36 Depth=1
	s_or_b64 exec, exec, s[6:7]
.LBB46_35:                              ;   in Loop: Header=BB46_36 Depth=1
	s_or_b64 exec, exec, s[4:5]
	s_waitcnt vmcnt(0)
	v_mul_f32_e64 v6, v5, -s51
	v_fmac_f32_e32 v6, s50, v4
	v_mul_f32_e32 v5, s50, v5
	v_lshl_add_u32 v3, v3, 3, 0
	v_fmac_f32_e32 v5, s51, v4
	ds_add_f32 v3, v6 offset:4096
	ds_add_f32 v3, v5 offset:4100
	v_add_u32_e32 v2, 0x200, v2
	v_cmp_le_i32_e32 vcc, s14, v2
	s_or_b64 s[2:3], vcc, s[2:3]
	s_andn2_b64 exec, exec, s[2:3]
	s_cbranch_execz .LBB46_45
.LBB46_36:                              ; =>This Loop Header: Depth=1
                                        ;     Child Loop BB46_39 Depth 2
	v_ashrrev_i32_e32 v3, 31, v2
	v_lshl_add_u64 v[4:5], v[2:3], 2, s[24:25]
	global_load_dword v6, v[4:5], off
	v_lshl_add_u64 v[4:5], v[2:3], 3, s[26:27]
	global_load_dwordx2 v[4:5], v[4:5], off
	s_waitcnt vmcnt(1)
	v_subrev_u32_e32 v6, s39, v6
	v_mul_lo_u32 v3, v6, s15
	v_and_b32_e32 v3, 0x3ff, v3
	v_lshl_add_u32 v7, v3, 2, 0
	ds_read_b32 v11, v7
	s_waitcnt lgkmcnt(0)
	v_cmp_ne_u32_e32 vcc, v11, v6
	s_and_saveexec_b64 s[4:5], vcc
	s_cbranch_execz .LBB46_35
; %bb.37:                               ;   in Loop: Header=BB46_36 Depth=1
	s_mov_b64 s[6:7], 0
	s_branch .LBB46_39
.LBB46_38:                              ;   in Loop: Header=BB46_39 Depth=2
	s_or_b64 exec, exec, s[12:13]
	s_and_b64 s[8:9], exec, s[10:11]
	s_or_b64 s[6:7], s[8:9], s[6:7]
	s_andn2_b64 exec, exec, s[6:7]
	s_cbranch_execz .LBB46_34
.LBB46_39:                              ;   Parent Loop BB46_36 Depth=1
                                        ; =>  This Inner Loop Header: Depth=2
	v_cmp_ne_u32_e32 vcc, s33, v11
	s_mov_b64 s[8:9], 0
	s_and_saveexec_b64 s[10:11], vcc
	s_xor_b64 s[10:11], exec, s[10:11]
	s_cbranch_execz .LBB46_41
; %bb.40:                               ;   in Loop: Header=BB46_39 Depth=2
	v_add_u32_e32 v3, 1, v3
	s_mov_b64 s[8:9], exec
	v_and_b32_e32 v3, 0x3ff, v3
                                        ; implicit-def: $vgpr7
	s_andn2_saveexec_b64 s[10:11], s[10:11]
	s_cbranch_execz .LBB46_43
	s_branch .LBB46_42
.LBB46_41:                              ;   in Loop: Header=BB46_39 Depth=2
	s_andn2_saveexec_b64 s[10:11], s[10:11]
	s_cbranch_execz .LBB46_43
.LBB46_42:                              ;   in Loop: Header=BB46_39 Depth=2
	v_mov_b32_e32 v11, s33
	ds_cmpst_rtn_b32 v7, v7, v11, v6
	s_andn2_b64 s[8:9], s[8:9], exec
	s_waitcnt lgkmcnt(0)
	v_cmp_ne_u32_e32 vcc, s33, v7
	s_and_b64 s[12:13], vcc, exec
	s_or_b64 s[8:9], s[8:9], s[12:13]
.LBB46_43:                              ;   in Loop: Header=BB46_39 Depth=2
	s_or_b64 exec, exec, s[10:11]
	s_mov_b64 s[10:11], -1
                                        ; implicit-def: $vgpr7
                                        ; implicit-def: $vgpr11
	s_and_saveexec_b64 s[12:13], s[8:9]
	s_cbranch_execz .LBB46_38
; %bb.44:                               ;   in Loop: Header=BB46_39 Depth=2
	v_lshl_add_u32 v7, v3, 2, 0
	ds_read_b32 v11, v7
	s_waitcnt lgkmcnt(0)
	v_cmp_eq_u32_e32 vcc, v11, v6
	s_orn2_b64 s[10:11], vcc, exec
	s_branch .LBB46_38
.LBB46_45:
	s_or_b64 exec, exec, s[0:1]
.LBB46_46:
	v_mbcnt_lo_u32_b32 v2, -1, 0
	v_mbcnt_hi_u32_b32 v2, -1, v2
	v_sub_u32_e32 v2, 63, v2
	s_movk_i32 s0, 0x1ff
	s_movk_i32 s6, 0x5f
	;; [unrolled: 1-line block ×14, first 2 shown]
	v_mov_b32_e32 v6, 0
	v_lshrrev_b64 v[2:3], v2, -1
	v_lshl_add_u32 v7, v10, 2, 0
	v_cmp_eq_u32_e64 s[0:1], s0, v0
	v_cmp_lt_u32_e64 s[2:3], 31, v0
	v_cmp_lt_u32_e64 s[4:5], 63, v0
	;; [unrolled: 1-line block ×15, first 2 shown]
	s_mov_b64 s[36:37], 0
	v_mov_b32_e32 v10, 0
	s_waitcnt lgkmcnt(0)
	s_barrier
	s_branch .LBB46_48
.LBB46_47:                              ;   in Loop: Header=BB46_48 Depth=1
	s_or_b64 exec, exec, s[44:45]
	s_waitcnt lgkmcnt(0)
	s_barrier
	ds_read_b32 v4, v6 offset:12348
	v_add_co_u32_e32 v8, vcc, 0x200, v8
	s_xor_b64 s[44:45], vcc, -1
	s_and_b64 s[44:45], exec, s[44:45]
	v_add_u32_e32 v1, 0x1000, v1
	s_waitcnt lgkmcnt(0)
	v_add_u32_e32 v10, v4, v10
	s_or_b64 s[36:37], s[44:45], s[36:37]
	v_add_u32_e32 v9, 0x800, v9
	s_andn2_b64 exec, exec, s[36:37]
	s_cbranch_execz .LBB46_82
.LBB46_48:                              ; =>This Inner Loop Header: Depth=1
	ds_read_b32 v11, v9
	ds_read2_b32 v[4:5], v1 offset1:1
	s_waitcnt lgkmcnt(0)
	s_barrier
	v_cmp_gt_i32_e32 vcc, s33, v11
	s_bcnt1_i32_b64 s39, vcc
	s_nop 0
	v_and_b32_e32 v13, vcc_lo, v2
	v_and_b32_e32 v12, vcc_hi, v3
	v_bcnt_u32_b32 v13, v13, 0
	v_bcnt_u32_b32 v12, v12, v13
	v_mov_b32_e32 v13, s39
	ds_write_b32 v7, v13 offset:12288
	s_waitcnt lgkmcnt(0)
	s_barrier
	s_and_saveexec_b64 s[44:45], s[2:3]
	s_cbranch_execz .LBB46_65
; %bb.49:                               ;   in Loop: Header=BB46_48 Depth=1
	ds_read_b32 v13, v6 offset:12288
	s_waitcnt lgkmcnt(0)
	v_add_u32_e32 v12, v13, v12
	s_or_b64 exec, exec, s[44:45]
	s_and_saveexec_b64 s[44:45], s[4:5]
	s_cbranch_execnz .LBB46_66
.LBB46_50:                              ;   in Loop: Header=BB46_48 Depth=1
	s_or_b64 exec, exec, s[44:45]
	s_and_saveexec_b64 s[44:45], s[6:7]
	s_cbranch_execz .LBB46_67
.LBB46_51:                              ;   in Loop: Header=BB46_48 Depth=1
	ds_read_b32 v13, v6 offset:12296
	s_waitcnt lgkmcnt(0)
	v_add_u32_e32 v12, v13, v12
	s_or_b64 exec, exec, s[44:45]
	s_and_saveexec_b64 s[44:45], s[8:9]
	s_cbranch_execnz .LBB46_68
.LBB46_52:                              ;   in Loop: Header=BB46_48 Depth=1
	s_or_b64 exec, exec, s[44:45]
	s_and_saveexec_b64 s[44:45], s[10:11]
	s_cbranch_execz .LBB46_69
.LBB46_53:                              ;   in Loop: Header=BB46_48 Depth=1
	ds_read_b32 v13, v6 offset:12304
	s_waitcnt lgkmcnt(0)
	v_add_u32_e32 v12, v13, v12
	s_or_b64 exec, exec, s[44:45]
	s_and_saveexec_b64 s[44:45], s[12:13]
	s_cbranch_execnz .LBB46_70
.LBB46_54:                              ;   in Loop: Header=BB46_48 Depth=1
	s_or_b64 exec, exec, s[44:45]
	s_and_saveexec_b64 s[44:45], s[14:15]
	s_cbranch_execz .LBB46_71
.LBB46_55:                              ;   in Loop: Header=BB46_48 Depth=1
	ds_read_b32 v13, v6 offset:12312
	s_waitcnt lgkmcnt(0)
	v_add_u32_e32 v12, v13, v12
	s_or_b64 exec, exec, s[44:45]
	s_and_saveexec_b64 s[44:45], s[16:17]
	s_cbranch_execnz .LBB46_72
.LBB46_56:                              ;   in Loop: Header=BB46_48 Depth=1
	s_or_b64 exec, exec, s[44:45]
	s_and_saveexec_b64 s[44:45], s[18:19]
	s_cbranch_execz .LBB46_73
.LBB46_57:                              ;   in Loop: Header=BB46_48 Depth=1
	ds_read_b32 v13, v6 offset:12320
	s_waitcnt lgkmcnt(0)
	v_add_u32_e32 v12, v13, v12
	s_or_b64 exec, exec, s[44:45]
	s_and_saveexec_b64 s[44:45], s[20:21]
	s_cbranch_execnz .LBB46_74
.LBB46_58:                              ;   in Loop: Header=BB46_48 Depth=1
	s_or_b64 exec, exec, s[44:45]
	s_and_saveexec_b64 s[44:45], s[22:23]
	s_cbranch_execz .LBB46_75
.LBB46_59:                              ;   in Loop: Header=BB46_48 Depth=1
	ds_read_b32 v13, v6 offset:12328
	s_waitcnt lgkmcnt(0)
	v_add_u32_e32 v12, v13, v12
	s_or_b64 exec, exec, s[44:45]
	s_and_saveexec_b64 s[44:45], s[24:25]
	s_cbranch_execnz .LBB46_76
.LBB46_60:                              ;   in Loop: Header=BB46_48 Depth=1
	s_or_b64 exec, exec, s[44:45]
	s_and_saveexec_b64 s[44:45], s[26:27]
	s_cbranch_execz .LBB46_77
.LBB46_61:                              ;   in Loop: Header=BB46_48 Depth=1
	ds_read_b32 v13, v6 offset:12336
	s_waitcnt lgkmcnt(0)
	v_add_u32_e32 v12, v13, v12
	s_or_b64 exec, exec, s[44:45]
	s_and_saveexec_b64 s[44:45], s[28:29]
	s_cbranch_execnz .LBB46_78
.LBB46_62:                              ;   in Loop: Header=BB46_48 Depth=1
	s_or_b64 exec, exec, s[44:45]
	s_and_saveexec_b64 s[44:45], s[30:31]
	s_cbranch_execz .LBB46_79
.LBB46_63:                              ;   in Loop: Header=BB46_48 Depth=1
	ds_read_b32 v13, v6 offset:12344
	s_waitcnt lgkmcnt(0)
	v_add_u32_e32 v12, v13, v12
	s_or_b64 exec, exec, s[44:45]
	s_and_saveexec_b64 s[44:45], vcc
	s_cbranch_execnz .LBB46_80
.LBB46_64:                              ;   in Loop: Header=BB46_48 Depth=1
	s_or_b64 exec, exec, s[44:45]
	s_and_saveexec_b64 s[44:45], s[0:1]
	s_cbranch_execz .LBB46_47
	s_branch .LBB46_81
.LBB46_65:                              ;   in Loop: Header=BB46_48 Depth=1
	s_or_b64 exec, exec, s[44:45]
	s_and_saveexec_b64 s[44:45], s[4:5]
	s_cbranch_execz .LBB46_50
.LBB46_66:                              ;   in Loop: Header=BB46_48 Depth=1
	ds_read_b32 v13, v6 offset:12292
	s_waitcnt lgkmcnt(0)
	v_add_u32_e32 v12, v13, v12
	s_or_b64 exec, exec, s[44:45]
	s_and_saveexec_b64 s[44:45], s[6:7]
	s_cbranch_execnz .LBB46_51
.LBB46_67:                              ;   in Loop: Header=BB46_48 Depth=1
	s_or_b64 exec, exec, s[44:45]
	s_and_saveexec_b64 s[44:45], s[8:9]
	s_cbranch_execz .LBB46_52
.LBB46_68:                              ;   in Loop: Header=BB46_48 Depth=1
	ds_read_b32 v13, v6 offset:12300
	s_waitcnt lgkmcnt(0)
	v_add_u32_e32 v12, v13, v12
	s_or_b64 exec, exec, s[44:45]
	s_and_saveexec_b64 s[44:45], s[10:11]
	s_cbranch_execnz .LBB46_53
.LBB46_69:                              ;   in Loop: Header=BB46_48 Depth=1
	s_or_b64 exec, exec, s[44:45]
	s_and_saveexec_b64 s[44:45], s[12:13]
	s_cbranch_execz .LBB46_54
.LBB46_70:                              ;   in Loop: Header=BB46_48 Depth=1
	ds_read_b32 v13, v6 offset:12308
	s_waitcnt lgkmcnt(0)
	v_add_u32_e32 v12, v13, v12
	s_or_b64 exec, exec, s[44:45]
	s_and_saveexec_b64 s[44:45], s[14:15]
	s_cbranch_execnz .LBB46_55
.LBB46_71:                              ;   in Loop: Header=BB46_48 Depth=1
	s_or_b64 exec, exec, s[44:45]
	s_and_saveexec_b64 s[44:45], s[16:17]
	s_cbranch_execz .LBB46_56
.LBB46_72:                              ;   in Loop: Header=BB46_48 Depth=1
	ds_read_b32 v13, v6 offset:12316
	s_waitcnt lgkmcnt(0)
	v_add_u32_e32 v12, v13, v12
	s_or_b64 exec, exec, s[44:45]
	s_and_saveexec_b64 s[44:45], s[18:19]
	s_cbranch_execnz .LBB46_57
.LBB46_73:                              ;   in Loop: Header=BB46_48 Depth=1
	s_or_b64 exec, exec, s[44:45]
	s_and_saveexec_b64 s[44:45], s[20:21]
	s_cbranch_execz .LBB46_58
.LBB46_74:                              ;   in Loop: Header=BB46_48 Depth=1
	ds_read_b32 v13, v6 offset:12324
	s_waitcnt lgkmcnt(0)
	v_add_u32_e32 v12, v13, v12
	s_or_b64 exec, exec, s[44:45]
	s_and_saveexec_b64 s[44:45], s[22:23]
	s_cbranch_execnz .LBB46_59
.LBB46_75:                              ;   in Loop: Header=BB46_48 Depth=1
	s_or_b64 exec, exec, s[44:45]
	s_and_saveexec_b64 s[44:45], s[24:25]
	s_cbranch_execz .LBB46_60
.LBB46_76:                              ;   in Loop: Header=BB46_48 Depth=1
	ds_read_b32 v13, v6 offset:12332
	s_waitcnt lgkmcnt(0)
	v_add_u32_e32 v12, v13, v12
	s_or_b64 exec, exec, s[44:45]
	s_and_saveexec_b64 s[44:45], s[26:27]
	s_cbranch_execnz .LBB46_61
.LBB46_77:                              ;   in Loop: Header=BB46_48 Depth=1
	s_or_b64 exec, exec, s[44:45]
	s_and_saveexec_b64 s[44:45], s[28:29]
	s_cbranch_execz .LBB46_62
.LBB46_78:                              ;   in Loop: Header=BB46_48 Depth=1
	ds_read_b32 v13, v6 offset:12340
	s_waitcnt lgkmcnt(0)
	v_add_u32_e32 v12, v13, v12
	s_or_b64 exec, exec, s[44:45]
	s_and_saveexec_b64 s[44:45], s[30:31]
	s_cbranch_execnz .LBB46_63
.LBB46_79:                              ;   in Loop: Header=BB46_48 Depth=1
	s_or_b64 exec, exec, s[44:45]
	s_and_saveexec_b64 s[44:45], vcc
	s_cbranch_execz .LBB46_64
.LBB46_80:                              ;   in Loop: Header=BB46_48 Depth=1
	v_add3_u32 v13, v10, -1, v12
	v_add_u32_e32 v14, v10, v12
	v_lshl_add_u32 v13, v13, 2, 0
	v_lshl_add_u32 v14, v14, 3, 0
	v_add_u32_e32 v14, 0xff8, v14
	ds_write_b32 v13, v11
	ds_write2_b32 v14, v4, v5 offset1:1
	s_or_b64 exec, exec, s[44:45]
	s_and_saveexec_b64 s[44:45], s[0:1]
	s_cbranch_execz .LBB46_47
.LBB46_81:                              ;   in Loop: Header=BB46_48 Depth=1
	ds_write_b32 v6, v12 offset:12348
	s_branch .LBB46_47
.LBB46_82:
	s_or_b64 exec, exec, s[36:37]
	s_ashr_i32 s43, s42, 31
	s_lshl_b64 s[0:1], s[42:43], 2
	s_add_u32 s2, s40, s0
	s_addc_u32 s3, s41, s1
	s_load_dwordx2 s[0:1], s[2:3], 0x0
	s_waitcnt lgkmcnt(0)
	s_sub_i32 s14, s1, s0
	v_cmp_gt_i32_e32 vcc, s14, v0
	s_and_saveexec_b64 s[2:3], vcc
	s_cbranch_execz .LBB46_96
; %bb.83:
	s_sub_i32 s8, s0, s38
	v_sub_co_u32_e64 v1, s[0:1], s14, 2
	s_nop 0
	v_readfirstlane_b32 s2, v1
	s_lshr_b32 s2, s2, 1
	s_add_i32 s2, s2, 1
	s_xor_b64 s[0:1], s[0:1], -1
	s_and_b32 s15, s14, -2
	s_and_b32 s3, s2, 7
	s_and_b32 s16, s2, -8
	s_cmp_lg_u32 s3, 0
	v_cmp_lt_u32_e32 vcc, 13, v1
	s_cselect_b64 s[4:5], -1, 0
	s_cmp_lg_u32 s14, s15
	v_cndmask_b32_e64 v1, 0, 1, vcc
	s_cselect_b64 s[10:11], -1, 0
	s_lshl_b32 s17, s3, 3
	v_cndmask_b32_e64 v2, 0, 1, s[0:1]
	v_cmp_ne_u32_e64 s[2:3], 1, v1
	v_cndmask_b32_e64 v1, 0, 1, s[4:5]
	s_mov_b32 s9, 0
	s_mov_b64 s[12:13], 0
	s_movk_i32 s18, 0x1000
	v_cmp_ne_u32_e64 s[0:1], 1, v2
	v_cmp_ne_u32_e64 s[4:5], 1, v1
	s_branch .LBB46_85
.LBB46_84:                              ;   in Loop: Header=BB46_85 Depth=1
	v_add_u32_e32 v0, 0x200, v0
	v_ashrrev_i32_e32 v5, 31, v4
	v_cmp_le_i32_e32 vcc, s14, v0
	v_lshl_add_u64 v[4:5], v[4:5], 3, s[34:35]
	s_or_b64 s[12:13], vcc, s[12:13]
	s_waitcnt lgkmcnt(0)
	global_store_dwordx2 v[4:5], v[2:3], off
	s_andn2_b64 exec, exec, s[12:13]
	s_cbranch_execz .LBB46_96
.LBB46_85:                              ; =>This Loop Header: Depth=1
                                        ;     Child Loop BB46_88 Depth 2
                                        ;     Child Loop BB46_91 Depth 2
	;; [unrolled: 1-line block ×3, first 2 shown]
	v_lshlrev_b32_e32 v1, 2, v0
	v_add_u32_e32 v2, 0, v1
	v_add3_u32 v3, v2, v1, s18
	ds_read_b32 v1, v2
	ds_read2_b32 v[2:3], v3 offset1:1
	s_and_b64 vcc, exec, s[0:1]
	v_mov_b32_e32 v4, s8
	s_mov_b32 s19, 0
	s_mov_b64 s[6:7], -1
	s_cbranch_vccnz .LBB46_93
; %bb.86:                               ;   in Loop: Header=BB46_85 Depth=1
	s_and_b64 vcc, exec, s[2:3]
	v_mov_b64_e32 v[4:5], s[8:9]
	s_cbranch_vccnz .LBB46_89
; %bb.87:                               ;   in Loop: Header=BB46_85 Depth=1
	s_mov_b32 s20, 0
	v_mov_b32_e32 v4, s8
	v_mov_b32_e32 v5, 0
	s_mov_b32 s21, s16
.LBB46_88:                              ;   Parent Loop BB46_85 Depth=1
                                        ; =>  This Inner Loop Header: Depth=2
	v_mov_b32_e32 v20, s20
	ds_read2_b32 v[6:7], v20 offset1:1
	ds_read2_b32 v[8:9], v20 offset0:2 offset1:3
	ds_read2_b32 v[10:11], v20 offset0:4 offset1:5
	;; [unrolled: 1-line block ×7, first 2 shown]
	s_waitcnt lgkmcnt(7)
	v_cmp_gt_i32_e32 vcc, v1, v7
	s_waitcnt lgkmcnt(5)
	v_cmp_gt_i32_e64 s[6:7], v1, v10
	s_add_i32 s19, s19, 16
	v_cndmask_b32_e64 v7, 0, 1, vcc
	v_cmp_gt_i32_e32 vcc, v1, v6
	s_add_i32 s20, s20, 64
	s_add_i32 s21, s21, -8
	v_cndmask_b32_e64 v6, 0, 1, vcc
	v_cmp_gt_i32_e32 vcc, v1, v9
	v_cndmask_b32_e64 v9, 0, 1, s[6:7]
	v_cmp_gt_i32_e64 s[6:7], v1, v11
	v_addc_co_u32_e32 v5, vcc, v5, v7, vcc
	s_nop 0
	v_cndmask_b32_e64 v10, 0, 1, s[6:7]
	s_waitcnt lgkmcnt(3)
	v_cmp_gt_i32_e64 s[6:7], v1, v15
	v_cmp_gt_i32_e32 vcc, v1, v12
	s_cmp_lg_u32 s21, 0
	v_cndmask_b32_e64 v11, 0, 1, s[6:7]
	v_cmp_gt_i32_e64 s[6:7], v1, v14
	s_nop 1
	v_cndmask_b32_e64 v14, 0, 1, s[6:7]
	s_waitcnt lgkmcnt(1)
	v_cmp_gt_i32_e64 s[6:7], v1, v18
	s_nop 1
	v_cndmask_b32_e64 v15, 0, 1, s[6:7]
	v_cmp_gt_i32_e64 s[6:7], v1, v19
	s_nop 1
	v_cndmask_b32_e64 v18, 0, 1, s[6:7]
	v_cmp_gt_i32_e64 s[6:7], v1, v8
	s_nop 1
	v_addc_co_u32_e64 v4, s[6:7], v4, v6, s[6:7]
	v_cmp_gt_i32_e64 s[6:7], v1, v13
	v_addc_co_u32_e32 v4, vcc, v4, v9, vcc
	s_nop 0
	v_addc_co_u32_e64 v5, s[6:7], v5, v10, s[6:7]
	v_cmp_gt_i32_e32 vcc, v1, v17
	v_cmp_gt_i32_e64 s[6:7], v1, v16
	s_nop 0
	v_addc_co_u32_e32 v5, vcc, v5, v11, vcc
	v_addc_co_u32_e64 v4, s[6:7], v4, v14, s[6:7]
	s_waitcnt lgkmcnt(0)
	v_cmp_gt_i32_e32 vcc, v1, v20
	v_cmp_gt_i32_e64 s[6:7], v1, v21
	s_nop 0
	v_addc_co_u32_e32 v4, vcc, v4, v15, vcc
	v_addc_co_u32_e64 v5, s[6:7], v5, v18, s[6:7]
	s_cbranch_scc1 .LBB46_88
.LBB46_89:                              ;   in Loop: Header=BB46_85 Depth=1
	s_and_b64 vcc, exec, s[4:5]
	s_cbranch_vccnz .LBB46_92
; %bb.90:                               ;   in Loop: Header=BB46_85 Depth=1
	s_lshl_b32 s6, s19, 2
	s_add_i32 s6, s6, 0
	s_mov_b32 s7, s17
.LBB46_91:                              ;   Parent Loop BB46_85 Depth=1
                                        ; =>  This Inner Loop Header: Depth=2
	v_mov_b32_e32 v6, s6
	ds_read2_b32 v[6:7], v6 offset1:1
	s_add_i32 s6, s6, 8
	s_add_i32 s7, s7, -8
	s_cmp_lg_u32 s7, 0
	s_waitcnt lgkmcnt(0)
	v_cmp_gt_i32_e32 vcc, v1, v7
	s_nop 1
	v_addc_co_u32_e32 v5, vcc, 0, v5, vcc
	v_cmp_gt_i32_e32 vcc, v1, v6
	s_nop 1
	v_addc_co_u32_e32 v4, vcc, 0, v4, vcc
	s_cbranch_scc1 .LBB46_91
.LBB46_92:                              ;   in Loop: Header=BB46_85 Depth=1
	v_add_u32_e32 v4, v4, v5
	s_mov_b32 s19, s15
	s_mov_b64 s[6:7], s[10:11]
.LBB46_93:                              ;   in Loop: Header=BB46_85 Depth=1
	s_and_b64 vcc, exec, s[6:7]
	s_cbranch_vccz .LBB46_84
; %bb.94:                               ;   in Loop: Header=BB46_85 Depth=1
	s_lshl_b32 s6, s19, 2
	s_add_i32 s6, s6, 0
.LBB46_95:                              ;   Parent Loop BB46_85 Depth=1
                                        ; =>  This Inner Loop Header: Depth=2
	v_mov_b32_e32 v5, s6
	ds_read_b32 v5, v5
	s_add_i32 s19, s19, 1
	s_add_i32 s6, s6, 4
	s_cmp_ge_i32 s19, s14
	s_waitcnt lgkmcnt(0)
	v_cmp_gt_i32_e32 vcc, v1, v5
	s_nop 1
	v_addc_co_u32_e32 v4, vcc, 0, v4, vcc
	s_cbranch_scc0 .LBB46_95
	s_branch .LBB46_84
.LBB46_96:
	s_endpgm
	.section	.rodata,"a",@progbits
	.p2align	6, 0x0
	.amdhsa_kernel _ZN9rocsparseL41csrgemm_numeric_fill_block_per_row_kernelILj512ELj32ELj1024ELj137ELj32Eii21rocsparse_complex_numIfEEEvT5_PKS3_S5_NS_24const_host_device_scalarIT6_EEPKT4_S5_PKS7_SB_S5_SD_S8_SB_S5_SD_SB_S5_PS7_21rocsparse_index_base_SF_SF_SF_bbb
		.amdhsa_group_segment_fixed_size 0
		.amdhsa_private_segment_fixed_size 0
		.amdhsa_kernarg_size 156
		.amdhsa_user_sgpr_count 2
		.amdhsa_user_sgpr_dispatch_ptr 0
		.amdhsa_user_sgpr_queue_ptr 0
		.amdhsa_user_sgpr_kernarg_segment_ptr 1
		.amdhsa_user_sgpr_dispatch_id 0
		.amdhsa_user_sgpr_kernarg_preload_length 0
		.amdhsa_user_sgpr_kernarg_preload_offset 0
		.amdhsa_user_sgpr_private_segment_size 0
		.amdhsa_uses_dynamic_stack 0
		.amdhsa_enable_private_segment 0
		.amdhsa_system_sgpr_workgroup_id_x 1
		.amdhsa_system_sgpr_workgroup_id_y 0
		.amdhsa_system_sgpr_workgroup_id_z 0
		.amdhsa_system_sgpr_workgroup_info 0
		.amdhsa_system_vgpr_workitem_id 0
		.amdhsa_next_free_vgpr 22
		.amdhsa_next_free_sgpr 53
		.amdhsa_accum_offset 24
		.amdhsa_reserve_vcc 1
		.amdhsa_float_round_mode_32 0
		.amdhsa_float_round_mode_16_64 0
		.amdhsa_float_denorm_mode_32 3
		.amdhsa_float_denorm_mode_16_64 3
		.amdhsa_dx10_clamp 1
		.amdhsa_ieee_mode 1
		.amdhsa_fp16_overflow 0
		.amdhsa_tg_split 0
		.amdhsa_exception_fp_ieee_invalid_op 0
		.amdhsa_exception_fp_denorm_src 0
		.amdhsa_exception_fp_ieee_div_zero 0
		.amdhsa_exception_fp_ieee_overflow 0
		.amdhsa_exception_fp_ieee_underflow 0
		.amdhsa_exception_fp_ieee_inexact 0
		.amdhsa_exception_int_div_zero 0
	.end_amdhsa_kernel
	.section	.text._ZN9rocsparseL41csrgemm_numeric_fill_block_per_row_kernelILj512ELj32ELj1024ELj137ELj32Eii21rocsparse_complex_numIfEEEvT5_PKS3_S5_NS_24const_host_device_scalarIT6_EEPKT4_S5_PKS7_SB_S5_SD_S8_SB_S5_SD_SB_S5_PS7_21rocsparse_index_base_SF_SF_SF_bbb,"axG",@progbits,_ZN9rocsparseL41csrgemm_numeric_fill_block_per_row_kernelILj512ELj32ELj1024ELj137ELj32Eii21rocsparse_complex_numIfEEEvT5_PKS3_S5_NS_24const_host_device_scalarIT6_EEPKT4_S5_PKS7_SB_S5_SD_S8_SB_S5_SD_SB_S5_PS7_21rocsparse_index_base_SF_SF_SF_bbb,comdat
.Lfunc_end46:
	.size	_ZN9rocsparseL41csrgemm_numeric_fill_block_per_row_kernelILj512ELj32ELj1024ELj137ELj32Eii21rocsparse_complex_numIfEEEvT5_PKS3_S5_NS_24const_host_device_scalarIT6_EEPKT4_S5_PKS7_SB_S5_SD_S8_SB_S5_SD_SB_S5_PS7_21rocsparse_index_base_SF_SF_SF_bbb, .Lfunc_end46-_ZN9rocsparseL41csrgemm_numeric_fill_block_per_row_kernelILj512ELj32ELj1024ELj137ELj32Eii21rocsparse_complex_numIfEEEvT5_PKS3_S5_NS_24const_host_device_scalarIT6_EEPKT4_S5_PKS7_SB_S5_SD_S8_SB_S5_SD_SB_S5_PS7_21rocsparse_index_base_SF_SF_SF_bbb
                                        ; -- End function
	.set _ZN9rocsparseL41csrgemm_numeric_fill_block_per_row_kernelILj512ELj32ELj1024ELj137ELj32Eii21rocsparse_complex_numIfEEEvT5_PKS3_S5_NS_24const_host_device_scalarIT6_EEPKT4_S5_PKS7_SB_S5_SD_S8_SB_S5_SD_SB_S5_PS7_21rocsparse_index_base_SF_SF_SF_bbb.num_vgpr, 22
	.set _ZN9rocsparseL41csrgemm_numeric_fill_block_per_row_kernelILj512ELj32ELj1024ELj137ELj32Eii21rocsparse_complex_numIfEEEvT5_PKS3_S5_NS_24const_host_device_scalarIT6_EEPKT4_S5_PKS7_SB_S5_SD_S8_SB_S5_SD_SB_S5_PS7_21rocsparse_index_base_SF_SF_SF_bbb.num_agpr, 0
	.set _ZN9rocsparseL41csrgemm_numeric_fill_block_per_row_kernelILj512ELj32ELj1024ELj137ELj32Eii21rocsparse_complex_numIfEEEvT5_PKS3_S5_NS_24const_host_device_scalarIT6_EEPKT4_S5_PKS7_SB_S5_SD_S8_SB_S5_SD_SB_S5_PS7_21rocsparse_index_base_SF_SF_SF_bbb.numbered_sgpr, 53
	.set _ZN9rocsparseL41csrgemm_numeric_fill_block_per_row_kernelILj512ELj32ELj1024ELj137ELj32Eii21rocsparse_complex_numIfEEEvT5_PKS3_S5_NS_24const_host_device_scalarIT6_EEPKT4_S5_PKS7_SB_S5_SD_S8_SB_S5_SD_SB_S5_PS7_21rocsparse_index_base_SF_SF_SF_bbb.num_named_barrier, 0
	.set _ZN9rocsparseL41csrgemm_numeric_fill_block_per_row_kernelILj512ELj32ELj1024ELj137ELj32Eii21rocsparse_complex_numIfEEEvT5_PKS3_S5_NS_24const_host_device_scalarIT6_EEPKT4_S5_PKS7_SB_S5_SD_S8_SB_S5_SD_SB_S5_PS7_21rocsparse_index_base_SF_SF_SF_bbb.private_seg_size, 0
	.set _ZN9rocsparseL41csrgemm_numeric_fill_block_per_row_kernelILj512ELj32ELj1024ELj137ELj32Eii21rocsparse_complex_numIfEEEvT5_PKS3_S5_NS_24const_host_device_scalarIT6_EEPKT4_S5_PKS7_SB_S5_SD_S8_SB_S5_SD_SB_S5_PS7_21rocsparse_index_base_SF_SF_SF_bbb.uses_vcc, 1
	.set _ZN9rocsparseL41csrgemm_numeric_fill_block_per_row_kernelILj512ELj32ELj1024ELj137ELj32Eii21rocsparse_complex_numIfEEEvT5_PKS3_S5_NS_24const_host_device_scalarIT6_EEPKT4_S5_PKS7_SB_S5_SD_S8_SB_S5_SD_SB_S5_PS7_21rocsparse_index_base_SF_SF_SF_bbb.uses_flat_scratch, 0
	.set _ZN9rocsparseL41csrgemm_numeric_fill_block_per_row_kernelILj512ELj32ELj1024ELj137ELj32Eii21rocsparse_complex_numIfEEEvT5_PKS3_S5_NS_24const_host_device_scalarIT6_EEPKT4_S5_PKS7_SB_S5_SD_S8_SB_S5_SD_SB_S5_PS7_21rocsparse_index_base_SF_SF_SF_bbb.has_dyn_sized_stack, 0
	.set _ZN9rocsparseL41csrgemm_numeric_fill_block_per_row_kernelILj512ELj32ELj1024ELj137ELj32Eii21rocsparse_complex_numIfEEEvT5_PKS3_S5_NS_24const_host_device_scalarIT6_EEPKT4_S5_PKS7_SB_S5_SD_S8_SB_S5_SD_SB_S5_PS7_21rocsparse_index_base_SF_SF_SF_bbb.has_recursion, 0
	.set _ZN9rocsparseL41csrgemm_numeric_fill_block_per_row_kernelILj512ELj32ELj1024ELj137ELj32Eii21rocsparse_complex_numIfEEEvT5_PKS3_S5_NS_24const_host_device_scalarIT6_EEPKT4_S5_PKS7_SB_S5_SD_S8_SB_S5_SD_SB_S5_PS7_21rocsparse_index_base_SF_SF_SF_bbb.has_indirect_call, 0
	.section	.AMDGPU.csdata,"",@progbits
; Kernel info:
; codeLenInByte = 3324
; TotalNumSgprs: 59
; NumVgprs: 22
; NumAgprs: 0
; TotalNumVgprs: 22
; ScratchSize: 0
; MemoryBound: 0
; FloatMode: 240
; IeeeMode: 1
; LDSByteSize: 0 bytes/workgroup (compile time only)
; SGPRBlocks: 7
; VGPRBlocks: 2
; NumSGPRsForWavesPerEU: 59
; NumVGPRsForWavesPerEU: 22
; AccumOffset: 24
; Occupancy: 8
; WaveLimiterHint : 1
; COMPUTE_PGM_RSRC2:SCRATCH_EN: 0
; COMPUTE_PGM_RSRC2:USER_SGPR: 2
; COMPUTE_PGM_RSRC2:TRAP_HANDLER: 0
; COMPUTE_PGM_RSRC2:TGID_X_EN: 1
; COMPUTE_PGM_RSRC2:TGID_Y_EN: 0
; COMPUTE_PGM_RSRC2:TGID_Z_EN: 0
; COMPUTE_PGM_RSRC2:TIDIG_COMP_CNT: 0
; COMPUTE_PGM_RSRC3_GFX90A:ACCUM_OFFSET: 5
; COMPUTE_PGM_RSRC3_GFX90A:TG_SPLIT: 0
	.section	.text._ZN9rocsparseL41csrgemm_numeric_fill_block_per_row_kernelILj512ELj32ELj1024ELj137ELj64Eii21rocsparse_complex_numIfEEEvT5_PKS3_S5_NS_24const_host_device_scalarIT6_EEPKT4_S5_PKS7_SB_S5_SD_S8_SB_S5_SD_SB_S5_PS7_21rocsparse_index_base_SF_SF_SF_bbb,"axG",@progbits,_ZN9rocsparseL41csrgemm_numeric_fill_block_per_row_kernelILj512ELj32ELj1024ELj137ELj64Eii21rocsparse_complex_numIfEEEvT5_PKS3_S5_NS_24const_host_device_scalarIT6_EEPKT4_S5_PKS7_SB_S5_SD_S8_SB_S5_SD_SB_S5_PS7_21rocsparse_index_base_SF_SF_SF_bbb,comdat
	.globl	_ZN9rocsparseL41csrgemm_numeric_fill_block_per_row_kernelILj512ELj32ELj1024ELj137ELj64Eii21rocsparse_complex_numIfEEEvT5_PKS3_S5_NS_24const_host_device_scalarIT6_EEPKT4_S5_PKS7_SB_S5_SD_S8_SB_S5_SD_SB_S5_PS7_21rocsparse_index_base_SF_SF_SF_bbb ; -- Begin function _ZN9rocsparseL41csrgemm_numeric_fill_block_per_row_kernelILj512ELj32ELj1024ELj137ELj64Eii21rocsparse_complex_numIfEEEvT5_PKS3_S5_NS_24const_host_device_scalarIT6_EEPKT4_S5_PKS7_SB_S5_SD_S8_SB_S5_SD_SB_S5_PS7_21rocsparse_index_base_SF_SF_SF_bbb
	.p2align	8
	.type	_ZN9rocsparseL41csrgemm_numeric_fill_block_per_row_kernelILj512ELj32ELj1024ELj137ELj64Eii21rocsparse_complex_numIfEEEvT5_PKS3_S5_NS_24const_host_device_scalarIT6_EEPKT4_S5_PKS7_SB_S5_SD_S8_SB_S5_SD_SB_S5_PS7_21rocsparse_index_base_SF_SF_SF_bbb,@function
_ZN9rocsparseL41csrgemm_numeric_fill_block_per_row_kernelILj512ELj32ELj1024ELj137ELj64Eii21rocsparse_complex_numIfEEEvT5_PKS3_S5_NS_24const_host_device_scalarIT6_EEPKT4_S5_PKS7_SB_S5_SD_S8_SB_S5_SD_SB_S5_PS7_21rocsparse_index_base_SF_SF_SF_bbb: ; @_ZN9rocsparseL41csrgemm_numeric_fill_block_per_row_kernelILj512ELj32ELj1024ELj137ELj64Eii21rocsparse_complex_numIfEEEvT5_PKS3_S5_NS_24const_host_device_scalarIT6_EEPKT4_S5_PKS7_SB_S5_SD_S8_SB_S5_SD_SB_S5_PS7_21rocsparse_index_base_SF_SF_SF_bbb
; %bb.0:
	s_load_dwordx2 s[40:41], s[0:1], 0x70
	s_load_dwordx4 s[28:31], s[0:1], 0x60
	s_load_dwordx8 s[8:15], s[0:1], 0x40
	s_load_dword s3, s[0:1], 0x98
	s_load_dwordx4 s[36:39], s[0:1], 0x8
	s_load_dwordx8 s[16:23], s[0:1], 0x20
	s_load_dwordx2 s[34:35], s[0:1], 0x80
	s_load_dwordx4 s[24:27], s[0:1], 0x88
	s_waitcnt lgkmcnt(0)
	s_bitcmp1_b32 s3, 0
	s_cselect_b64 s[44:45], -1, 0
	s_bitcmp1_b32 s3, 16
	s_cselect_b64 s[4:5], -1, 0
	s_xor_b64 s[4:5], s[4:5], -1
	v_cndmask_b32_e64 v1, 0, 1, s[4:5]
	s_mov_b32 s7, 0
	s_bitcmp0_b32 s3, 0
	v_cmp_ne_u32_e64 s[4:5], 1, v1
	s_mov_b32 s52, 0
	s_cbranch_scc1 .LBB47_5
; %bb.1:
	s_load_dwordx2 s[6:7], s[0:1], 0x18
	s_and_b64 vcc, exec, s[4:5]
	s_waitcnt lgkmcnt(0)
	s_mov_b32 s52, s6
	s_cbranch_vccnz .LBB47_3
; %bb.2:
	s_load_dword s52, s[6:7], 0x0
.LBB47_3:
	s_and_b64 vcc, exec, s[4:5]
	s_cbranch_vccnz .LBB47_5
; %bb.4:
	s_load_dword s7, s[6:7], 0x4
.LBB47_5:
	s_bitcmp1_b32 s3, 8
	s_cselect_b64 s[42:43], -1, 0
	s_bfe_u32 s3, s3, 0x10008
	s_mov_b32 s50, 0
	s_cmp_eq_u32 s3, 0
	s_mov_b32 s51, 0
	s_cbranch_scc1 .LBB47_11
; %bb.6:
	s_and_b64 vcc, exec, s[4:5]
	s_mov_b32 s50, s12
	s_cbranch_vccnz .LBB47_8
; %bb.7:
	s_load_dword s50, s[12:13], 0x0
.LBB47_8:
	s_and_b64 vcc, exec, s[4:5]
	s_cbranch_vccnz .LBB47_10
; %bb.9:
	s_load_dword s13, s[12:13], 0x4
.LBB47_10:
	s_waitcnt lgkmcnt(0)
	s_mov_b32 s51, s13
.LBB47_11:
	s_load_dword s33, s[0:1], 0x0
	v_lshl_add_u32 v1, v0, 3, 0
	v_add_u32_e32 v1, 0x1000, v1
	v_or_b32_e32 v8, 0xfffffe00, v0
	v_lshl_add_u32 v9, v0, 2, 0
	s_mov_b64 s[0:1], 0
	s_waitcnt lgkmcnt(0)
	v_mov_b32_e32 v6, s33
	v_mov_b32_e32 v2, 0
	;; [unrolled: 1-line block ×5, first 2 shown]
.LBB47_12:                              ; =>This Inner Loop Header: Depth=1
	v_add_co_u32_e32 v4, vcc, 0x200, v4
	s_xor_b64 s[4:5], vcc, -1
	s_and_b64 s[4:5], exec, s[4:5]
	ds_write_b32 v3, v6
	ds_write2_b32 v5, v2, v2 offset1:1
	v_add_u32_e32 v5, 0x1000, v5
	s_or_b64 s[0:1], s[4:5], s[0:1]
	v_add_u32_e32 v3, 0x800, v3
	s_andn2_b64 exec, exec, s[0:1]
	s_cbranch_execnz .LBB47_12
; %bb.13:
	s_or_b64 exec, exec, s[0:1]
	s_waitcnt lgkmcnt(0)
	s_barrier
	s_load_dword s0, s[36:37], 0x0
	s_mov_b32 s1, 0
	s_waitcnt lgkmcnt(0)
	s_add_i32 s0, s0, s2
	s_lshl_b64 s[0:1], s[0:1], 2
	s_add_u32 s0, s38, s0
	s_addc_u32 s1, s39, s1
	s_load_dword s36, s[0:1], 0x0
	s_and_b64 vcc, exec, s[44:45]
	s_cbranch_vccz .LBB47_31
; %bb.14:
	s_waitcnt lgkmcnt(0)
	s_ashr_i32 s37, s36, 31
	s_lshl_b64 s[0:1], s[36:37], 2
	s_add_u32 s0, s16, s0
	s_addc_u32 s1, s17, s1
	s_load_dwordx2 s[2:3], s[0:1], 0x0
	v_lshrrev_b32_e32 v2, 5, v0
	v_subrev_u32_e32 v2, s24, v2
	s_waitcnt lgkmcnt(0)
	s_sub_i32 s6, s3, s24
	v_add_u32_e32 v2, s2, v2
	v_cmp_gt_i32_e32 vcc, s6, v2
	s_and_saveexec_b64 s[0:1], vcc
	s_cbranch_execz .LBB47_30
; %bb.15:
	v_and_b32_e32 v3, 31, v0
	v_subrev_u32_e32 v10, s25, v3
	s_mov_b64 s[2:3], 0
	s_movk_i32 s37, 0x89
	s_branch .LBB47_17
.LBB47_16:                              ;   in Loop: Header=BB47_17 Depth=1
	s_or_b64 exec, exec, s[4:5]
	v_add_u32_e32 v2, 16, v2
	v_cmp_le_i32_e32 vcc, s6, v2
	s_or_b64 s[2:3], vcc, s[2:3]
	s_andn2_b64 exec, exec, s[2:3]
	s_cbranch_execz .LBB47_30
.LBB47_17:                              ; =>This Loop Header: Depth=1
                                        ;     Child Loop BB47_21 Depth 2
                                        ;       Child Loop BB47_24 Depth 3
	v_ashrrev_i32_e32 v3, 31, v2
	v_lshl_add_u64 v[4:5], v[2:3], 2, s[18:19]
	global_load_dword v4, v[4:5], off
	s_waitcnt vmcnt(0)
	v_subrev_u32_e32 v4, s24, v4
	v_ashrrev_i32_e32 v5, 31, v4
	v_lshl_add_u64 v[4:5], v[4:5], 2, s[22:23]
	global_load_dwordx2 v[4:5], v[4:5], off
	s_waitcnt vmcnt(0)
	v_subrev_u32_e32 v11, s25, v5
	v_add_u32_e32 v4, v4, v10
	v_cmp_lt_i32_e32 vcc, v4, v11
	s_and_saveexec_b64 s[4:5], vcc
	s_cbranch_execz .LBB47_16
; %bb.18:                               ;   in Loop: Header=BB47_17 Depth=1
	v_lshl_add_u64 v[6:7], v[2:3], 3, s[20:21]
	global_load_dwordx2 v[6:7], v[6:7], off
	s_mov_b64 s[12:13], 0
	s_waitcnt vmcnt(0)
	v_mul_f32_e64 v3, v7, -s7
	v_mul_f32_e32 v12, s52, v7
	v_fmac_f32_e32 v3, s52, v6
	v_fmac_f32_e32 v12, s7, v6
	s_branch .LBB47_21
.LBB47_19:                              ;   in Loop: Header=BB47_21 Depth=2
	s_or_b64 exec, exec, s[38:39]
.LBB47_20:                              ;   in Loop: Header=BB47_21 Depth=2
	s_or_b64 exec, exec, s[16:17]
	s_waitcnt vmcnt(0)
	v_mul_f32_e64 v13, v7, -v12
	v_fmac_f32_e32 v13, v3, v6
	v_mul_f32_e32 v7, v3, v7
	v_lshl_add_u32 v5, v5, 3, 0
	v_fmac_f32_e32 v7, v12, v6
	ds_add_f32 v5, v13 offset:4096
	ds_add_f32 v5, v7 offset:4100
	v_add_u32_e32 v4, 32, v4
	v_cmp_ge_i32_e32 vcc, v4, v11
	s_or_b64 s[12:13], vcc, s[12:13]
	s_andn2_b64 exec, exec, s[12:13]
	s_cbranch_execz .LBB47_16
.LBB47_21:                              ;   Parent Loop BB47_17 Depth=1
                                        ; =>  This Loop Header: Depth=2
                                        ;       Child Loop BB47_24 Depth 3
	v_ashrrev_i32_e32 v5, 31, v4
	v_lshl_add_u64 v[6:7], v[4:5], 2, s[8:9]
	global_load_dword v13, v[6:7], off
	v_lshl_add_u64 v[6:7], v[4:5], 3, s[10:11]
	global_load_dwordx2 v[6:7], v[6:7], off
	s_waitcnt vmcnt(1)
	v_subrev_u32_e32 v13, s25, v13
	v_mul_lo_u32 v5, v13, s37
	v_and_b32_e32 v5, 0x3ff, v5
	v_lshl_add_u32 v14, v5, 2, 0
	ds_read_b32 v15, v14
	s_waitcnt lgkmcnt(0)
	v_cmp_ne_u32_e32 vcc, v15, v13
	s_and_saveexec_b64 s[16:17], vcc
	s_cbranch_execz .LBB47_20
; %bb.22:                               ;   in Loop: Header=BB47_21 Depth=2
	s_mov_b64 s[38:39], 0
	s_branch .LBB47_24
.LBB47_23:                              ;   in Loop: Header=BB47_24 Depth=3
	s_or_b64 exec, exec, s[48:49]
	s_and_b64 s[44:45], exec, s[46:47]
	s_or_b64 s[38:39], s[44:45], s[38:39]
	s_andn2_b64 exec, exec, s[38:39]
	s_cbranch_execz .LBB47_19
.LBB47_24:                              ;   Parent Loop BB47_17 Depth=1
                                        ;     Parent Loop BB47_21 Depth=2
                                        ; =>    This Inner Loop Header: Depth=3
	v_cmp_ne_u32_e32 vcc, s33, v15
	s_mov_b64 s[44:45], 0
	s_and_saveexec_b64 s[46:47], vcc
	s_xor_b64 s[46:47], exec, s[46:47]
	s_cbranch_execz .LBB47_26
; %bb.25:                               ;   in Loop: Header=BB47_24 Depth=3
	v_add_u32_e32 v5, 1, v5
	s_mov_b64 s[44:45], exec
	v_and_b32_e32 v5, 0x3ff, v5
                                        ; implicit-def: $vgpr14
	s_andn2_saveexec_b64 s[46:47], s[46:47]
	s_cbranch_execz .LBB47_28
	s_branch .LBB47_27
.LBB47_26:                              ;   in Loop: Header=BB47_24 Depth=3
	s_andn2_saveexec_b64 s[46:47], s[46:47]
	s_cbranch_execz .LBB47_28
.LBB47_27:                              ;   in Loop: Header=BB47_24 Depth=3
	v_mov_b32_e32 v15, s33
	ds_cmpst_rtn_b32 v14, v14, v15, v13
	s_andn2_b64 s[44:45], s[44:45], exec
	s_waitcnt lgkmcnt(0)
	v_cmp_ne_u32_e32 vcc, s33, v14
	s_and_b64 s[48:49], vcc, exec
	s_or_b64 s[44:45], s[44:45], s[48:49]
.LBB47_28:                              ;   in Loop: Header=BB47_24 Depth=3
	s_or_b64 exec, exec, s[46:47]
	s_mov_b64 s[46:47], -1
                                        ; implicit-def: $vgpr14
                                        ; implicit-def: $vgpr15
	s_and_saveexec_b64 s[48:49], s[44:45]
	s_cbranch_execz .LBB47_23
; %bb.29:                               ;   in Loop: Header=BB47_24 Depth=3
	v_lshl_add_u32 v14, v5, 2, 0
	ds_read_b32 v15, v14
	s_waitcnt lgkmcnt(0)
	v_cmp_eq_u32_e32 vcc, v15, v13
	s_orn2_b64 s[46:47], vcc, exec
	s_branch .LBB47_23
.LBB47_30:
	s_or_b64 exec, exec, s[0:1]
.LBB47_31:
	s_andn2_b64 vcc, exec, s[42:43]
	s_cbranch_vccnz .LBB47_46
; %bb.32:
	s_waitcnt lgkmcnt(0)
	s_ashr_i32 s37, s36, 31
	s_lshl_b64 s[0:1], s[36:37], 2
	s_add_u32 s0, s14, s0
	s_addc_u32 s1, s15, s1
	s_load_dwordx2 s[2:3], s[0:1], 0x0
	v_subrev_u32_e32 v2, s27, v0
	s_waitcnt lgkmcnt(0)
	s_sub_i32 s14, s3, s27
	v_add_u32_e32 v2, s2, v2
	v_cmp_gt_i32_e32 vcc, s14, v2
	s_and_saveexec_b64 s[0:1], vcc
	s_cbranch_execz .LBB47_45
; %bb.33:
	s_mov_b64 s[2:3], 0
	s_movk_i32 s15, 0x89
	s_branch .LBB47_36
.LBB47_34:                              ;   in Loop: Header=BB47_36 Depth=1
	s_or_b64 exec, exec, s[6:7]
.LBB47_35:                              ;   in Loop: Header=BB47_36 Depth=1
	s_or_b64 exec, exec, s[4:5]
	s_waitcnt vmcnt(0)
	v_mul_f32_e64 v6, v5, -s51
	v_fmac_f32_e32 v6, s50, v4
	v_mul_f32_e32 v5, s50, v5
	v_lshl_add_u32 v3, v3, 3, 0
	v_fmac_f32_e32 v5, s51, v4
	ds_add_f32 v3, v6 offset:4096
	ds_add_f32 v3, v5 offset:4100
	v_add_u32_e32 v2, 0x200, v2
	v_cmp_le_i32_e32 vcc, s14, v2
	s_or_b64 s[2:3], vcc, s[2:3]
	s_andn2_b64 exec, exec, s[2:3]
	s_cbranch_execz .LBB47_45
.LBB47_36:                              ; =>This Loop Header: Depth=1
                                        ;     Child Loop BB47_39 Depth 2
	v_ashrrev_i32_e32 v3, 31, v2
	v_lshl_add_u64 v[4:5], v[2:3], 2, s[28:29]
	global_load_dword v6, v[4:5], off
	v_lshl_add_u64 v[4:5], v[2:3], 3, s[30:31]
	global_load_dwordx2 v[4:5], v[4:5], off
	s_waitcnt vmcnt(1)
	v_subrev_u32_e32 v6, s27, v6
	v_mul_lo_u32 v3, v6, s15
	v_and_b32_e32 v3, 0x3ff, v3
	v_lshl_add_u32 v7, v3, 2, 0
	ds_read_b32 v10, v7
	s_waitcnt lgkmcnt(0)
	v_cmp_ne_u32_e32 vcc, v10, v6
	s_and_saveexec_b64 s[4:5], vcc
	s_cbranch_execz .LBB47_35
; %bb.37:                               ;   in Loop: Header=BB47_36 Depth=1
	s_mov_b64 s[6:7], 0
	s_branch .LBB47_39
.LBB47_38:                              ;   in Loop: Header=BB47_39 Depth=2
	s_or_b64 exec, exec, s[12:13]
	s_and_b64 s[8:9], exec, s[10:11]
	s_or_b64 s[6:7], s[8:9], s[6:7]
	s_andn2_b64 exec, exec, s[6:7]
	s_cbranch_execz .LBB47_34
.LBB47_39:                              ;   Parent Loop BB47_36 Depth=1
                                        ; =>  This Inner Loop Header: Depth=2
	v_cmp_ne_u32_e32 vcc, s33, v10
	s_mov_b64 s[8:9], 0
	s_and_saveexec_b64 s[10:11], vcc
	s_xor_b64 s[10:11], exec, s[10:11]
	s_cbranch_execz .LBB47_41
; %bb.40:                               ;   in Loop: Header=BB47_39 Depth=2
	v_add_u32_e32 v3, 1, v3
	s_mov_b64 s[8:9], exec
	v_and_b32_e32 v3, 0x3ff, v3
                                        ; implicit-def: $vgpr7
	s_andn2_saveexec_b64 s[10:11], s[10:11]
	s_cbranch_execz .LBB47_43
	s_branch .LBB47_42
.LBB47_41:                              ;   in Loop: Header=BB47_39 Depth=2
	s_andn2_saveexec_b64 s[10:11], s[10:11]
	s_cbranch_execz .LBB47_43
.LBB47_42:                              ;   in Loop: Header=BB47_39 Depth=2
	v_mov_b32_e32 v10, s33
	ds_cmpst_rtn_b32 v7, v7, v10, v6
	s_andn2_b64 s[8:9], s[8:9], exec
	s_waitcnt lgkmcnt(0)
	v_cmp_ne_u32_e32 vcc, s33, v7
	s_and_b64 s[12:13], vcc, exec
	s_or_b64 s[8:9], s[8:9], s[12:13]
.LBB47_43:                              ;   in Loop: Header=BB47_39 Depth=2
	s_or_b64 exec, exec, s[10:11]
	s_mov_b64 s[10:11], -1
                                        ; implicit-def: $vgpr7
                                        ; implicit-def: $vgpr10
	s_and_saveexec_b64 s[12:13], s[8:9]
	s_cbranch_execz .LBB47_38
; %bb.44:                               ;   in Loop: Header=BB47_39 Depth=2
	v_lshl_add_u32 v7, v3, 2, 0
	ds_read_b32 v10, v7
	s_waitcnt lgkmcnt(0)
	v_cmp_eq_u32_e32 vcc, v10, v6
	s_orn2_b64 s[10:11], vcc, exec
	s_branch .LBB47_38
.LBB47_45:
	s_or_b64 exec, exec, s[0:1]
.LBB47_46:
	v_mbcnt_lo_u32_b32 v2, -1, 0
	v_mbcnt_hi_u32_b32 v2, -1, v2
	v_lshrrev_b32_e32 v4, 4, v0
	v_sub_u32_e32 v2, 63, v2
	v_and_b32_e32 v4, 28, v4
	s_movk_i32 s0, 0x1ff
	s_movk_i32 s4, 0x7f
	;; [unrolled: 1-line block ×7, first 2 shown]
	v_mov_b32_e32 v6, 0
	v_lshrrev_b64 v[2:3], v2, -1
	v_add_u32_e32 v7, 0, v4
	v_cmp_eq_u32_e64 s[0:1], s0, v0
	v_cmp_lt_u32_e64 s[2:3], 63, v0
	v_cmp_lt_u32_e64 s[4:5], s4, v0
	v_cmp_lt_u32_e64 s[6:7], s6, v0
	v_cmp_lt_u32_e64 s[8:9], s8, v0
	v_cmp_lt_u32_e64 s[10:11], s10, v0
	v_cmp_lt_u32_e64 s[12:13], s12, v0
	v_cmp_lt_u32_e64 s[14:15], s14, v0
	s_mov_b64 s[16:17], 0
	v_mov_b32_e32 v10, 0
	s_waitcnt lgkmcnt(0)
	s_barrier
	s_branch .LBB47_48
.LBB47_47:                              ;   in Loop: Header=BB47_48 Depth=1
	s_or_b64 exec, exec, s[18:19]
	s_waitcnt lgkmcnt(0)
	s_barrier
	ds_read_b32 v4, v6 offset:12316
	v_add_co_u32_e32 v8, vcc, 0x200, v8
	s_xor_b64 s[18:19], vcc, -1
	s_and_b64 s[18:19], exec, s[18:19]
	v_add_u32_e32 v1, 0x1000, v1
	s_waitcnt lgkmcnt(0)
	v_add_u32_e32 v10, v4, v10
	s_or_b64 s[16:17], s[18:19], s[16:17]
	v_add_u32_e32 v9, 0x800, v9
	s_andn2_b64 exec, exec, s[16:17]
	s_cbranch_execz .LBB47_66
.LBB47_48:                              ; =>This Inner Loop Header: Depth=1
	ds_read_b32 v11, v9
	ds_read2_b32 v[4:5], v1 offset1:1
	s_waitcnt lgkmcnt(0)
	s_barrier
	v_cmp_gt_i32_e32 vcc, s33, v11
	s_bcnt1_i32_b64 s18, vcc
	s_nop 0
	v_and_b32_e32 v13, vcc_lo, v2
	v_and_b32_e32 v12, vcc_hi, v3
	v_bcnt_u32_b32 v13, v13, 0
	v_bcnt_u32_b32 v12, v12, v13
	v_mov_b32_e32 v13, s18
	ds_write_b32 v7, v13 offset:12288
	s_waitcnt lgkmcnt(0)
	s_barrier
	s_and_saveexec_b64 s[18:19], s[2:3]
	s_cbranch_execz .LBB47_57
; %bb.49:                               ;   in Loop: Header=BB47_48 Depth=1
	ds_read_b32 v13, v6 offset:12288
	s_waitcnt lgkmcnt(0)
	v_add_u32_e32 v12, v13, v12
	s_or_b64 exec, exec, s[18:19]
	s_and_saveexec_b64 s[18:19], s[4:5]
	s_cbranch_execnz .LBB47_58
.LBB47_50:                              ;   in Loop: Header=BB47_48 Depth=1
	s_or_b64 exec, exec, s[18:19]
	s_and_saveexec_b64 s[18:19], s[6:7]
	s_cbranch_execz .LBB47_59
.LBB47_51:                              ;   in Loop: Header=BB47_48 Depth=1
	ds_read_b32 v13, v6 offset:12296
	s_waitcnt lgkmcnt(0)
	v_add_u32_e32 v12, v13, v12
	s_or_b64 exec, exec, s[18:19]
	s_and_saveexec_b64 s[18:19], s[8:9]
	s_cbranch_execnz .LBB47_60
.LBB47_52:                              ;   in Loop: Header=BB47_48 Depth=1
	s_or_b64 exec, exec, s[18:19]
	s_and_saveexec_b64 s[18:19], s[10:11]
	s_cbranch_execz .LBB47_61
.LBB47_53:                              ;   in Loop: Header=BB47_48 Depth=1
	ds_read_b32 v13, v6 offset:12304
	s_waitcnt lgkmcnt(0)
	v_add_u32_e32 v12, v13, v12
	s_or_b64 exec, exec, s[18:19]
	s_and_saveexec_b64 s[18:19], s[12:13]
	s_cbranch_execnz .LBB47_62
.LBB47_54:                              ;   in Loop: Header=BB47_48 Depth=1
	s_or_b64 exec, exec, s[18:19]
	s_and_saveexec_b64 s[18:19], s[14:15]
	s_cbranch_execz .LBB47_63
.LBB47_55:                              ;   in Loop: Header=BB47_48 Depth=1
	ds_read_b32 v13, v6 offset:12312
	s_waitcnt lgkmcnt(0)
	v_add_u32_e32 v12, v13, v12
	s_or_b64 exec, exec, s[18:19]
	s_and_saveexec_b64 s[18:19], vcc
	s_cbranch_execnz .LBB47_64
.LBB47_56:                              ;   in Loop: Header=BB47_48 Depth=1
	s_or_b64 exec, exec, s[18:19]
	s_and_saveexec_b64 s[18:19], s[0:1]
	s_cbranch_execz .LBB47_47
	s_branch .LBB47_65
.LBB47_57:                              ;   in Loop: Header=BB47_48 Depth=1
	s_or_b64 exec, exec, s[18:19]
	s_and_saveexec_b64 s[18:19], s[4:5]
	s_cbranch_execz .LBB47_50
.LBB47_58:                              ;   in Loop: Header=BB47_48 Depth=1
	ds_read_b32 v13, v6 offset:12292
	s_waitcnt lgkmcnt(0)
	v_add_u32_e32 v12, v13, v12
	s_or_b64 exec, exec, s[18:19]
	s_and_saveexec_b64 s[18:19], s[6:7]
	s_cbranch_execnz .LBB47_51
.LBB47_59:                              ;   in Loop: Header=BB47_48 Depth=1
	s_or_b64 exec, exec, s[18:19]
	s_and_saveexec_b64 s[18:19], s[8:9]
	s_cbranch_execz .LBB47_52
.LBB47_60:                              ;   in Loop: Header=BB47_48 Depth=1
	ds_read_b32 v13, v6 offset:12300
	s_waitcnt lgkmcnt(0)
	v_add_u32_e32 v12, v13, v12
	s_or_b64 exec, exec, s[18:19]
	s_and_saveexec_b64 s[18:19], s[10:11]
	s_cbranch_execnz .LBB47_53
.LBB47_61:                              ;   in Loop: Header=BB47_48 Depth=1
	s_or_b64 exec, exec, s[18:19]
	s_and_saveexec_b64 s[18:19], s[12:13]
	s_cbranch_execz .LBB47_54
.LBB47_62:                              ;   in Loop: Header=BB47_48 Depth=1
	ds_read_b32 v13, v6 offset:12308
	s_waitcnt lgkmcnt(0)
	v_add_u32_e32 v12, v13, v12
	s_or_b64 exec, exec, s[18:19]
	s_and_saveexec_b64 s[18:19], s[14:15]
	s_cbranch_execnz .LBB47_55
.LBB47_63:                              ;   in Loop: Header=BB47_48 Depth=1
	s_or_b64 exec, exec, s[18:19]
	s_and_saveexec_b64 s[18:19], vcc
	s_cbranch_execz .LBB47_56
.LBB47_64:                              ;   in Loop: Header=BB47_48 Depth=1
	v_add3_u32 v13, v10, -1, v12
	v_add_u32_e32 v14, v10, v12
	v_lshl_add_u32 v13, v13, 2, 0
	v_lshl_add_u32 v14, v14, 3, 0
	v_add_u32_e32 v14, 0xff8, v14
	ds_write_b32 v13, v11
	ds_write2_b32 v14, v4, v5 offset1:1
	s_or_b64 exec, exec, s[18:19]
	s_and_saveexec_b64 s[18:19], s[0:1]
	s_cbranch_execz .LBB47_47
.LBB47_65:                              ;   in Loop: Header=BB47_48 Depth=1
	ds_write_b32 v6, v12 offset:12316
	s_branch .LBB47_47
.LBB47_66:
	s_or_b64 exec, exec, s[16:17]
	s_ashr_i32 s37, s36, 31
	s_lshl_b64 s[0:1], s[36:37], 2
	s_add_u32 s2, s40, s0
	s_addc_u32 s3, s41, s1
	s_load_dwordx2 s[0:1], s[2:3], 0x0
	s_waitcnt lgkmcnt(0)
	s_sub_i32 s14, s1, s0
	v_cmp_gt_i32_e32 vcc, s14, v0
	s_and_saveexec_b64 s[2:3], vcc
	s_cbranch_execz .LBB47_80
; %bb.67:
	s_sub_i32 s8, s0, s26
	v_sub_co_u32_e64 v1, s[0:1], s14, 2
	s_nop 0
	v_readfirstlane_b32 s2, v1
	s_lshr_b32 s2, s2, 1
	s_add_i32 s2, s2, 1
	s_xor_b64 s[0:1], s[0:1], -1
	s_and_b32 s15, s14, -2
	s_and_b32 s3, s2, 7
	s_and_b32 s16, s2, -8
	s_cmp_lg_u32 s3, 0
	v_cmp_lt_u32_e32 vcc, 13, v1
	s_cselect_b64 s[4:5], -1, 0
	s_cmp_lg_u32 s14, s15
	v_cndmask_b32_e64 v1, 0, 1, vcc
	s_cselect_b64 s[10:11], -1, 0
	s_lshl_b32 s17, s3, 3
	v_cndmask_b32_e64 v2, 0, 1, s[0:1]
	v_cmp_ne_u32_e64 s[2:3], 1, v1
	v_cndmask_b32_e64 v1, 0, 1, s[4:5]
	s_mov_b32 s9, 0
	s_mov_b64 s[12:13], 0
	s_movk_i32 s18, 0x1000
	v_cmp_ne_u32_e64 s[0:1], 1, v2
	v_cmp_ne_u32_e64 s[4:5], 1, v1
	s_branch .LBB47_69
.LBB47_68:                              ;   in Loop: Header=BB47_69 Depth=1
	v_add_u32_e32 v0, 0x200, v0
	v_ashrrev_i32_e32 v5, 31, v4
	v_cmp_le_i32_e32 vcc, s14, v0
	v_lshl_add_u64 v[4:5], v[4:5], 3, s[34:35]
	s_or_b64 s[12:13], vcc, s[12:13]
	s_waitcnt lgkmcnt(0)
	global_store_dwordx2 v[4:5], v[2:3], off
	s_andn2_b64 exec, exec, s[12:13]
	s_cbranch_execz .LBB47_80
.LBB47_69:                              ; =>This Loop Header: Depth=1
                                        ;     Child Loop BB47_72 Depth 2
                                        ;     Child Loop BB47_75 Depth 2
	;; [unrolled: 1-line block ×3, first 2 shown]
	v_lshlrev_b32_e32 v1, 2, v0
	v_add_u32_e32 v2, 0, v1
	v_add3_u32 v3, v2, v1, s18
	ds_read_b32 v1, v2
	ds_read2_b32 v[2:3], v3 offset1:1
	s_and_b64 vcc, exec, s[0:1]
	v_mov_b32_e32 v4, s8
	s_mov_b32 s19, 0
	s_mov_b64 s[6:7], -1
	s_cbranch_vccnz .LBB47_77
; %bb.70:                               ;   in Loop: Header=BB47_69 Depth=1
	s_and_b64 vcc, exec, s[2:3]
	v_mov_b64_e32 v[4:5], s[8:9]
	s_cbranch_vccnz .LBB47_73
; %bb.71:                               ;   in Loop: Header=BB47_69 Depth=1
	s_mov_b32 s20, 0
	v_mov_b32_e32 v4, s8
	v_mov_b32_e32 v5, 0
	s_mov_b32 s21, s16
.LBB47_72:                              ;   Parent Loop BB47_69 Depth=1
                                        ; =>  This Inner Loop Header: Depth=2
	v_mov_b32_e32 v20, s20
	ds_read2_b32 v[6:7], v20 offset1:1
	ds_read2_b32 v[8:9], v20 offset0:2 offset1:3
	ds_read2_b32 v[10:11], v20 offset0:4 offset1:5
	;; [unrolled: 1-line block ×7, first 2 shown]
	s_waitcnt lgkmcnt(7)
	v_cmp_gt_i32_e32 vcc, v1, v7
	s_waitcnt lgkmcnt(5)
	v_cmp_gt_i32_e64 s[6:7], v1, v10
	s_add_i32 s19, s19, 16
	v_cndmask_b32_e64 v7, 0, 1, vcc
	v_cmp_gt_i32_e32 vcc, v1, v6
	s_add_i32 s20, s20, 64
	s_add_i32 s21, s21, -8
	v_cndmask_b32_e64 v6, 0, 1, vcc
	v_cmp_gt_i32_e32 vcc, v1, v9
	v_cndmask_b32_e64 v9, 0, 1, s[6:7]
	v_cmp_gt_i32_e64 s[6:7], v1, v11
	v_addc_co_u32_e32 v5, vcc, v5, v7, vcc
	s_nop 0
	v_cndmask_b32_e64 v10, 0, 1, s[6:7]
	s_waitcnt lgkmcnt(3)
	v_cmp_gt_i32_e64 s[6:7], v1, v15
	v_cmp_gt_i32_e32 vcc, v1, v12
	s_cmp_lg_u32 s21, 0
	v_cndmask_b32_e64 v11, 0, 1, s[6:7]
	v_cmp_gt_i32_e64 s[6:7], v1, v14
	s_nop 1
	v_cndmask_b32_e64 v14, 0, 1, s[6:7]
	s_waitcnt lgkmcnt(1)
	v_cmp_gt_i32_e64 s[6:7], v1, v18
	s_nop 1
	v_cndmask_b32_e64 v15, 0, 1, s[6:7]
	v_cmp_gt_i32_e64 s[6:7], v1, v19
	s_nop 1
	v_cndmask_b32_e64 v18, 0, 1, s[6:7]
	v_cmp_gt_i32_e64 s[6:7], v1, v8
	s_nop 1
	v_addc_co_u32_e64 v4, s[6:7], v4, v6, s[6:7]
	v_cmp_gt_i32_e64 s[6:7], v1, v13
	v_addc_co_u32_e32 v4, vcc, v4, v9, vcc
	s_nop 0
	v_addc_co_u32_e64 v5, s[6:7], v5, v10, s[6:7]
	v_cmp_gt_i32_e32 vcc, v1, v17
	v_cmp_gt_i32_e64 s[6:7], v1, v16
	s_nop 0
	v_addc_co_u32_e32 v5, vcc, v5, v11, vcc
	v_addc_co_u32_e64 v4, s[6:7], v4, v14, s[6:7]
	s_waitcnt lgkmcnt(0)
	v_cmp_gt_i32_e32 vcc, v1, v20
	v_cmp_gt_i32_e64 s[6:7], v1, v21
	s_nop 0
	v_addc_co_u32_e32 v4, vcc, v4, v15, vcc
	v_addc_co_u32_e64 v5, s[6:7], v5, v18, s[6:7]
	s_cbranch_scc1 .LBB47_72
.LBB47_73:                              ;   in Loop: Header=BB47_69 Depth=1
	s_and_b64 vcc, exec, s[4:5]
	s_cbranch_vccnz .LBB47_76
; %bb.74:                               ;   in Loop: Header=BB47_69 Depth=1
	s_lshl_b32 s6, s19, 2
	s_add_i32 s6, s6, 0
	s_mov_b32 s7, s17
.LBB47_75:                              ;   Parent Loop BB47_69 Depth=1
                                        ; =>  This Inner Loop Header: Depth=2
	v_mov_b32_e32 v6, s6
	ds_read2_b32 v[6:7], v6 offset1:1
	s_add_i32 s6, s6, 8
	s_add_i32 s7, s7, -8
	s_cmp_lg_u32 s7, 0
	s_waitcnt lgkmcnt(0)
	v_cmp_gt_i32_e32 vcc, v1, v7
	s_nop 1
	v_addc_co_u32_e32 v5, vcc, 0, v5, vcc
	v_cmp_gt_i32_e32 vcc, v1, v6
	s_nop 1
	v_addc_co_u32_e32 v4, vcc, 0, v4, vcc
	s_cbranch_scc1 .LBB47_75
.LBB47_76:                              ;   in Loop: Header=BB47_69 Depth=1
	v_add_u32_e32 v4, v4, v5
	s_mov_b32 s19, s15
	s_mov_b64 s[6:7], s[10:11]
.LBB47_77:                              ;   in Loop: Header=BB47_69 Depth=1
	s_and_b64 vcc, exec, s[6:7]
	s_cbranch_vccz .LBB47_68
; %bb.78:                               ;   in Loop: Header=BB47_69 Depth=1
	s_lshl_b32 s6, s19, 2
	s_add_i32 s6, s6, 0
.LBB47_79:                              ;   Parent Loop BB47_69 Depth=1
                                        ; =>  This Inner Loop Header: Depth=2
	v_mov_b32_e32 v5, s6
	ds_read_b32 v5, v5
	s_add_i32 s19, s19, 1
	s_add_i32 s6, s6, 4
	s_cmp_ge_i32 s19, s14
	s_waitcnt lgkmcnt(0)
	v_cmp_gt_i32_e32 vcc, v1, v5
	s_nop 1
	v_addc_co_u32_e32 v4, vcc, 0, v4, vcc
	s_cbranch_scc0 .LBB47_79
	s_branch .LBB47_68
.LBB47_80:
	s_endpgm
	.section	.rodata,"a",@progbits
	.p2align	6, 0x0
	.amdhsa_kernel _ZN9rocsparseL41csrgemm_numeric_fill_block_per_row_kernelILj512ELj32ELj1024ELj137ELj64Eii21rocsparse_complex_numIfEEEvT5_PKS3_S5_NS_24const_host_device_scalarIT6_EEPKT4_S5_PKS7_SB_S5_SD_S8_SB_S5_SD_SB_S5_PS7_21rocsparse_index_base_SF_SF_SF_bbb
		.amdhsa_group_segment_fixed_size 0
		.amdhsa_private_segment_fixed_size 0
		.amdhsa_kernarg_size 156
		.amdhsa_user_sgpr_count 2
		.amdhsa_user_sgpr_dispatch_ptr 0
		.amdhsa_user_sgpr_queue_ptr 0
		.amdhsa_user_sgpr_kernarg_segment_ptr 1
		.amdhsa_user_sgpr_dispatch_id 0
		.amdhsa_user_sgpr_kernarg_preload_length 0
		.amdhsa_user_sgpr_kernarg_preload_offset 0
		.amdhsa_user_sgpr_private_segment_size 0
		.amdhsa_uses_dynamic_stack 0
		.amdhsa_enable_private_segment 0
		.amdhsa_system_sgpr_workgroup_id_x 1
		.amdhsa_system_sgpr_workgroup_id_y 0
		.amdhsa_system_sgpr_workgroup_id_z 0
		.amdhsa_system_sgpr_workgroup_info 0
		.amdhsa_system_vgpr_workitem_id 0
		.amdhsa_next_free_vgpr 22
		.amdhsa_next_free_sgpr 53
		.amdhsa_accum_offset 24
		.amdhsa_reserve_vcc 1
		.amdhsa_float_round_mode_32 0
		.amdhsa_float_round_mode_16_64 0
		.amdhsa_float_denorm_mode_32 3
		.amdhsa_float_denorm_mode_16_64 3
		.amdhsa_dx10_clamp 1
		.amdhsa_ieee_mode 1
		.amdhsa_fp16_overflow 0
		.amdhsa_tg_split 0
		.amdhsa_exception_fp_ieee_invalid_op 0
		.amdhsa_exception_fp_denorm_src 0
		.amdhsa_exception_fp_ieee_div_zero 0
		.amdhsa_exception_fp_ieee_overflow 0
		.amdhsa_exception_fp_ieee_underflow 0
		.amdhsa_exception_fp_ieee_inexact 0
		.amdhsa_exception_int_div_zero 0
	.end_amdhsa_kernel
	.section	.text._ZN9rocsparseL41csrgemm_numeric_fill_block_per_row_kernelILj512ELj32ELj1024ELj137ELj64Eii21rocsparse_complex_numIfEEEvT5_PKS3_S5_NS_24const_host_device_scalarIT6_EEPKT4_S5_PKS7_SB_S5_SD_S8_SB_S5_SD_SB_S5_PS7_21rocsparse_index_base_SF_SF_SF_bbb,"axG",@progbits,_ZN9rocsparseL41csrgemm_numeric_fill_block_per_row_kernelILj512ELj32ELj1024ELj137ELj64Eii21rocsparse_complex_numIfEEEvT5_PKS3_S5_NS_24const_host_device_scalarIT6_EEPKT4_S5_PKS7_SB_S5_SD_S8_SB_S5_SD_SB_S5_PS7_21rocsparse_index_base_SF_SF_SF_bbb,comdat
.Lfunc_end47:
	.size	_ZN9rocsparseL41csrgemm_numeric_fill_block_per_row_kernelILj512ELj32ELj1024ELj137ELj64Eii21rocsparse_complex_numIfEEEvT5_PKS3_S5_NS_24const_host_device_scalarIT6_EEPKT4_S5_PKS7_SB_S5_SD_S8_SB_S5_SD_SB_S5_PS7_21rocsparse_index_base_SF_SF_SF_bbb, .Lfunc_end47-_ZN9rocsparseL41csrgemm_numeric_fill_block_per_row_kernelILj512ELj32ELj1024ELj137ELj64Eii21rocsparse_complex_numIfEEEvT5_PKS3_S5_NS_24const_host_device_scalarIT6_EEPKT4_S5_PKS7_SB_S5_SD_S8_SB_S5_SD_SB_S5_PS7_21rocsparse_index_base_SF_SF_SF_bbb
                                        ; -- End function
	.set _ZN9rocsparseL41csrgemm_numeric_fill_block_per_row_kernelILj512ELj32ELj1024ELj137ELj64Eii21rocsparse_complex_numIfEEEvT5_PKS3_S5_NS_24const_host_device_scalarIT6_EEPKT4_S5_PKS7_SB_S5_SD_S8_SB_S5_SD_SB_S5_PS7_21rocsparse_index_base_SF_SF_SF_bbb.num_vgpr, 22
	.set _ZN9rocsparseL41csrgemm_numeric_fill_block_per_row_kernelILj512ELj32ELj1024ELj137ELj64Eii21rocsparse_complex_numIfEEEvT5_PKS3_S5_NS_24const_host_device_scalarIT6_EEPKT4_S5_PKS7_SB_S5_SD_S8_SB_S5_SD_SB_S5_PS7_21rocsparse_index_base_SF_SF_SF_bbb.num_agpr, 0
	.set _ZN9rocsparseL41csrgemm_numeric_fill_block_per_row_kernelILj512ELj32ELj1024ELj137ELj64Eii21rocsparse_complex_numIfEEEvT5_PKS3_S5_NS_24const_host_device_scalarIT6_EEPKT4_S5_PKS7_SB_S5_SD_S8_SB_S5_SD_SB_S5_PS7_21rocsparse_index_base_SF_SF_SF_bbb.numbered_sgpr, 53
	.set _ZN9rocsparseL41csrgemm_numeric_fill_block_per_row_kernelILj512ELj32ELj1024ELj137ELj64Eii21rocsparse_complex_numIfEEEvT5_PKS3_S5_NS_24const_host_device_scalarIT6_EEPKT4_S5_PKS7_SB_S5_SD_S8_SB_S5_SD_SB_S5_PS7_21rocsparse_index_base_SF_SF_SF_bbb.num_named_barrier, 0
	.set _ZN9rocsparseL41csrgemm_numeric_fill_block_per_row_kernelILj512ELj32ELj1024ELj137ELj64Eii21rocsparse_complex_numIfEEEvT5_PKS3_S5_NS_24const_host_device_scalarIT6_EEPKT4_S5_PKS7_SB_S5_SD_S8_SB_S5_SD_SB_S5_PS7_21rocsparse_index_base_SF_SF_SF_bbb.private_seg_size, 0
	.set _ZN9rocsparseL41csrgemm_numeric_fill_block_per_row_kernelILj512ELj32ELj1024ELj137ELj64Eii21rocsparse_complex_numIfEEEvT5_PKS3_S5_NS_24const_host_device_scalarIT6_EEPKT4_S5_PKS7_SB_S5_SD_S8_SB_S5_SD_SB_S5_PS7_21rocsparse_index_base_SF_SF_SF_bbb.uses_vcc, 1
	.set _ZN9rocsparseL41csrgemm_numeric_fill_block_per_row_kernelILj512ELj32ELj1024ELj137ELj64Eii21rocsparse_complex_numIfEEEvT5_PKS3_S5_NS_24const_host_device_scalarIT6_EEPKT4_S5_PKS7_SB_S5_SD_S8_SB_S5_SD_SB_S5_PS7_21rocsparse_index_base_SF_SF_SF_bbb.uses_flat_scratch, 0
	.set _ZN9rocsparseL41csrgemm_numeric_fill_block_per_row_kernelILj512ELj32ELj1024ELj137ELj64Eii21rocsparse_complex_numIfEEEvT5_PKS3_S5_NS_24const_host_device_scalarIT6_EEPKT4_S5_PKS7_SB_S5_SD_S8_SB_S5_SD_SB_S5_PS7_21rocsparse_index_base_SF_SF_SF_bbb.has_dyn_sized_stack, 0
	.set _ZN9rocsparseL41csrgemm_numeric_fill_block_per_row_kernelILj512ELj32ELj1024ELj137ELj64Eii21rocsparse_complex_numIfEEEvT5_PKS3_S5_NS_24const_host_device_scalarIT6_EEPKT4_S5_PKS7_SB_S5_SD_S8_SB_S5_SD_SB_S5_PS7_21rocsparse_index_base_SF_SF_SF_bbb.has_recursion, 0
	.set _ZN9rocsparseL41csrgemm_numeric_fill_block_per_row_kernelILj512ELj32ELj1024ELj137ELj64Eii21rocsparse_complex_numIfEEEvT5_PKS3_S5_NS_24const_host_device_scalarIT6_EEPKT4_S5_PKS7_SB_S5_SD_S8_SB_S5_SD_SB_S5_PS7_21rocsparse_index_base_SF_SF_SF_bbb.has_indirect_call, 0
	.section	.AMDGPU.csdata,"",@progbits
; Kernel info:
; codeLenInByte = 2916
; TotalNumSgprs: 59
; NumVgprs: 22
; NumAgprs: 0
; TotalNumVgprs: 22
; ScratchSize: 0
; MemoryBound: 0
; FloatMode: 240
; IeeeMode: 1
; LDSByteSize: 0 bytes/workgroup (compile time only)
; SGPRBlocks: 7
; VGPRBlocks: 2
; NumSGPRsForWavesPerEU: 59
; NumVGPRsForWavesPerEU: 22
; AccumOffset: 24
; Occupancy: 8
; WaveLimiterHint : 1
; COMPUTE_PGM_RSRC2:SCRATCH_EN: 0
; COMPUTE_PGM_RSRC2:USER_SGPR: 2
; COMPUTE_PGM_RSRC2:TRAP_HANDLER: 0
; COMPUTE_PGM_RSRC2:TGID_X_EN: 1
; COMPUTE_PGM_RSRC2:TGID_Y_EN: 0
; COMPUTE_PGM_RSRC2:TGID_Z_EN: 0
; COMPUTE_PGM_RSRC2:TIDIG_COMP_CNT: 0
; COMPUTE_PGM_RSRC3_GFX90A:ACCUM_OFFSET: 5
; COMPUTE_PGM_RSRC3_GFX90A:TG_SPLIT: 0
	.section	.text._ZN9rocsparseL41csrgemm_numeric_fill_block_per_row_kernelILj1024ELj32ELj2048ELj137ELj32Eii21rocsparse_complex_numIfEEEvT5_PKS3_S5_NS_24const_host_device_scalarIT6_EEPKT4_S5_PKS7_SB_S5_SD_S8_SB_S5_SD_SB_S5_PS7_21rocsparse_index_base_SF_SF_SF_bbb,"axG",@progbits,_ZN9rocsparseL41csrgemm_numeric_fill_block_per_row_kernelILj1024ELj32ELj2048ELj137ELj32Eii21rocsparse_complex_numIfEEEvT5_PKS3_S5_NS_24const_host_device_scalarIT6_EEPKT4_S5_PKS7_SB_S5_SD_S8_SB_S5_SD_SB_S5_PS7_21rocsparse_index_base_SF_SF_SF_bbb,comdat
	.globl	_ZN9rocsparseL41csrgemm_numeric_fill_block_per_row_kernelILj1024ELj32ELj2048ELj137ELj32Eii21rocsparse_complex_numIfEEEvT5_PKS3_S5_NS_24const_host_device_scalarIT6_EEPKT4_S5_PKS7_SB_S5_SD_S8_SB_S5_SD_SB_S5_PS7_21rocsparse_index_base_SF_SF_SF_bbb ; -- Begin function _ZN9rocsparseL41csrgemm_numeric_fill_block_per_row_kernelILj1024ELj32ELj2048ELj137ELj32Eii21rocsparse_complex_numIfEEEvT5_PKS3_S5_NS_24const_host_device_scalarIT6_EEPKT4_S5_PKS7_SB_S5_SD_S8_SB_S5_SD_SB_S5_PS7_21rocsparse_index_base_SF_SF_SF_bbb
	.p2align	8
	.type	_ZN9rocsparseL41csrgemm_numeric_fill_block_per_row_kernelILj1024ELj32ELj2048ELj137ELj32Eii21rocsparse_complex_numIfEEEvT5_PKS3_S5_NS_24const_host_device_scalarIT6_EEPKT4_S5_PKS7_SB_S5_SD_S8_SB_S5_SD_SB_S5_PS7_21rocsparse_index_base_SF_SF_SF_bbb,@function
_ZN9rocsparseL41csrgemm_numeric_fill_block_per_row_kernelILj1024ELj32ELj2048ELj137ELj32Eii21rocsparse_complex_numIfEEEvT5_PKS3_S5_NS_24const_host_device_scalarIT6_EEPKT4_S5_PKS7_SB_S5_SD_S8_SB_S5_SD_SB_S5_PS7_21rocsparse_index_base_SF_SF_SF_bbb: ; @_ZN9rocsparseL41csrgemm_numeric_fill_block_per_row_kernelILj1024ELj32ELj2048ELj137ELj32Eii21rocsparse_complex_numIfEEEvT5_PKS3_S5_NS_24const_host_device_scalarIT6_EEPKT4_S5_PKS7_SB_S5_SD_S8_SB_S5_SD_SB_S5_PS7_21rocsparse_index_base_SF_SF_SF_bbb
; %bb.0:
	s_load_dwordx2 s[70:71], s[0:1], 0x70
	s_load_dwordx4 s[24:27], s[0:1], 0x60
	s_load_dwordx8 s[8:15], s[0:1], 0x40
	s_load_dword s3, s[0:1], 0x98
	s_load_dwordx4 s[28:31], s[0:1], 0x8
	s_load_dwordx8 s[16:23], s[0:1], 0x20
	s_load_dwordx2 s[68:69], s[0:1], 0x80
	s_load_dwordx4 s[64:67], s[0:1], 0x88
	s_waitcnt lgkmcnt(0)
	s_bitcmp1_b32 s3, 0
	s_cselect_b64 s[36:37], -1, 0
	s_bitcmp1_b32 s3, 16
	s_cselect_b64 s[4:5], -1, 0
	s_xor_b64 s[4:5], s[4:5], -1
	v_cndmask_b32_e64 v1, 0, 1, s[4:5]
	s_mov_b32 s7, 0
	s_bitcmp0_b32 s3, 0
	v_cmp_ne_u32_e64 s[4:5], 1, v1
	s_mov_b32 s42, 0
	s_cbranch_scc1 .LBB48_5
; %bb.1:
	s_load_dwordx2 s[6:7], s[0:1], 0x18
	s_and_b64 vcc, exec, s[4:5]
	s_waitcnt lgkmcnt(0)
	s_mov_b32 s42, s6
	s_cbranch_vccnz .LBB48_3
; %bb.2:
	s_load_dword s42, s[6:7], 0x0
.LBB48_3:
	s_and_b64 vcc, exec, s[4:5]
	s_cbranch_vccnz .LBB48_5
; %bb.4:
	s_load_dword s7, s[6:7], 0x4
.LBB48_5:
	s_bitcmp1_b32 s3, 8
	s_cselect_b64 s[34:35], -1, 0
	s_bfe_u32 s3, s3, 0x10008
	s_mov_b32 s40, 0
	s_cmp_eq_u32 s3, 0
	s_mov_b32 s41, 0
	s_cbranch_scc1 .LBB48_11
; %bb.6:
	s_and_b64 vcc, exec, s[4:5]
	s_mov_b32 s40, s12
	s_cbranch_vccnz .LBB48_8
; %bb.7:
	s_load_dword s40, s[12:13], 0x0
.LBB48_8:
	s_and_b64 vcc, exec, s[4:5]
	s_cbranch_vccnz .LBB48_10
; %bb.9:
	s_load_dword s13, s[12:13], 0x4
.LBB48_10:
	s_waitcnt lgkmcnt(0)
	s_mov_b32 s41, s13
.LBB48_11:
	s_load_dword s33, s[0:1], 0x0
	v_lshl_add_u32 v1, v0, 3, 0
	v_add_u32_e32 v1, 0x2000, v1
	v_or_b32_e32 v8, 0xfffffc00, v0
	v_lshl_add_u32 v9, v0, 2, 0
	s_mov_b64 s[0:1], 0
	s_waitcnt lgkmcnt(0)
	v_mov_b32_e32 v6, s33
	v_mov_b32_e32 v2, 0
	;; [unrolled: 1-line block ×5, first 2 shown]
.LBB48_12:                              ; =>This Inner Loop Header: Depth=1
	v_add_co_u32_e32 v4, vcc, 0x400, v4
	s_xor_b64 s[4:5], vcc, -1
	s_and_b64 s[4:5], exec, s[4:5]
	ds_write_b32 v3, v6
	ds_write2_b32 v5, v2, v2 offset1:1
	v_add_u32_e32 v5, 0x2000, v5
	s_or_b64 s[0:1], s[4:5], s[0:1]
	v_add_u32_e32 v3, 0x1000, v3
	s_andn2_b64 exec, exec, s[0:1]
	s_cbranch_execnz .LBB48_12
; %bb.13:
	s_or_b64 exec, exec, s[0:1]
	s_waitcnt lgkmcnt(0)
	s_barrier
	s_load_dword s0, s[28:29], 0x0
	s_mov_b32 s1, 0
	v_lshrrev_b32_e32 v10, 5, v0
	s_waitcnt lgkmcnt(0)
	s_add_i32 s0, s0, s2
	s_lshl_b64 s[0:1], s[0:1], 2
	s_add_u32 s0, s30, s0
	s_addc_u32 s1, s31, s1
	s_load_dword s72, s[0:1], 0x0
	s_and_b64 vcc, exec, s[36:37]
	s_cbranch_vccz .LBB48_31
; %bb.14:
	s_waitcnt lgkmcnt(0)
	s_ashr_i32 s73, s72, 31
	s_lshl_b64 s[0:1], s[72:73], 2
	s_add_u32 s0, s16, s0
	s_addc_u32 s1, s17, s1
	s_load_dwordx2 s[2:3], s[0:1], 0x0
	v_subrev_u32_e32 v2, s64, v10
	s_waitcnt lgkmcnt(0)
	s_sub_i32 s6, s3, s64
	v_add_u32_e32 v2, s2, v2
	v_cmp_gt_i32_e32 vcc, s6, v2
	s_and_saveexec_b64 s[0:1], vcc
	s_cbranch_execz .LBB48_30
; %bb.15:
	v_and_b32_e32 v3, 31, v0
	v_subrev_u32_e32 v11, s65, v3
	s_mov_b64 s[2:3], 0
	s_movk_i32 s43, 0x89
	s_branch .LBB48_17
.LBB48_16:                              ;   in Loop: Header=BB48_17 Depth=1
	s_or_b64 exec, exec, s[4:5]
	v_add_u32_e32 v2, 32, v2
	v_cmp_le_i32_e32 vcc, s6, v2
	s_or_b64 s[2:3], vcc, s[2:3]
	s_andn2_b64 exec, exec, s[2:3]
	s_cbranch_execz .LBB48_30
.LBB48_17:                              ; =>This Loop Header: Depth=1
                                        ;     Child Loop BB48_21 Depth 2
                                        ;       Child Loop BB48_24 Depth 3
	v_ashrrev_i32_e32 v3, 31, v2
	v_lshl_add_u64 v[4:5], v[2:3], 2, s[18:19]
	global_load_dword v4, v[4:5], off
	s_waitcnt vmcnt(0)
	v_subrev_u32_e32 v4, s64, v4
	v_ashrrev_i32_e32 v5, 31, v4
	v_lshl_add_u64 v[4:5], v[4:5], 2, s[22:23]
	global_load_dwordx2 v[4:5], v[4:5], off
	s_waitcnt vmcnt(0)
	v_subrev_u32_e32 v12, s65, v5
	v_add_u32_e32 v4, v4, v11
	v_cmp_lt_i32_e32 vcc, v4, v12
	s_and_saveexec_b64 s[4:5], vcc
	s_cbranch_execz .LBB48_16
; %bb.18:                               ;   in Loop: Header=BB48_17 Depth=1
	v_lshl_add_u64 v[6:7], v[2:3], 3, s[20:21]
	global_load_dwordx2 v[6:7], v[6:7], off
	s_mov_b64 s[12:13], 0
	s_waitcnt vmcnt(0)
	v_mul_f32_e64 v3, v7, -s7
	v_mul_f32_e32 v13, s42, v7
	v_fmac_f32_e32 v3, s42, v6
	v_fmac_f32_e32 v13, s7, v6
	s_branch .LBB48_21
.LBB48_19:                              ;   in Loop: Header=BB48_21 Depth=2
	s_or_b64 exec, exec, s[28:29]
.LBB48_20:                              ;   in Loop: Header=BB48_21 Depth=2
	s_or_b64 exec, exec, s[16:17]
	s_waitcnt vmcnt(0)
	v_mul_f32_e64 v14, v7, -v13
	v_fmac_f32_e32 v14, v3, v6
	v_mul_f32_e32 v7, v3, v7
	v_lshl_add_u32 v5, v5, 3, 0
	v_fmac_f32_e32 v7, v13, v6
	ds_add_f32 v5, v14 offset:8192
	ds_add_f32 v5, v7 offset:8196
	v_add_u32_e32 v4, 32, v4
	v_cmp_ge_i32_e32 vcc, v4, v12
	s_or_b64 s[12:13], vcc, s[12:13]
	s_andn2_b64 exec, exec, s[12:13]
	s_cbranch_execz .LBB48_16
.LBB48_21:                              ;   Parent Loop BB48_17 Depth=1
                                        ; =>  This Loop Header: Depth=2
                                        ;       Child Loop BB48_24 Depth 3
	v_ashrrev_i32_e32 v5, 31, v4
	v_lshl_add_u64 v[6:7], v[4:5], 2, s[8:9]
	global_load_dword v14, v[6:7], off
	v_lshl_add_u64 v[6:7], v[4:5], 3, s[10:11]
	global_load_dwordx2 v[6:7], v[6:7], off
	s_waitcnt vmcnt(1)
	v_subrev_u32_e32 v14, s65, v14
	v_mul_lo_u32 v5, v14, s43
	v_and_b32_e32 v5, 0x7ff, v5
	v_lshl_add_u32 v15, v5, 2, 0
	ds_read_b32 v16, v15
	s_waitcnt lgkmcnt(0)
	v_cmp_ne_u32_e32 vcc, v16, v14
	s_and_saveexec_b64 s[16:17], vcc
	s_cbranch_execz .LBB48_20
; %bb.22:                               ;   in Loop: Header=BB48_21 Depth=2
	s_mov_b64 s[28:29], 0
	s_branch .LBB48_24
.LBB48_23:                              ;   in Loop: Header=BB48_24 Depth=3
	s_or_b64 exec, exec, s[38:39]
	s_and_b64 s[30:31], exec, s[36:37]
	s_or_b64 s[28:29], s[30:31], s[28:29]
	s_andn2_b64 exec, exec, s[28:29]
	s_cbranch_execz .LBB48_19
.LBB48_24:                              ;   Parent Loop BB48_17 Depth=1
                                        ;     Parent Loop BB48_21 Depth=2
                                        ; =>    This Inner Loop Header: Depth=3
	v_cmp_ne_u32_e32 vcc, s33, v16
	s_mov_b64 s[30:31], 0
	s_and_saveexec_b64 s[36:37], vcc
	s_xor_b64 s[36:37], exec, s[36:37]
	s_cbranch_execz .LBB48_26
; %bb.25:                               ;   in Loop: Header=BB48_24 Depth=3
	v_add_u32_e32 v5, 1, v5
	s_mov_b64 s[30:31], exec
	v_and_b32_e32 v5, 0x7ff, v5
                                        ; implicit-def: $vgpr15
	s_andn2_saveexec_b64 s[36:37], s[36:37]
	s_cbranch_execz .LBB48_28
	s_branch .LBB48_27
.LBB48_26:                              ;   in Loop: Header=BB48_24 Depth=3
	s_andn2_saveexec_b64 s[36:37], s[36:37]
	s_cbranch_execz .LBB48_28
.LBB48_27:                              ;   in Loop: Header=BB48_24 Depth=3
	v_mov_b32_e32 v16, s33
	ds_cmpst_rtn_b32 v15, v15, v16, v14
	s_andn2_b64 s[30:31], s[30:31], exec
	s_waitcnt lgkmcnt(0)
	v_cmp_ne_u32_e32 vcc, s33, v15
	s_and_b64 s[38:39], vcc, exec
	s_or_b64 s[30:31], s[30:31], s[38:39]
.LBB48_28:                              ;   in Loop: Header=BB48_24 Depth=3
	s_or_b64 exec, exec, s[36:37]
	s_mov_b64 s[36:37], -1
                                        ; implicit-def: $vgpr15
                                        ; implicit-def: $vgpr16
	s_and_saveexec_b64 s[38:39], s[30:31]
	s_cbranch_execz .LBB48_23
; %bb.29:                               ;   in Loop: Header=BB48_24 Depth=3
	v_lshl_add_u32 v15, v5, 2, 0
	ds_read_b32 v16, v15
	s_waitcnt lgkmcnt(0)
	v_cmp_eq_u32_e32 vcc, v16, v14
	s_orn2_b64 s[36:37], vcc, exec
	s_branch .LBB48_23
.LBB48_30:
	s_or_b64 exec, exec, s[0:1]
.LBB48_31:
	s_andn2_b64 vcc, exec, s[34:35]
	s_cbranch_vccnz .LBB48_46
; %bb.32:
	s_waitcnt lgkmcnt(0)
	s_ashr_i32 s73, s72, 31
	s_lshl_b64 s[0:1], s[72:73], 2
	s_add_u32 s0, s14, s0
	s_addc_u32 s1, s15, s1
	s_load_dwordx2 s[2:3], s[0:1], 0x0
	v_subrev_u32_e32 v2, s67, v0
	s_waitcnt lgkmcnt(0)
	s_sub_i32 s14, s3, s67
	v_add_u32_e32 v2, s2, v2
	v_cmp_gt_i32_e32 vcc, s14, v2
	s_and_saveexec_b64 s[0:1], vcc
	s_cbranch_execz .LBB48_45
; %bb.33:
	s_mov_b64 s[2:3], 0
	s_movk_i32 s15, 0x89
	s_branch .LBB48_36
.LBB48_34:                              ;   in Loop: Header=BB48_36 Depth=1
	s_or_b64 exec, exec, s[6:7]
.LBB48_35:                              ;   in Loop: Header=BB48_36 Depth=1
	s_or_b64 exec, exec, s[4:5]
	s_waitcnt vmcnt(0)
	v_mul_f32_e64 v6, v5, -s41
	v_fmac_f32_e32 v6, s40, v4
	v_mul_f32_e32 v5, s40, v5
	v_lshl_add_u32 v3, v3, 3, 0
	v_fmac_f32_e32 v5, s41, v4
	ds_add_f32 v3, v6 offset:8192
	ds_add_f32 v3, v5 offset:8196
	v_add_u32_e32 v2, 0x400, v2
	v_cmp_le_i32_e32 vcc, s14, v2
	s_or_b64 s[2:3], vcc, s[2:3]
	s_andn2_b64 exec, exec, s[2:3]
	s_cbranch_execz .LBB48_45
.LBB48_36:                              ; =>This Loop Header: Depth=1
                                        ;     Child Loop BB48_39 Depth 2
	v_ashrrev_i32_e32 v3, 31, v2
	v_lshl_add_u64 v[4:5], v[2:3], 2, s[24:25]
	global_load_dword v6, v[4:5], off
	v_lshl_add_u64 v[4:5], v[2:3], 3, s[26:27]
	global_load_dwordx2 v[4:5], v[4:5], off
	s_waitcnt vmcnt(1)
	v_subrev_u32_e32 v6, s67, v6
	v_mul_lo_u32 v3, v6, s15
	v_and_b32_e32 v3, 0x7ff, v3
	v_lshl_add_u32 v7, v3, 2, 0
	ds_read_b32 v11, v7
	s_waitcnt lgkmcnt(0)
	v_cmp_ne_u32_e32 vcc, v11, v6
	s_and_saveexec_b64 s[4:5], vcc
	s_cbranch_execz .LBB48_35
; %bb.37:                               ;   in Loop: Header=BB48_36 Depth=1
	s_mov_b64 s[6:7], 0
	s_branch .LBB48_39
.LBB48_38:                              ;   in Loop: Header=BB48_39 Depth=2
	s_or_b64 exec, exec, s[12:13]
	s_and_b64 s[8:9], exec, s[10:11]
	s_or_b64 s[6:7], s[8:9], s[6:7]
	s_andn2_b64 exec, exec, s[6:7]
	s_cbranch_execz .LBB48_34
.LBB48_39:                              ;   Parent Loop BB48_36 Depth=1
                                        ; =>  This Inner Loop Header: Depth=2
	v_cmp_ne_u32_e32 vcc, s33, v11
	s_mov_b64 s[8:9], 0
	s_and_saveexec_b64 s[10:11], vcc
	s_xor_b64 s[10:11], exec, s[10:11]
	s_cbranch_execz .LBB48_41
; %bb.40:                               ;   in Loop: Header=BB48_39 Depth=2
	v_add_u32_e32 v3, 1, v3
	s_mov_b64 s[8:9], exec
	v_and_b32_e32 v3, 0x7ff, v3
                                        ; implicit-def: $vgpr7
	s_andn2_saveexec_b64 s[10:11], s[10:11]
	s_cbranch_execz .LBB48_43
	s_branch .LBB48_42
.LBB48_41:                              ;   in Loop: Header=BB48_39 Depth=2
	s_andn2_saveexec_b64 s[10:11], s[10:11]
	s_cbranch_execz .LBB48_43
.LBB48_42:                              ;   in Loop: Header=BB48_39 Depth=2
	v_mov_b32_e32 v11, s33
	ds_cmpst_rtn_b32 v7, v7, v11, v6
	s_andn2_b64 s[8:9], s[8:9], exec
	s_waitcnt lgkmcnt(0)
	v_cmp_ne_u32_e32 vcc, s33, v7
	s_and_b64 s[12:13], vcc, exec
	s_or_b64 s[8:9], s[8:9], s[12:13]
.LBB48_43:                              ;   in Loop: Header=BB48_39 Depth=2
	s_or_b64 exec, exec, s[10:11]
	s_mov_b64 s[10:11], -1
                                        ; implicit-def: $vgpr7
                                        ; implicit-def: $vgpr11
	s_and_saveexec_b64 s[12:13], s[8:9]
	s_cbranch_execz .LBB48_38
; %bb.44:                               ;   in Loop: Header=BB48_39 Depth=2
	v_lshl_add_u32 v7, v3, 2, 0
	ds_read_b32 v11, v7
	s_waitcnt lgkmcnt(0)
	v_cmp_eq_u32_e32 vcc, v11, v6
	s_orn2_b64 s[10:11], vcc, exec
	s_branch .LBB48_38
.LBB48_45:
	s_or_b64 exec, exec, s[0:1]
.LBB48_46:
	v_mbcnt_lo_u32_b32 v2, -1, 0
	v_mbcnt_hi_u32_b32 v2, -1, v2
	v_sub_u32_e32 v2, 63, v2
	s_movk_i32 s0, 0x3ff
	s_movk_i32 s6, 0x5f
	;; [unrolled: 1-line block ×30, first 2 shown]
	v_mov_b32_e32 v6, 0
	v_lshrrev_b64 v[2:3], v2, -1
	v_lshl_add_u32 v7, v10, 2, 0
	v_cmp_eq_u32_e64 s[0:1], s0, v0
	v_cmp_lt_u32_e64 s[2:3], 31, v0
	v_cmp_lt_u32_e64 s[4:5], 63, v0
	v_cmp_lt_u32_e64 s[6:7], s6, v0
	v_cmp_lt_u32_e64 s[8:9], s8, v0
	v_cmp_lt_u32_e64 s[10:11], s10, v0
	v_cmp_lt_u32_e64 s[12:13], s12, v0
	v_cmp_lt_u32_e64 s[14:15], s14, v0
	v_cmp_lt_u32_e64 s[16:17], s16, v0
	v_cmp_lt_u32_e64 s[18:19], s18, v0
	v_cmp_lt_u32_e64 s[20:21], s20, v0
	v_cmp_lt_u32_e64 s[22:23], s22, v0
	v_cmp_lt_u32_e64 s[24:25], s24, v0
	v_cmp_lt_u32_e64 s[26:27], s26, v0
	v_cmp_lt_u32_e64 s[28:29], s28, v0
	v_cmp_lt_u32_e64 s[30:31], s30, v0
	v_cmp_lt_u32_e64 s[34:35], s34, v0
	v_cmp_lt_u32_e64 s[36:37], s36, v0
	v_cmp_lt_u32_e64 s[38:39], s38, v0
	v_cmp_lt_u32_e64 s[40:41], s40, v0
	v_cmp_lt_u32_e64 s[42:43], s42, v0
	v_cmp_lt_u32_e64 s[44:45], s44, v0
	v_cmp_lt_u32_e64 s[46:47], s46, v0
	v_cmp_lt_u32_e64 s[48:49], s48, v0
	v_cmp_lt_u32_e64 s[50:51], s50, v0
	v_cmp_lt_u32_e64 s[52:53], s52, v0
	v_cmp_lt_u32_e64 s[54:55], s54, v0
	v_cmp_lt_u32_e64 s[56:57], s56, v0
	v_cmp_lt_u32_e64 s[58:59], s58, v0
	v_cmp_lt_u32_e64 s[60:61], s60, v0
	v_cmp_lt_u32_e64 s[62:63], s62, v0
	v_cmp_lt_u32_e64 s[64:65], s64, v0
	s_mov_b64 s[74:75], 0
	v_mov_b32_e32 v10, 0
	s_waitcnt lgkmcnt(0)
	s_barrier
	s_branch .LBB48_48
.LBB48_47:                              ;   in Loop: Header=BB48_48 Depth=1
	s_or_b64 exec, exec, s[76:77]
	s_waitcnt lgkmcnt(0)
	s_barrier
	ds_read_b32 v4, v6 offset:24700
	v_add_co_u32_e32 v8, vcc, 0x400, v8
	s_xor_b64 s[76:77], vcc, -1
	s_and_b64 s[76:77], exec, s[76:77]
	v_add_u32_e32 v1, 0x2000, v1
	s_waitcnt lgkmcnt(0)
	v_add_u32_e32 v10, v4, v10
	s_or_b64 s[74:75], s[76:77], s[74:75]
	v_add_u32_e32 v9, 0x1000, v9
	s_andn2_b64 exec, exec, s[74:75]
	s_cbranch_execz .LBB48_114
.LBB48_48:                              ; =>This Inner Loop Header: Depth=1
	ds_read_b32 v11, v9
	ds_read2_b32 v[4:5], v1 offset1:1
	s_waitcnt lgkmcnt(0)
	s_barrier
	v_cmp_gt_i32_e32 vcc, s33, v11
	s_bcnt1_i32_b64 s67, vcc
	s_nop 0
	v_and_b32_e32 v13, vcc_lo, v2
	v_and_b32_e32 v12, vcc_hi, v3
	v_bcnt_u32_b32 v13, v13, 0
	v_bcnt_u32_b32 v12, v12, v13
	v_mov_b32_e32 v13, s67
	ds_write_b32 v7, v13 offset:24576
	s_waitcnt lgkmcnt(0)
	s_barrier
	s_and_saveexec_b64 s[76:77], s[2:3]
	s_cbranch_execz .LBB48_81
; %bb.49:                               ;   in Loop: Header=BB48_48 Depth=1
	ds_read_b32 v13, v6 offset:24576
	s_waitcnt lgkmcnt(0)
	v_add_u32_e32 v12, v13, v12
	s_or_b64 exec, exec, s[76:77]
	s_and_saveexec_b64 s[76:77], s[4:5]
	s_cbranch_execnz .LBB48_82
.LBB48_50:                              ;   in Loop: Header=BB48_48 Depth=1
	s_or_b64 exec, exec, s[76:77]
	s_and_saveexec_b64 s[76:77], s[6:7]
	s_cbranch_execz .LBB48_83
.LBB48_51:                              ;   in Loop: Header=BB48_48 Depth=1
	ds_read_b32 v13, v6 offset:24584
	s_waitcnt lgkmcnt(0)
	v_add_u32_e32 v12, v13, v12
	s_or_b64 exec, exec, s[76:77]
	s_and_saveexec_b64 s[76:77], s[8:9]
	s_cbranch_execnz .LBB48_84
.LBB48_52:                              ;   in Loop: Header=BB48_48 Depth=1
	s_or_b64 exec, exec, s[76:77]
	s_and_saveexec_b64 s[76:77], s[10:11]
	s_cbranch_execz .LBB48_85
.LBB48_53:                              ;   in Loop: Header=BB48_48 Depth=1
	ds_read_b32 v13, v6 offset:24592
	s_waitcnt lgkmcnt(0)
	v_add_u32_e32 v12, v13, v12
	s_or_b64 exec, exec, s[76:77]
	s_and_saveexec_b64 s[76:77], s[12:13]
	s_cbranch_execnz .LBB48_86
.LBB48_54:                              ;   in Loop: Header=BB48_48 Depth=1
	s_or_b64 exec, exec, s[76:77]
	s_and_saveexec_b64 s[76:77], s[14:15]
	s_cbranch_execz .LBB48_87
.LBB48_55:                              ;   in Loop: Header=BB48_48 Depth=1
	ds_read_b32 v13, v6 offset:24600
	s_waitcnt lgkmcnt(0)
	v_add_u32_e32 v12, v13, v12
	s_or_b64 exec, exec, s[76:77]
	s_and_saveexec_b64 s[76:77], s[16:17]
	s_cbranch_execnz .LBB48_88
.LBB48_56:                              ;   in Loop: Header=BB48_48 Depth=1
	s_or_b64 exec, exec, s[76:77]
	s_and_saveexec_b64 s[76:77], s[18:19]
	s_cbranch_execz .LBB48_89
.LBB48_57:                              ;   in Loop: Header=BB48_48 Depth=1
	ds_read_b32 v13, v6 offset:24608
	s_waitcnt lgkmcnt(0)
	v_add_u32_e32 v12, v13, v12
	s_or_b64 exec, exec, s[76:77]
	s_and_saveexec_b64 s[76:77], s[20:21]
	s_cbranch_execnz .LBB48_90
.LBB48_58:                              ;   in Loop: Header=BB48_48 Depth=1
	s_or_b64 exec, exec, s[76:77]
	s_and_saveexec_b64 s[76:77], s[22:23]
	s_cbranch_execz .LBB48_91
.LBB48_59:                              ;   in Loop: Header=BB48_48 Depth=1
	ds_read_b32 v13, v6 offset:24616
	s_waitcnt lgkmcnt(0)
	v_add_u32_e32 v12, v13, v12
	s_or_b64 exec, exec, s[76:77]
	s_and_saveexec_b64 s[76:77], s[24:25]
	s_cbranch_execnz .LBB48_92
.LBB48_60:                              ;   in Loop: Header=BB48_48 Depth=1
	s_or_b64 exec, exec, s[76:77]
	s_and_saveexec_b64 s[76:77], s[26:27]
	s_cbranch_execz .LBB48_93
.LBB48_61:                              ;   in Loop: Header=BB48_48 Depth=1
	ds_read_b32 v13, v6 offset:24624
	s_waitcnt lgkmcnt(0)
	v_add_u32_e32 v12, v13, v12
	s_or_b64 exec, exec, s[76:77]
	s_and_saveexec_b64 s[76:77], s[28:29]
	s_cbranch_execnz .LBB48_94
.LBB48_62:                              ;   in Loop: Header=BB48_48 Depth=1
	s_or_b64 exec, exec, s[76:77]
	s_and_saveexec_b64 s[76:77], s[30:31]
	s_cbranch_execz .LBB48_95
.LBB48_63:                              ;   in Loop: Header=BB48_48 Depth=1
	ds_read_b32 v13, v6 offset:24632
	s_waitcnt lgkmcnt(0)
	v_add_u32_e32 v12, v13, v12
	s_or_b64 exec, exec, s[76:77]
	s_and_saveexec_b64 s[76:77], s[34:35]
	s_cbranch_execnz .LBB48_96
.LBB48_64:                              ;   in Loop: Header=BB48_48 Depth=1
	s_or_b64 exec, exec, s[76:77]
	s_and_saveexec_b64 s[76:77], s[36:37]
	s_cbranch_execz .LBB48_97
.LBB48_65:                              ;   in Loop: Header=BB48_48 Depth=1
	ds_read_b32 v13, v6 offset:24640
	s_waitcnt lgkmcnt(0)
	v_add_u32_e32 v12, v13, v12
	s_or_b64 exec, exec, s[76:77]
	s_and_saveexec_b64 s[76:77], s[38:39]
	s_cbranch_execnz .LBB48_98
.LBB48_66:                              ;   in Loop: Header=BB48_48 Depth=1
	s_or_b64 exec, exec, s[76:77]
	s_and_saveexec_b64 s[76:77], s[40:41]
	s_cbranch_execz .LBB48_99
.LBB48_67:                              ;   in Loop: Header=BB48_48 Depth=1
	ds_read_b32 v13, v6 offset:24648
	s_waitcnt lgkmcnt(0)
	v_add_u32_e32 v12, v13, v12
	s_or_b64 exec, exec, s[76:77]
	s_and_saveexec_b64 s[76:77], s[42:43]
	s_cbranch_execnz .LBB48_100
.LBB48_68:                              ;   in Loop: Header=BB48_48 Depth=1
	s_or_b64 exec, exec, s[76:77]
	s_and_saveexec_b64 s[76:77], s[44:45]
	s_cbranch_execz .LBB48_101
.LBB48_69:                              ;   in Loop: Header=BB48_48 Depth=1
	ds_read_b32 v13, v6 offset:24656
	s_waitcnt lgkmcnt(0)
	v_add_u32_e32 v12, v13, v12
	s_or_b64 exec, exec, s[76:77]
	s_and_saveexec_b64 s[76:77], s[46:47]
	s_cbranch_execnz .LBB48_102
.LBB48_70:                              ;   in Loop: Header=BB48_48 Depth=1
	s_or_b64 exec, exec, s[76:77]
	s_and_saveexec_b64 s[76:77], s[48:49]
	s_cbranch_execz .LBB48_103
.LBB48_71:                              ;   in Loop: Header=BB48_48 Depth=1
	ds_read_b32 v13, v6 offset:24664
	s_waitcnt lgkmcnt(0)
	v_add_u32_e32 v12, v13, v12
	s_or_b64 exec, exec, s[76:77]
	s_and_saveexec_b64 s[76:77], s[50:51]
	s_cbranch_execnz .LBB48_104
.LBB48_72:                              ;   in Loop: Header=BB48_48 Depth=1
	s_or_b64 exec, exec, s[76:77]
	s_and_saveexec_b64 s[76:77], s[52:53]
	s_cbranch_execz .LBB48_105
.LBB48_73:                              ;   in Loop: Header=BB48_48 Depth=1
	ds_read_b32 v13, v6 offset:24672
	s_waitcnt lgkmcnt(0)
	v_add_u32_e32 v12, v13, v12
	s_or_b64 exec, exec, s[76:77]
	s_and_saveexec_b64 s[76:77], s[54:55]
	s_cbranch_execnz .LBB48_106
.LBB48_74:                              ;   in Loop: Header=BB48_48 Depth=1
	s_or_b64 exec, exec, s[76:77]
	s_and_saveexec_b64 s[76:77], s[56:57]
	s_cbranch_execz .LBB48_107
.LBB48_75:                              ;   in Loop: Header=BB48_48 Depth=1
	ds_read_b32 v13, v6 offset:24680
	s_waitcnt lgkmcnt(0)
	v_add_u32_e32 v12, v13, v12
	s_or_b64 exec, exec, s[76:77]
	s_and_saveexec_b64 s[76:77], s[58:59]
	s_cbranch_execnz .LBB48_108
.LBB48_76:                              ;   in Loop: Header=BB48_48 Depth=1
	s_or_b64 exec, exec, s[76:77]
	s_and_saveexec_b64 s[76:77], s[60:61]
	s_cbranch_execz .LBB48_109
.LBB48_77:                              ;   in Loop: Header=BB48_48 Depth=1
	ds_read_b32 v13, v6 offset:24688
	s_waitcnt lgkmcnt(0)
	v_add_u32_e32 v12, v13, v12
	s_or_b64 exec, exec, s[76:77]
	s_and_saveexec_b64 s[76:77], s[62:63]
	s_cbranch_execnz .LBB48_110
.LBB48_78:                              ;   in Loop: Header=BB48_48 Depth=1
	s_or_b64 exec, exec, s[76:77]
	s_and_saveexec_b64 s[76:77], s[64:65]
	s_cbranch_execz .LBB48_111
.LBB48_79:                              ;   in Loop: Header=BB48_48 Depth=1
	ds_read_b32 v13, v6 offset:24696
	s_waitcnt lgkmcnt(0)
	v_add_u32_e32 v12, v13, v12
	s_or_b64 exec, exec, s[76:77]
	s_and_saveexec_b64 s[76:77], vcc
	s_cbranch_execnz .LBB48_112
.LBB48_80:                              ;   in Loop: Header=BB48_48 Depth=1
	s_or_b64 exec, exec, s[76:77]
	s_and_saveexec_b64 s[76:77], s[0:1]
	s_cbranch_execz .LBB48_47
	s_branch .LBB48_113
.LBB48_81:                              ;   in Loop: Header=BB48_48 Depth=1
	s_or_b64 exec, exec, s[76:77]
	s_and_saveexec_b64 s[76:77], s[4:5]
	s_cbranch_execz .LBB48_50
.LBB48_82:                              ;   in Loop: Header=BB48_48 Depth=1
	ds_read_b32 v13, v6 offset:24580
	s_waitcnt lgkmcnt(0)
	v_add_u32_e32 v12, v13, v12
	s_or_b64 exec, exec, s[76:77]
	s_and_saveexec_b64 s[76:77], s[6:7]
	s_cbranch_execnz .LBB48_51
.LBB48_83:                              ;   in Loop: Header=BB48_48 Depth=1
	s_or_b64 exec, exec, s[76:77]
	s_and_saveexec_b64 s[76:77], s[8:9]
	s_cbranch_execz .LBB48_52
.LBB48_84:                              ;   in Loop: Header=BB48_48 Depth=1
	ds_read_b32 v13, v6 offset:24588
	s_waitcnt lgkmcnt(0)
	v_add_u32_e32 v12, v13, v12
	s_or_b64 exec, exec, s[76:77]
	s_and_saveexec_b64 s[76:77], s[10:11]
	s_cbranch_execnz .LBB48_53
.LBB48_85:                              ;   in Loop: Header=BB48_48 Depth=1
	s_or_b64 exec, exec, s[76:77]
	s_and_saveexec_b64 s[76:77], s[12:13]
	s_cbranch_execz .LBB48_54
.LBB48_86:                              ;   in Loop: Header=BB48_48 Depth=1
	ds_read_b32 v13, v6 offset:24596
	s_waitcnt lgkmcnt(0)
	v_add_u32_e32 v12, v13, v12
	s_or_b64 exec, exec, s[76:77]
	s_and_saveexec_b64 s[76:77], s[14:15]
	s_cbranch_execnz .LBB48_55
.LBB48_87:                              ;   in Loop: Header=BB48_48 Depth=1
	s_or_b64 exec, exec, s[76:77]
	s_and_saveexec_b64 s[76:77], s[16:17]
	s_cbranch_execz .LBB48_56
.LBB48_88:                              ;   in Loop: Header=BB48_48 Depth=1
	ds_read_b32 v13, v6 offset:24604
	s_waitcnt lgkmcnt(0)
	v_add_u32_e32 v12, v13, v12
	s_or_b64 exec, exec, s[76:77]
	s_and_saveexec_b64 s[76:77], s[18:19]
	s_cbranch_execnz .LBB48_57
.LBB48_89:                              ;   in Loop: Header=BB48_48 Depth=1
	s_or_b64 exec, exec, s[76:77]
	s_and_saveexec_b64 s[76:77], s[20:21]
	s_cbranch_execz .LBB48_58
.LBB48_90:                              ;   in Loop: Header=BB48_48 Depth=1
	ds_read_b32 v13, v6 offset:24612
	s_waitcnt lgkmcnt(0)
	v_add_u32_e32 v12, v13, v12
	s_or_b64 exec, exec, s[76:77]
	s_and_saveexec_b64 s[76:77], s[22:23]
	s_cbranch_execnz .LBB48_59
.LBB48_91:                              ;   in Loop: Header=BB48_48 Depth=1
	s_or_b64 exec, exec, s[76:77]
	s_and_saveexec_b64 s[76:77], s[24:25]
	s_cbranch_execz .LBB48_60
.LBB48_92:                              ;   in Loop: Header=BB48_48 Depth=1
	ds_read_b32 v13, v6 offset:24620
	s_waitcnt lgkmcnt(0)
	v_add_u32_e32 v12, v13, v12
	s_or_b64 exec, exec, s[76:77]
	s_and_saveexec_b64 s[76:77], s[26:27]
	s_cbranch_execnz .LBB48_61
.LBB48_93:                              ;   in Loop: Header=BB48_48 Depth=1
	s_or_b64 exec, exec, s[76:77]
	s_and_saveexec_b64 s[76:77], s[28:29]
	s_cbranch_execz .LBB48_62
.LBB48_94:                              ;   in Loop: Header=BB48_48 Depth=1
	ds_read_b32 v13, v6 offset:24628
	s_waitcnt lgkmcnt(0)
	v_add_u32_e32 v12, v13, v12
	s_or_b64 exec, exec, s[76:77]
	s_and_saveexec_b64 s[76:77], s[30:31]
	s_cbranch_execnz .LBB48_63
.LBB48_95:                              ;   in Loop: Header=BB48_48 Depth=1
	s_or_b64 exec, exec, s[76:77]
	s_and_saveexec_b64 s[76:77], s[34:35]
	s_cbranch_execz .LBB48_64
.LBB48_96:                              ;   in Loop: Header=BB48_48 Depth=1
	ds_read_b32 v13, v6 offset:24636
	s_waitcnt lgkmcnt(0)
	v_add_u32_e32 v12, v13, v12
	s_or_b64 exec, exec, s[76:77]
	s_and_saveexec_b64 s[76:77], s[36:37]
	s_cbranch_execnz .LBB48_65
.LBB48_97:                              ;   in Loop: Header=BB48_48 Depth=1
	s_or_b64 exec, exec, s[76:77]
	s_and_saveexec_b64 s[76:77], s[38:39]
	s_cbranch_execz .LBB48_66
.LBB48_98:                              ;   in Loop: Header=BB48_48 Depth=1
	ds_read_b32 v13, v6 offset:24644
	s_waitcnt lgkmcnt(0)
	v_add_u32_e32 v12, v13, v12
	s_or_b64 exec, exec, s[76:77]
	s_and_saveexec_b64 s[76:77], s[40:41]
	s_cbranch_execnz .LBB48_67
.LBB48_99:                              ;   in Loop: Header=BB48_48 Depth=1
	s_or_b64 exec, exec, s[76:77]
	s_and_saveexec_b64 s[76:77], s[42:43]
	s_cbranch_execz .LBB48_68
.LBB48_100:                             ;   in Loop: Header=BB48_48 Depth=1
	ds_read_b32 v13, v6 offset:24652
	s_waitcnt lgkmcnt(0)
	v_add_u32_e32 v12, v13, v12
	s_or_b64 exec, exec, s[76:77]
	s_and_saveexec_b64 s[76:77], s[44:45]
	s_cbranch_execnz .LBB48_69
.LBB48_101:                             ;   in Loop: Header=BB48_48 Depth=1
	s_or_b64 exec, exec, s[76:77]
	s_and_saveexec_b64 s[76:77], s[46:47]
	s_cbranch_execz .LBB48_70
.LBB48_102:                             ;   in Loop: Header=BB48_48 Depth=1
	ds_read_b32 v13, v6 offset:24660
	s_waitcnt lgkmcnt(0)
	v_add_u32_e32 v12, v13, v12
	s_or_b64 exec, exec, s[76:77]
	s_and_saveexec_b64 s[76:77], s[48:49]
	s_cbranch_execnz .LBB48_71
.LBB48_103:                             ;   in Loop: Header=BB48_48 Depth=1
	s_or_b64 exec, exec, s[76:77]
	s_and_saveexec_b64 s[76:77], s[50:51]
	s_cbranch_execz .LBB48_72
.LBB48_104:                             ;   in Loop: Header=BB48_48 Depth=1
	ds_read_b32 v13, v6 offset:24668
	s_waitcnt lgkmcnt(0)
	v_add_u32_e32 v12, v13, v12
	s_or_b64 exec, exec, s[76:77]
	s_and_saveexec_b64 s[76:77], s[52:53]
	s_cbranch_execnz .LBB48_73
.LBB48_105:                             ;   in Loop: Header=BB48_48 Depth=1
	s_or_b64 exec, exec, s[76:77]
	s_and_saveexec_b64 s[76:77], s[54:55]
	s_cbranch_execz .LBB48_74
.LBB48_106:                             ;   in Loop: Header=BB48_48 Depth=1
	ds_read_b32 v13, v6 offset:24676
	s_waitcnt lgkmcnt(0)
	v_add_u32_e32 v12, v13, v12
	s_or_b64 exec, exec, s[76:77]
	s_and_saveexec_b64 s[76:77], s[56:57]
	s_cbranch_execnz .LBB48_75
.LBB48_107:                             ;   in Loop: Header=BB48_48 Depth=1
	s_or_b64 exec, exec, s[76:77]
	s_and_saveexec_b64 s[76:77], s[58:59]
	s_cbranch_execz .LBB48_76
.LBB48_108:                             ;   in Loop: Header=BB48_48 Depth=1
	ds_read_b32 v13, v6 offset:24684
	s_waitcnt lgkmcnt(0)
	v_add_u32_e32 v12, v13, v12
	s_or_b64 exec, exec, s[76:77]
	s_and_saveexec_b64 s[76:77], s[60:61]
	s_cbranch_execnz .LBB48_77
.LBB48_109:                             ;   in Loop: Header=BB48_48 Depth=1
	s_or_b64 exec, exec, s[76:77]
	s_and_saveexec_b64 s[76:77], s[62:63]
	s_cbranch_execz .LBB48_78
.LBB48_110:                             ;   in Loop: Header=BB48_48 Depth=1
	ds_read_b32 v13, v6 offset:24692
	s_waitcnt lgkmcnt(0)
	v_add_u32_e32 v12, v13, v12
	s_or_b64 exec, exec, s[76:77]
	s_and_saveexec_b64 s[76:77], s[64:65]
	s_cbranch_execnz .LBB48_79
.LBB48_111:                             ;   in Loop: Header=BB48_48 Depth=1
	s_or_b64 exec, exec, s[76:77]
	s_and_saveexec_b64 s[76:77], vcc
	s_cbranch_execz .LBB48_80
.LBB48_112:                             ;   in Loop: Header=BB48_48 Depth=1
	v_add3_u32 v13, v10, -1, v12
	v_add_u32_e32 v14, v10, v12
	v_lshl_add_u32 v13, v13, 2, 0
	v_lshl_add_u32 v14, v14, 3, 0
	v_add_u32_e32 v14, 0x1ff8, v14
	ds_write_b32 v13, v11
	ds_write2_b32 v14, v4, v5 offset1:1
	s_or_b64 exec, exec, s[76:77]
	s_and_saveexec_b64 s[76:77], s[0:1]
	s_cbranch_execz .LBB48_47
.LBB48_113:                             ;   in Loop: Header=BB48_48 Depth=1
	ds_write_b32 v6, v12 offset:24700
	s_branch .LBB48_47
.LBB48_114:
	s_or_b64 exec, exec, s[74:75]
	s_ashr_i32 s73, s72, 31
	s_lshl_b64 s[0:1], s[72:73], 2
	s_add_u32 s2, s70, s0
	s_addc_u32 s3, s71, s1
	s_load_dwordx2 s[0:1], s[2:3], 0x0
	s_waitcnt lgkmcnt(0)
	s_sub_i32 s14, s1, s0
	v_cmp_gt_i32_e32 vcc, s14, v0
	s_and_saveexec_b64 s[2:3], vcc
	s_cbranch_execz .LBB48_128
; %bb.115:
	s_sub_i32 s8, s0, s66
	v_sub_co_u32_e64 v1, s[0:1], s14, 2
	s_nop 0
	v_readfirstlane_b32 s2, v1
	s_lshr_b32 s2, s2, 1
	s_add_i32 s2, s2, 1
	s_xor_b64 s[0:1], s[0:1], -1
	s_and_b32 s15, s14, -2
	s_and_b32 s3, s2, 7
	s_and_b32 s16, s2, -8
	s_cmp_lg_u32 s3, 0
	v_cmp_lt_u32_e32 vcc, 13, v1
	s_cselect_b64 s[4:5], -1, 0
	s_cmp_lg_u32 s14, s15
	v_cndmask_b32_e64 v1, 0, 1, vcc
	s_cselect_b64 s[10:11], -1, 0
	s_lshl_b32 s17, s3, 3
	v_cndmask_b32_e64 v2, 0, 1, s[0:1]
	v_cmp_ne_u32_e64 s[2:3], 1, v1
	v_cndmask_b32_e64 v1, 0, 1, s[4:5]
	s_mov_b32 s9, 0
	s_mov_b64 s[12:13], 0
	s_movk_i32 s18, 0x2000
	v_cmp_ne_u32_e64 s[0:1], 1, v2
	v_cmp_ne_u32_e64 s[4:5], 1, v1
	s_branch .LBB48_117
.LBB48_116:                             ;   in Loop: Header=BB48_117 Depth=1
	v_add_u32_e32 v0, 0x400, v0
	v_ashrrev_i32_e32 v5, 31, v4
	v_cmp_le_i32_e32 vcc, s14, v0
	v_lshl_add_u64 v[4:5], v[4:5], 3, s[68:69]
	s_or_b64 s[12:13], vcc, s[12:13]
	s_waitcnt lgkmcnt(0)
	global_store_dwordx2 v[4:5], v[2:3], off
	s_andn2_b64 exec, exec, s[12:13]
	s_cbranch_execz .LBB48_128
.LBB48_117:                             ; =>This Loop Header: Depth=1
                                        ;     Child Loop BB48_120 Depth 2
                                        ;     Child Loop BB48_123 Depth 2
	;; [unrolled: 1-line block ×3, first 2 shown]
	v_lshlrev_b32_e32 v1, 2, v0
	v_add_u32_e32 v2, 0, v1
	v_add3_u32 v3, v2, v1, s18
	ds_read_b32 v1, v2
	ds_read2_b32 v[2:3], v3 offset1:1
	s_and_b64 vcc, exec, s[0:1]
	v_mov_b32_e32 v4, s8
	s_mov_b32 s19, 0
	s_mov_b64 s[6:7], -1
	s_cbranch_vccnz .LBB48_125
; %bb.118:                              ;   in Loop: Header=BB48_117 Depth=1
	s_and_b64 vcc, exec, s[2:3]
	v_mov_b64_e32 v[4:5], s[8:9]
	s_cbranch_vccnz .LBB48_121
; %bb.119:                              ;   in Loop: Header=BB48_117 Depth=1
	s_mov_b32 s20, 0
	v_mov_b32_e32 v4, s8
	v_mov_b32_e32 v5, 0
	s_mov_b32 s21, s16
.LBB48_120:                             ;   Parent Loop BB48_117 Depth=1
                                        ; =>  This Inner Loop Header: Depth=2
	v_mov_b32_e32 v20, s20
	ds_read2_b32 v[6:7], v20 offset1:1
	ds_read2_b32 v[8:9], v20 offset0:2 offset1:3
	ds_read2_b32 v[10:11], v20 offset0:4 offset1:5
	;; [unrolled: 1-line block ×7, first 2 shown]
	s_waitcnt lgkmcnt(7)
	v_cmp_gt_i32_e32 vcc, v1, v7
	s_waitcnt lgkmcnt(5)
	v_cmp_gt_i32_e64 s[6:7], v1, v10
	s_add_i32 s19, s19, 16
	v_cndmask_b32_e64 v7, 0, 1, vcc
	v_cmp_gt_i32_e32 vcc, v1, v6
	s_add_i32 s20, s20, 64
	s_add_i32 s21, s21, -8
	v_cndmask_b32_e64 v6, 0, 1, vcc
	v_cmp_gt_i32_e32 vcc, v1, v9
	v_cndmask_b32_e64 v9, 0, 1, s[6:7]
	v_cmp_gt_i32_e64 s[6:7], v1, v11
	v_addc_co_u32_e32 v5, vcc, v5, v7, vcc
	s_nop 0
	v_cndmask_b32_e64 v10, 0, 1, s[6:7]
	s_waitcnt lgkmcnt(3)
	v_cmp_gt_i32_e64 s[6:7], v1, v15
	v_cmp_gt_i32_e32 vcc, v1, v12
	s_cmp_lg_u32 s21, 0
	v_cndmask_b32_e64 v11, 0, 1, s[6:7]
	v_cmp_gt_i32_e64 s[6:7], v1, v14
	s_nop 1
	v_cndmask_b32_e64 v14, 0, 1, s[6:7]
	s_waitcnt lgkmcnt(1)
	v_cmp_gt_i32_e64 s[6:7], v1, v18
	s_nop 1
	v_cndmask_b32_e64 v15, 0, 1, s[6:7]
	v_cmp_gt_i32_e64 s[6:7], v1, v19
	s_nop 1
	v_cndmask_b32_e64 v18, 0, 1, s[6:7]
	v_cmp_gt_i32_e64 s[6:7], v1, v8
	s_nop 1
	v_addc_co_u32_e64 v4, s[6:7], v4, v6, s[6:7]
	v_cmp_gt_i32_e64 s[6:7], v1, v13
	v_addc_co_u32_e32 v4, vcc, v4, v9, vcc
	s_nop 0
	v_addc_co_u32_e64 v5, s[6:7], v5, v10, s[6:7]
	v_cmp_gt_i32_e32 vcc, v1, v17
	v_cmp_gt_i32_e64 s[6:7], v1, v16
	s_nop 0
	v_addc_co_u32_e32 v5, vcc, v5, v11, vcc
	v_addc_co_u32_e64 v4, s[6:7], v4, v14, s[6:7]
	s_waitcnt lgkmcnt(0)
	v_cmp_gt_i32_e32 vcc, v1, v20
	v_cmp_gt_i32_e64 s[6:7], v1, v21
	s_nop 0
	v_addc_co_u32_e32 v4, vcc, v4, v15, vcc
	v_addc_co_u32_e64 v5, s[6:7], v5, v18, s[6:7]
	s_cbranch_scc1 .LBB48_120
.LBB48_121:                             ;   in Loop: Header=BB48_117 Depth=1
	s_and_b64 vcc, exec, s[4:5]
	s_cbranch_vccnz .LBB48_124
; %bb.122:                              ;   in Loop: Header=BB48_117 Depth=1
	s_lshl_b32 s6, s19, 2
	s_add_i32 s6, s6, 0
	s_mov_b32 s7, s17
.LBB48_123:                             ;   Parent Loop BB48_117 Depth=1
                                        ; =>  This Inner Loop Header: Depth=2
	v_mov_b32_e32 v6, s6
	ds_read2_b32 v[6:7], v6 offset1:1
	s_add_i32 s6, s6, 8
	s_add_i32 s7, s7, -8
	s_cmp_lg_u32 s7, 0
	s_waitcnt lgkmcnt(0)
	v_cmp_gt_i32_e32 vcc, v1, v7
	s_nop 1
	v_addc_co_u32_e32 v5, vcc, 0, v5, vcc
	v_cmp_gt_i32_e32 vcc, v1, v6
	s_nop 1
	v_addc_co_u32_e32 v4, vcc, 0, v4, vcc
	s_cbranch_scc1 .LBB48_123
.LBB48_124:                             ;   in Loop: Header=BB48_117 Depth=1
	v_add_u32_e32 v4, v4, v5
	s_mov_b32 s19, s15
	s_mov_b64 s[6:7], s[10:11]
.LBB48_125:                             ;   in Loop: Header=BB48_117 Depth=1
	s_and_b64 vcc, exec, s[6:7]
	s_cbranch_vccz .LBB48_116
; %bb.126:                              ;   in Loop: Header=BB48_117 Depth=1
	s_lshl_b32 s6, s19, 2
	s_add_i32 s6, s6, 0
.LBB48_127:                             ;   Parent Loop BB48_117 Depth=1
                                        ; =>  This Inner Loop Header: Depth=2
	v_mov_b32_e32 v5, s6
	ds_read_b32 v5, v5
	s_add_i32 s19, s19, 1
	s_add_i32 s6, s6, 4
	s_cmp_ge_i32 s19, s14
	s_waitcnt lgkmcnt(0)
	v_cmp_gt_i32_e32 vcc, v1, v5
	s_nop 1
	v_addc_co_u32_e32 v4, vcc, 0, v4, vcc
	s_cbranch_scc0 .LBB48_127
	s_branch .LBB48_116
.LBB48_128:
	s_endpgm
	.section	.rodata,"a",@progbits
	.p2align	6, 0x0
	.amdhsa_kernel _ZN9rocsparseL41csrgemm_numeric_fill_block_per_row_kernelILj1024ELj32ELj2048ELj137ELj32Eii21rocsparse_complex_numIfEEEvT5_PKS3_S5_NS_24const_host_device_scalarIT6_EEPKT4_S5_PKS7_SB_S5_SD_S8_SB_S5_SD_SB_S5_PS7_21rocsparse_index_base_SF_SF_SF_bbb
		.amdhsa_group_segment_fixed_size 0
		.amdhsa_private_segment_fixed_size 0
		.amdhsa_kernarg_size 156
		.amdhsa_user_sgpr_count 2
		.amdhsa_user_sgpr_dispatch_ptr 0
		.amdhsa_user_sgpr_queue_ptr 0
		.amdhsa_user_sgpr_kernarg_segment_ptr 1
		.amdhsa_user_sgpr_dispatch_id 0
		.amdhsa_user_sgpr_kernarg_preload_length 0
		.amdhsa_user_sgpr_kernarg_preload_offset 0
		.amdhsa_user_sgpr_private_segment_size 0
		.amdhsa_uses_dynamic_stack 0
		.amdhsa_enable_private_segment 0
		.amdhsa_system_sgpr_workgroup_id_x 1
		.amdhsa_system_sgpr_workgroup_id_y 0
		.amdhsa_system_sgpr_workgroup_id_z 0
		.amdhsa_system_sgpr_workgroup_info 0
		.amdhsa_system_vgpr_workitem_id 0
		.amdhsa_next_free_vgpr 22
		.amdhsa_next_free_sgpr 78
		.amdhsa_accum_offset 24
		.amdhsa_reserve_vcc 1
		.amdhsa_float_round_mode_32 0
		.amdhsa_float_round_mode_16_64 0
		.amdhsa_float_denorm_mode_32 3
		.amdhsa_float_denorm_mode_16_64 3
		.amdhsa_dx10_clamp 1
		.amdhsa_ieee_mode 1
		.amdhsa_fp16_overflow 0
		.amdhsa_tg_split 0
		.amdhsa_exception_fp_ieee_invalid_op 0
		.amdhsa_exception_fp_denorm_src 0
		.amdhsa_exception_fp_ieee_div_zero 0
		.amdhsa_exception_fp_ieee_overflow 0
		.amdhsa_exception_fp_ieee_underflow 0
		.amdhsa_exception_fp_ieee_inexact 0
		.amdhsa_exception_int_div_zero 0
	.end_amdhsa_kernel
	.section	.text._ZN9rocsparseL41csrgemm_numeric_fill_block_per_row_kernelILj1024ELj32ELj2048ELj137ELj32Eii21rocsparse_complex_numIfEEEvT5_PKS3_S5_NS_24const_host_device_scalarIT6_EEPKT4_S5_PKS7_SB_S5_SD_S8_SB_S5_SD_SB_S5_PS7_21rocsparse_index_base_SF_SF_SF_bbb,"axG",@progbits,_ZN9rocsparseL41csrgemm_numeric_fill_block_per_row_kernelILj1024ELj32ELj2048ELj137ELj32Eii21rocsparse_complex_numIfEEEvT5_PKS3_S5_NS_24const_host_device_scalarIT6_EEPKT4_S5_PKS7_SB_S5_SD_S8_SB_S5_SD_SB_S5_PS7_21rocsparse_index_base_SF_SF_SF_bbb,comdat
.Lfunc_end48:
	.size	_ZN9rocsparseL41csrgemm_numeric_fill_block_per_row_kernelILj1024ELj32ELj2048ELj137ELj32Eii21rocsparse_complex_numIfEEEvT5_PKS3_S5_NS_24const_host_device_scalarIT6_EEPKT4_S5_PKS7_SB_S5_SD_S8_SB_S5_SD_SB_S5_PS7_21rocsparse_index_base_SF_SF_SF_bbb, .Lfunc_end48-_ZN9rocsparseL41csrgemm_numeric_fill_block_per_row_kernelILj1024ELj32ELj2048ELj137ELj32Eii21rocsparse_complex_numIfEEEvT5_PKS3_S5_NS_24const_host_device_scalarIT6_EEPKT4_S5_PKS7_SB_S5_SD_S8_SB_S5_SD_SB_S5_PS7_21rocsparse_index_base_SF_SF_SF_bbb
                                        ; -- End function
	.set _ZN9rocsparseL41csrgemm_numeric_fill_block_per_row_kernelILj1024ELj32ELj2048ELj137ELj32Eii21rocsparse_complex_numIfEEEvT5_PKS3_S5_NS_24const_host_device_scalarIT6_EEPKT4_S5_PKS7_SB_S5_SD_S8_SB_S5_SD_SB_S5_PS7_21rocsparse_index_base_SF_SF_SF_bbb.num_vgpr, 22
	.set _ZN9rocsparseL41csrgemm_numeric_fill_block_per_row_kernelILj1024ELj32ELj2048ELj137ELj32Eii21rocsparse_complex_numIfEEEvT5_PKS3_S5_NS_24const_host_device_scalarIT6_EEPKT4_S5_PKS7_SB_S5_SD_S8_SB_S5_SD_SB_S5_PS7_21rocsparse_index_base_SF_SF_SF_bbb.num_agpr, 0
	.set _ZN9rocsparseL41csrgemm_numeric_fill_block_per_row_kernelILj1024ELj32ELj2048ELj137ELj32Eii21rocsparse_complex_numIfEEEvT5_PKS3_S5_NS_24const_host_device_scalarIT6_EEPKT4_S5_PKS7_SB_S5_SD_S8_SB_S5_SD_SB_S5_PS7_21rocsparse_index_base_SF_SF_SF_bbb.numbered_sgpr, 78
	.set _ZN9rocsparseL41csrgemm_numeric_fill_block_per_row_kernelILj1024ELj32ELj2048ELj137ELj32Eii21rocsparse_complex_numIfEEEvT5_PKS3_S5_NS_24const_host_device_scalarIT6_EEPKT4_S5_PKS7_SB_S5_SD_S8_SB_S5_SD_SB_S5_PS7_21rocsparse_index_base_SF_SF_SF_bbb.num_named_barrier, 0
	.set _ZN9rocsparseL41csrgemm_numeric_fill_block_per_row_kernelILj1024ELj32ELj2048ELj137ELj32Eii21rocsparse_complex_numIfEEEvT5_PKS3_S5_NS_24const_host_device_scalarIT6_EEPKT4_S5_PKS7_SB_S5_SD_S8_SB_S5_SD_SB_S5_PS7_21rocsparse_index_base_SF_SF_SF_bbb.private_seg_size, 0
	.set _ZN9rocsparseL41csrgemm_numeric_fill_block_per_row_kernelILj1024ELj32ELj2048ELj137ELj32Eii21rocsparse_complex_numIfEEEvT5_PKS3_S5_NS_24const_host_device_scalarIT6_EEPKT4_S5_PKS7_SB_S5_SD_S8_SB_S5_SD_SB_S5_PS7_21rocsparse_index_base_SF_SF_SF_bbb.uses_vcc, 1
	.set _ZN9rocsparseL41csrgemm_numeric_fill_block_per_row_kernelILj1024ELj32ELj2048ELj137ELj32Eii21rocsparse_complex_numIfEEEvT5_PKS3_S5_NS_24const_host_device_scalarIT6_EEPKT4_S5_PKS7_SB_S5_SD_S8_SB_S5_SD_SB_S5_PS7_21rocsparse_index_base_SF_SF_SF_bbb.uses_flat_scratch, 0
	.set _ZN9rocsparseL41csrgemm_numeric_fill_block_per_row_kernelILj1024ELj32ELj2048ELj137ELj32Eii21rocsparse_complex_numIfEEEvT5_PKS3_S5_NS_24const_host_device_scalarIT6_EEPKT4_S5_PKS7_SB_S5_SD_S8_SB_S5_SD_SB_S5_PS7_21rocsparse_index_base_SF_SF_SF_bbb.has_dyn_sized_stack, 0
	.set _ZN9rocsparseL41csrgemm_numeric_fill_block_per_row_kernelILj1024ELj32ELj2048ELj137ELj32Eii21rocsparse_complex_numIfEEEvT5_PKS3_S5_NS_24const_host_device_scalarIT6_EEPKT4_S5_PKS7_SB_S5_SD_S8_SB_S5_SD_SB_S5_PS7_21rocsparse_index_base_SF_SF_SF_bbb.has_recursion, 0
	.set _ZN9rocsparseL41csrgemm_numeric_fill_block_per_row_kernelILj1024ELj32ELj2048ELj137ELj32Eii21rocsparse_complex_numIfEEEvT5_PKS3_S5_NS_24const_host_device_scalarIT6_EEPKT4_S5_PKS7_SB_S5_SD_S8_SB_S5_SD_SB_S5_PS7_21rocsparse_index_base_SF_SF_SF_bbb.has_indirect_call, 0
	.section	.AMDGPU.csdata,"",@progbits
; Kernel info:
; codeLenInByte = 4156
; TotalNumSgprs: 84
; NumVgprs: 22
; NumAgprs: 0
; TotalNumVgprs: 22
; ScratchSize: 0
; MemoryBound: 0
; FloatMode: 240
; IeeeMode: 1
; LDSByteSize: 0 bytes/workgroup (compile time only)
; SGPRBlocks: 10
; VGPRBlocks: 2
; NumSGPRsForWavesPerEU: 84
; NumVGPRsForWavesPerEU: 22
; AccumOffset: 24
; Occupancy: 8
; WaveLimiterHint : 1
; COMPUTE_PGM_RSRC2:SCRATCH_EN: 0
; COMPUTE_PGM_RSRC2:USER_SGPR: 2
; COMPUTE_PGM_RSRC2:TRAP_HANDLER: 0
; COMPUTE_PGM_RSRC2:TGID_X_EN: 1
; COMPUTE_PGM_RSRC2:TGID_Y_EN: 0
; COMPUTE_PGM_RSRC2:TGID_Z_EN: 0
; COMPUTE_PGM_RSRC2:TIDIG_COMP_CNT: 0
; COMPUTE_PGM_RSRC3_GFX90A:ACCUM_OFFSET: 5
; COMPUTE_PGM_RSRC3_GFX90A:TG_SPLIT: 0
	.section	.text._ZN9rocsparseL41csrgemm_numeric_fill_block_per_row_kernelILj1024ELj32ELj2048ELj137ELj64Eii21rocsparse_complex_numIfEEEvT5_PKS3_S5_NS_24const_host_device_scalarIT6_EEPKT4_S5_PKS7_SB_S5_SD_S8_SB_S5_SD_SB_S5_PS7_21rocsparse_index_base_SF_SF_SF_bbb,"axG",@progbits,_ZN9rocsparseL41csrgemm_numeric_fill_block_per_row_kernelILj1024ELj32ELj2048ELj137ELj64Eii21rocsparse_complex_numIfEEEvT5_PKS3_S5_NS_24const_host_device_scalarIT6_EEPKT4_S5_PKS7_SB_S5_SD_S8_SB_S5_SD_SB_S5_PS7_21rocsparse_index_base_SF_SF_SF_bbb,comdat
	.globl	_ZN9rocsparseL41csrgemm_numeric_fill_block_per_row_kernelILj1024ELj32ELj2048ELj137ELj64Eii21rocsparse_complex_numIfEEEvT5_PKS3_S5_NS_24const_host_device_scalarIT6_EEPKT4_S5_PKS7_SB_S5_SD_S8_SB_S5_SD_SB_S5_PS7_21rocsparse_index_base_SF_SF_SF_bbb ; -- Begin function _ZN9rocsparseL41csrgemm_numeric_fill_block_per_row_kernelILj1024ELj32ELj2048ELj137ELj64Eii21rocsparse_complex_numIfEEEvT5_PKS3_S5_NS_24const_host_device_scalarIT6_EEPKT4_S5_PKS7_SB_S5_SD_S8_SB_S5_SD_SB_S5_PS7_21rocsparse_index_base_SF_SF_SF_bbb
	.p2align	8
	.type	_ZN9rocsparseL41csrgemm_numeric_fill_block_per_row_kernelILj1024ELj32ELj2048ELj137ELj64Eii21rocsparse_complex_numIfEEEvT5_PKS3_S5_NS_24const_host_device_scalarIT6_EEPKT4_S5_PKS7_SB_S5_SD_S8_SB_S5_SD_SB_S5_PS7_21rocsparse_index_base_SF_SF_SF_bbb,@function
_ZN9rocsparseL41csrgemm_numeric_fill_block_per_row_kernelILj1024ELj32ELj2048ELj137ELj64Eii21rocsparse_complex_numIfEEEvT5_PKS3_S5_NS_24const_host_device_scalarIT6_EEPKT4_S5_PKS7_SB_S5_SD_S8_SB_S5_SD_SB_S5_PS7_21rocsparse_index_base_SF_SF_SF_bbb: ; @_ZN9rocsparseL41csrgemm_numeric_fill_block_per_row_kernelILj1024ELj32ELj2048ELj137ELj64Eii21rocsparse_complex_numIfEEEvT5_PKS3_S5_NS_24const_host_device_scalarIT6_EEPKT4_S5_PKS7_SB_S5_SD_S8_SB_S5_SD_SB_S5_PS7_21rocsparse_index_base_SF_SF_SF_bbb
; %bb.0:
	s_load_dwordx2 s[40:41], s[0:1], 0x70
	s_load_dwordx4 s[24:27], s[0:1], 0x60
	s_load_dwordx8 s[8:15], s[0:1], 0x40
	s_load_dword s3, s[0:1], 0x98
	s_load_dwordx4 s[28:31], s[0:1], 0x8
	s_load_dwordx8 s[16:23], s[0:1], 0x20
	s_load_dwordx2 s[34:35], s[0:1], 0x80
	s_load_dwordx4 s[36:39], s[0:1], 0x88
	s_waitcnt lgkmcnt(0)
	s_bitcmp1_b32 s3, 0
	s_cselect_b64 s[46:47], -1, 0
	s_bitcmp1_b32 s3, 16
	s_cselect_b64 s[4:5], -1, 0
	s_xor_b64 s[4:5], s[4:5], -1
	v_cndmask_b32_e64 v1, 0, 1, s[4:5]
	s_mov_b32 s7, 0
	s_bitcmp0_b32 s3, 0
	v_cmp_ne_u32_e64 s[4:5], 1, v1
	s_mov_b32 s52, 0
	s_cbranch_scc1 .LBB49_5
; %bb.1:
	s_load_dwordx2 s[6:7], s[0:1], 0x18
	s_and_b64 vcc, exec, s[4:5]
	s_waitcnt lgkmcnt(0)
	s_mov_b32 s52, s6
	s_cbranch_vccnz .LBB49_3
; %bb.2:
	s_load_dword s52, s[6:7], 0x0
.LBB49_3:
	s_and_b64 vcc, exec, s[4:5]
	s_cbranch_vccnz .LBB49_5
; %bb.4:
	s_load_dword s7, s[6:7], 0x4
.LBB49_5:
	s_bitcmp1_b32 s3, 8
	s_cselect_b64 s[44:45], -1, 0
	s_bfe_u32 s3, s3, 0x10008
	s_mov_b32 s50, 0
	s_cmp_eq_u32 s3, 0
	s_mov_b32 s51, 0
	s_cbranch_scc1 .LBB49_11
; %bb.6:
	s_and_b64 vcc, exec, s[4:5]
	s_mov_b32 s50, s12
	s_cbranch_vccnz .LBB49_8
; %bb.7:
	s_load_dword s50, s[12:13], 0x0
.LBB49_8:
	s_and_b64 vcc, exec, s[4:5]
	s_cbranch_vccnz .LBB49_10
; %bb.9:
	s_load_dword s13, s[12:13], 0x4
.LBB49_10:
	s_waitcnt lgkmcnt(0)
	s_mov_b32 s51, s13
.LBB49_11:
	s_load_dword s33, s[0:1], 0x0
	v_lshl_add_u32 v1, v0, 3, 0
	v_add_u32_e32 v1, 0x2000, v1
	v_or_b32_e32 v8, 0xfffffc00, v0
	v_lshl_add_u32 v9, v0, 2, 0
	s_mov_b64 s[0:1], 0
	s_waitcnt lgkmcnt(0)
	v_mov_b32_e32 v6, s33
	v_mov_b32_e32 v2, 0
	;; [unrolled: 1-line block ×5, first 2 shown]
.LBB49_12:                              ; =>This Inner Loop Header: Depth=1
	v_add_co_u32_e32 v4, vcc, 0x400, v4
	s_xor_b64 s[4:5], vcc, -1
	s_and_b64 s[4:5], exec, s[4:5]
	ds_write_b32 v3, v6
	ds_write2_b32 v5, v2, v2 offset1:1
	v_add_u32_e32 v5, 0x2000, v5
	s_or_b64 s[0:1], s[4:5], s[0:1]
	v_add_u32_e32 v3, 0x1000, v3
	s_andn2_b64 exec, exec, s[0:1]
	s_cbranch_execnz .LBB49_12
; %bb.13:
	s_or_b64 exec, exec, s[0:1]
	s_waitcnt lgkmcnt(0)
	s_barrier
	s_load_dword s0, s[28:29], 0x0
	s_mov_b32 s1, 0
	s_waitcnt lgkmcnt(0)
	s_add_i32 s0, s0, s2
	s_lshl_b64 s[0:1], s[0:1], 2
	s_add_u32 s0, s30, s0
	s_addc_u32 s1, s31, s1
	s_load_dword s42, s[0:1], 0x0
	s_and_b64 vcc, exec, s[46:47]
	s_cbranch_vccz .LBB49_31
; %bb.14:
	s_waitcnt lgkmcnt(0)
	s_ashr_i32 s43, s42, 31
	s_lshl_b64 s[0:1], s[42:43], 2
	s_add_u32 s0, s16, s0
	s_addc_u32 s1, s17, s1
	s_load_dwordx2 s[2:3], s[0:1], 0x0
	v_lshrrev_b32_e32 v2, 5, v0
	v_subrev_u32_e32 v2, s36, v2
	s_waitcnt lgkmcnt(0)
	s_sub_i32 s6, s3, s36
	v_add_u32_e32 v2, s2, v2
	v_cmp_gt_i32_e32 vcc, s6, v2
	s_and_saveexec_b64 s[0:1], vcc
	s_cbranch_execz .LBB49_30
; %bb.15:
	v_and_b32_e32 v3, 31, v0
	v_subrev_u32_e32 v10, s37, v3
	s_mov_b64 s[2:3], 0
	s_movk_i32 s43, 0x89
	s_branch .LBB49_17
.LBB49_16:                              ;   in Loop: Header=BB49_17 Depth=1
	s_or_b64 exec, exec, s[4:5]
	v_add_u32_e32 v2, 32, v2
	v_cmp_le_i32_e32 vcc, s6, v2
	s_or_b64 s[2:3], vcc, s[2:3]
	s_andn2_b64 exec, exec, s[2:3]
	s_cbranch_execz .LBB49_30
.LBB49_17:                              ; =>This Loop Header: Depth=1
                                        ;     Child Loop BB49_21 Depth 2
                                        ;       Child Loop BB49_24 Depth 3
	v_ashrrev_i32_e32 v3, 31, v2
	v_lshl_add_u64 v[4:5], v[2:3], 2, s[18:19]
	global_load_dword v4, v[4:5], off
	s_waitcnt vmcnt(0)
	v_subrev_u32_e32 v4, s36, v4
	v_ashrrev_i32_e32 v5, 31, v4
	v_lshl_add_u64 v[4:5], v[4:5], 2, s[22:23]
	global_load_dwordx2 v[4:5], v[4:5], off
	s_waitcnt vmcnt(0)
	v_subrev_u32_e32 v11, s37, v5
	v_add_u32_e32 v4, v4, v10
	v_cmp_lt_i32_e32 vcc, v4, v11
	s_and_saveexec_b64 s[4:5], vcc
	s_cbranch_execz .LBB49_16
; %bb.18:                               ;   in Loop: Header=BB49_17 Depth=1
	v_lshl_add_u64 v[6:7], v[2:3], 3, s[20:21]
	global_load_dwordx2 v[6:7], v[6:7], off
	s_mov_b64 s[12:13], 0
	s_waitcnt vmcnt(0)
	v_mul_f32_e64 v3, v7, -s7
	v_mul_f32_e32 v12, s52, v7
	v_fmac_f32_e32 v3, s52, v6
	v_fmac_f32_e32 v12, s7, v6
	s_branch .LBB49_21
.LBB49_19:                              ;   in Loop: Header=BB49_21 Depth=2
	s_or_b64 exec, exec, s[28:29]
.LBB49_20:                              ;   in Loop: Header=BB49_21 Depth=2
	s_or_b64 exec, exec, s[16:17]
	s_waitcnt vmcnt(0)
	v_mul_f32_e64 v13, v7, -v12
	v_fmac_f32_e32 v13, v3, v6
	v_mul_f32_e32 v7, v3, v7
	v_lshl_add_u32 v5, v5, 3, 0
	v_fmac_f32_e32 v7, v12, v6
	ds_add_f32 v5, v13 offset:8192
	ds_add_f32 v5, v7 offset:8196
	v_add_u32_e32 v4, 32, v4
	v_cmp_ge_i32_e32 vcc, v4, v11
	s_or_b64 s[12:13], vcc, s[12:13]
	s_andn2_b64 exec, exec, s[12:13]
	s_cbranch_execz .LBB49_16
.LBB49_21:                              ;   Parent Loop BB49_17 Depth=1
                                        ; =>  This Loop Header: Depth=2
                                        ;       Child Loop BB49_24 Depth 3
	v_ashrrev_i32_e32 v5, 31, v4
	v_lshl_add_u64 v[6:7], v[4:5], 2, s[8:9]
	global_load_dword v13, v[6:7], off
	v_lshl_add_u64 v[6:7], v[4:5], 3, s[10:11]
	global_load_dwordx2 v[6:7], v[6:7], off
	s_waitcnt vmcnt(1)
	v_subrev_u32_e32 v13, s37, v13
	v_mul_lo_u32 v5, v13, s43
	v_and_b32_e32 v5, 0x7ff, v5
	v_lshl_add_u32 v14, v5, 2, 0
	ds_read_b32 v15, v14
	s_waitcnt lgkmcnt(0)
	v_cmp_ne_u32_e32 vcc, v15, v13
	s_and_saveexec_b64 s[16:17], vcc
	s_cbranch_execz .LBB49_20
; %bb.22:                               ;   in Loop: Header=BB49_21 Depth=2
	s_mov_b64 s[28:29], 0
	s_branch .LBB49_24
.LBB49_23:                              ;   in Loop: Header=BB49_24 Depth=3
	s_or_b64 exec, exec, s[48:49]
	s_and_b64 s[30:31], exec, s[46:47]
	s_or_b64 s[28:29], s[30:31], s[28:29]
	s_andn2_b64 exec, exec, s[28:29]
	s_cbranch_execz .LBB49_19
.LBB49_24:                              ;   Parent Loop BB49_17 Depth=1
                                        ;     Parent Loop BB49_21 Depth=2
                                        ; =>    This Inner Loop Header: Depth=3
	v_cmp_ne_u32_e32 vcc, s33, v15
	s_mov_b64 s[30:31], 0
	s_and_saveexec_b64 s[46:47], vcc
	s_xor_b64 s[46:47], exec, s[46:47]
	s_cbranch_execz .LBB49_26
; %bb.25:                               ;   in Loop: Header=BB49_24 Depth=3
	v_add_u32_e32 v5, 1, v5
	s_mov_b64 s[30:31], exec
	v_and_b32_e32 v5, 0x7ff, v5
                                        ; implicit-def: $vgpr14
	s_andn2_saveexec_b64 s[46:47], s[46:47]
	s_cbranch_execz .LBB49_28
	s_branch .LBB49_27
.LBB49_26:                              ;   in Loop: Header=BB49_24 Depth=3
	s_andn2_saveexec_b64 s[46:47], s[46:47]
	s_cbranch_execz .LBB49_28
.LBB49_27:                              ;   in Loop: Header=BB49_24 Depth=3
	v_mov_b32_e32 v15, s33
	ds_cmpst_rtn_b32 v14, v14, v15, v13
	s_andn2_b64 s[30:31], s[30:31], exec
	s_waitcnt lgkmcnt(0)
	v_cmp_ne_u32_e32 vcc, s33, v14
	s_and_b64 s[48:49], vcc, exec
	s_or_b64 s[30:31], s[30:31], s[48:49]
.LBB49_28:                              ;   in Loop: Header=BB49_24 Depth=3
	s_or_b64 exec, exec, s[46:47]
	s_mov_b64 s[46:47], -1
                                        ; implicit-def: $vgpr14
                                        ; implicit-def: $vgpr15
	s_and_saveexec_b64 s[48:49], s[30:31]
	s_cbranch_execz .LBB49_23
; %bb.29:                               ;   in Loop: Header=BB49_24 Depth=3
	v_lshl_add_u32 v14, v5, 2, 0
	ds_read_b32 v15, v14
	s_waitcnt lgkmcnt(0)
	v_cmp_eq_u32_e32 vcc, v15, v13
	s_orn2_b64 s[46:47], vcc, exec
	s_branch .LBB49_23
.LBB49_30:
	s_or_b64 exec, exec, s[0:1]
.LBB49_31:
	s_andn2_b64 vcc, exec, s[44:45]
	s_cbranch_vccnz .LBB49_46
; %bb.32:
	s_waitcnt lgkmcnt(0)
	s_ashr_i32 s43, s42, 31
	s_lshl_b64 s[0:1], s[42:43], 2
	s_add_u32 s0, s14, s0
	s_addc_u32 s1, s15, s1
	s_load_dwordx2 s[2:3], s[0:1], 0x0
	v_subrev_u32_e32 v2, s39, v0
	s_waitcnt lgkmcnt(0)
	s_sub_i32 s14, s3, s39
	v_add_u32_e32 v2, s2, v2
	v_cmp_gt_i32_e32 vcc, s14, v2
	s_and_saveexec_b64 s[0:1], vcc
	s_cbranch_execz .LBB49_45
; %bb.33:
	s_mov_b64 s[2:3], 0
	s_movk_i32 s15, 0x89
	s_branch .LBB49_36
.LBB49_34:                              ;   in Loop: Header=BB49_36 Depth=1
	s_or_b64 exec, exec, s[6:7]
.LBB49_35:                              ;   in Loop: Header=BB49_36 Depth=1
	s_or_b64 exec, exec, s[4:5]
	s_waitcnt vmcnt(0)
	v_mul_f32_e64 v6, v5, -s51
	v_fmac_f32_e32 v6, s50, v4
	v_mul_f32_e32 v5, s50, v5
	v_lshl_add_u32 v3, v3, 3, 0
	v_fmac_f32_e32 v5, s51, v4
	ds_add_f32 v3, v6 offset:8192
	ds_add_f32 v3, v5 offset:8196
	v_add_u32_e32 v2, 0x400, v2
	v_cmp_le_i32_e32 vcc, s14, v2
	s_or_b64 s[2:3], vcc, s[2:3]
	s_andn2_b64 exec, exec, s[2:3]
	s_cbranch_execz .LBB49_45
.LBB49_36:                              ; =>This Loop Header: Depth=1
                                        ;     Child Loop BB49_39 Depth 2
	v_ashrrev_i32_e32 v3, 31, v2
	v_lshl_add_u64 v[4:5], v[2:3], 2, s[24:25]
	global_load_dword v6, v[4:5], off
	v_lshl_add_u64 v[4:5], v[2:3], 3, s[26:27]
	global_load_dwordx2 v[4:5], v[4:5], off
	s_waitcnt vmcnt(1)
	v_subrev_u32_e32 v6, s39, v6
	v_mul_lo_u32 v3, v6, s15
	v_and_b32_e32 v3, 0x7ff, v3
	v_lshl_add_u32 v7, v3, 2, 0
	ds_read_b32 v10, v7
	s_waitcnt lgkmcnt(0)
	v_cmp_ne_u32_e32 vcc, v10, v6
	s_and_saveexec_b64 s[4:5], vcc
	s_cbranch_execz .LBB49_35
; %bb.37:                               ;   in Loop: Header=BB49_36 Depth=1
	s_mov_b64 s[6:7], 0
	s_branch .LBB49_39
.LBB49_38:                              ;   in Loop: Header=BB49_39 Depth=2
	s_or_b64 exec, exec, s[12:13]
	s_and_b64 s[8:9], exec, s[10:11]
	s_or_b64 s[6:7], s[8:9], s[6:7]
	s_andn2_b64 exec, exec, s[6:7]
	s_cbranch_execz .LBB49_34
.LBB49_39:                              ;   Parent Loop BB49_36 Depth=1
                                        ; =>  This Inner Loop Header: Depth=2
	v_cmp_ne_u32_e32 vcc, s33, v10
	s_mov_b64 s[8:9], 0
	s_and_saveexec_b64 s[10:11], vcc
	s_xor_b64 s[10:11], exec, s[10:11]
	s_cbranch_execz .LBB49_41
; %bb.40:                               ;   in Loop: Header=BB49_39 Depth=2
	v_add_u32_e32 v3, 1, v3
	s_mov_b64 s[8:9], exec
	v_and_b32_e32 v3, 0x7ff, v3
                                        ; implicit-def: $vgpr7
	s_andn2_saveexec_b64 s[10:11], s[10:11]
	s_cbranch_execz .LBB49_43
	s_branch .LBB49_42
.LBB49_41:                              ;   in Loop: Header=BB49_39 Depth=2
	s_andn2_saveexec_b64 s[10:11], s[10:11]
	s_cbranch_execz .LBB49_43
.LBB49_42:                              ;   in Loop: Header=BB49_39 Depth=2
	v_mov_b32_e32 v10, s33
	ds_cmpst_rtn_b32 v7, v7, v10, v6
	s_andn2_b64 s[8:9], s[8:9], exec
	s_waitcnt lgkmcnt(0)
	v_cmp_ne_u32_e32 vcc, s33, v7
	s_and_b64 s[12:13], vcc, exec
	s_or_b64 s[8:9], s[8:9], s[12:13]
.LBB49_43:                              ;   in Loop: Header=BB49_39 Depth=2
	s_or_b64 exec, exec, s[10:11]
	s_mov_b64 s[10:11], -1
                                        ; implicit-def: $vgpr7
                                        ; implicit-def: $vgpr10
	s_and_saveexec_b64 s[12:13], s[8:9]
	s_cbranch_execz .LBB49_38
; %bb.44:                               ;   in Loop: Header=BB49_39 Depth=2
	v_lshl_add_u32 v7, v3, 2, 0
	ds_read_b32 v10, v7
	s_waitcnt lgkmcnt(0)
	v_cmp_eq_u32_e32 vcc, v10, v6
	s_orn2_b64 s[10:11], vcc, exec
	s_branch .LBB49_38
.LBB49_45:
	s_or_b64 exec, exec, s[0:1]
.LBB49_46:
	v_mbcnt_lo_u32_b32 v2, -1, 0
	v_mbcnt_hi_u32_b32 v2, -1, v2
	v_lshrrev_b32_e32 v4, 4, v0
	v_sub_u32_e32 v2, 63, v2
	v_and_b32_e32 v4, 60, v4
	s_movk_i32 s0, 0x3ff
	s_movk_i32 s4, 0x7f
	;; [unrolled: 1-line block ×15, first 2 shown]
	v_mov_b32_e32 v6, 0
	v_lshrrev_b64 v[2:3], v2, -1
	v_add_u32_e32 v7, 0, v4
	v_cmp_eq_u32_e64 s[0:1], s0, v0
	v_cmp_lt_u32_e64 s[2:3], 63, v0
	v_cmp_lt_u32_e64 s[4:5], s4, v0
	;; [unrolled: 1-line block ×15, first 2 shown]
	s_mov_b64 s[36:37], 0
	v_mov_b32_e32 v10, 0
	s_waitcnt lgkmcnt(0)
	s_barrier
	s_branch .LBB49_48
.LBB49_47:                              ;   in Loop: Header=BB49_48 Depth=1
	s_or_b64 exec, exec, s[44:45]
	s_waitcnt lgkmcnt(0)
	s_barrier
	ds_read_b32 v4, v6 offset:24636
	v_add_co_u32_e32 v8, vcc, 0x400, v8
	s_xor_b64 s[44:45], vcc, -1
	s_and_b64 s[44:45], exec, s[44:45]
	v_add_u32_e32 v1, 0x2000, v1
	s_waitcnt lgkmcnt(0)
	v_add_u32_e32 v10, v4, v10
	s_or_b64 s[36:37], s[44:45], s[36:37]
	v_add_u32_e32 v9, 0x1000, v9
	s_andn2_b64 exec, exec, s[36:37]
	s_cbranch_execz .LBB49_82
.LBB49_48:                              ; =>This Inner Loop Header: Depth=1
	ds_read_b32 v11, v9
	ds_read2_b32 v[4:5], v1 offset1:1
	s_waitcnt lgkmcnt(0)
	s_barrier
	v_cmp_gt_i32_e32 vcc, s33, v11
	s_bcnt1_i32_b64 s39, vcc
	s_nop 0
	v_and_b32_e32 v13, vcc_lo, v2
	v_and_b32_e32 v12, vcc_hi, v3
	v_bcnt_u32_b32 v13, v13, 0
	v_bcnt_u32_b32 v12, v12, v13
	v_mov_b32_e32 v13, s39
	ds_write_b32 v7, v13 offset:24576
	s_waitcnt lgkmcnt(0)
	s_barrier
	s_and_saveexec_b64 s[44:45], s[2:3]
	s_cbranch_execz .LBB49_65
; %bb.49:                               ;   in Loop: Header=BB49_48 Depth=1
	ds_read_b32 v13, v6 offset:24576
	s_waitcnt lgkmcnt(0)
	v_add_u32_e32 v12, v13, v12
	s_or_b64 exec, exec, s[44:45]
	s_and_saveexec_b64 s[44:45], s[4:5]
	s_cbranch_execnz .LBB49_66
.LBB49_50:                              ;   in Loop: Header=BB49_48 Depth=1
	s_or_b64 exec, exec, s[44:45]
	s_and_saveexec_b64 s[44:45], s[6:7]
	s_cbranch_execz .LBB49_67
.LBB49_51:                              ;   in Loop: Header=BB49_48 Depth=1
	ds_read_b32 v13, v6 offset:24584
	s_waitcnt lgkmcnt(0)
	v_add_u32_e32 v12, v13, v12
	s_or_b64 exec, exec, s[44:45]
	s_and_saveexec_b64 s[44:45], s[8:9]
	s_cbranch_execnz .LBB49_68
.LBB49_52:                              ;   in Loop: Header=BB49_48 Depth=1
	s_or_b64 exec, exec, s[44:45]
	s_and_saveexec_b64 s[44:45], s[10:11]
	s_cbranch_execz .LBB49_69
.LBB49_53:                              ;   in Loop: Header=BB49_48 Depth=1
	ds_read_b32 v13, v6 offset:24592
	s_waitcnt lgkmcnt(0)
	v_add_u32_e32 v12, v13, v12
	s_or_b64 exec, exec, s[44:45]
	s_and_saveexec_b64 s[44:45], s[12:13]
	s_cbranch_execnz .LBB49_70
.LBB49_54:                              ;   in Loop: Header=BB49_48 Depth=1
	s_or_b64 exec, exec, s[44:45]
	s_and_saveexec_b64 s[44:45], s[14:15]
	s_cbranch_execz .LBB49_71
.LBB49_55:                              ;   in Loop: Header=BB49_48 Depth=1
	ds_read_b32 v13, v6 offset:24600
	s_waitcnt lgkmcnt(0)
	v_add_u32_e32 v12, v13, v12
	s_or_b64 exec, exec, s[44:45]
	s_and_saveexec_b64 s[44:45], s[16:17]
	s_cbranch_execnz .LBB49_72
.LBB49_56:                              ;   in Loop: Header=BB49_48 Depth=1
	s_or_b64 exec, exec, s[44:45]
	s_and_saveexec_b64 s[44:45], s[18:19]
	s_cbranch_execz .LBB49_73
.LBB49_57:                              ;   in Loop: Header=BB49_48 Depth=1
	ds_read_b32 v13, v6 offset:24608
	s_waitcnt lgkmcnt(0)
	v_add_u32_e32 v12, v13, v12
	s_or_b64 exec, exec, s[44:45]
	s_and_saveexec_b64 s[44:45], s[20:21]
	s_cbranch_execnz .LBB49_74
.LBB49_58:                              ;   in Loop: Header=BB49_48 Depth=1
	s_or_b64 exec, exec, s[44:45]
	s_and_saveexec_b64 s[44:45], s[22:23]
	s_cbranch_execz .LBB49_75
.LBB49_59:                              ;   in Loop: Header=BB49_48 Depth=1
	ds_read_b32 v13, v6 offset:24616
	s_waitcnt lgkmcnt(0)
	v_add_u32_e32 v12, v13, v12
	s_or_b64 exec, exec, s[44:45]
	s_and_saveexec_b64 s[44:45], s[24:25]
	s_cbranch_execnz .LBB49_76
.LBB49_60:                              ;   in Loop: Header=BB49_48 Depth=1
	s_or_b64 exec, exec, s[44:45]
	s_and_saveexec_b64 s[44:45], s[26:27]
	s_cbranch_execz .LBB49_77
.LBB49_61:                              ;   in Loop: Header=BB49_48 Depth=1
	ds_read_b32 v13, v6 offset:24624
	s_waitcnt lgkmcnt(0)
	v_add_u32_e32 v12, v13, v12
	s_or_b64 exec, exec, s[44:45]
	s_and_saveexec_b64 s[44:45], s[28:29]
	s_cbranch_execnz .LBB49_78
.LBB49_62:                              ;   in Loop: Header=BB49_48 Depth=1
	s_or_b64 exec, exec, s[44:45]
	s_and_saveexec_b64 s[44:45], s[30:31]
	s_cbranch_execz .LBB49_79
.LBB49_63:                              ;   in Loop: Header=BB49_48 Depth=1
	ds_read_b32 v13, v6 offset:24632
	s_waitcnt lgkmcnt(0)
	v_add_u32_e32 v12, v13, v12
	s_or_b64 exec, exec, s[44:45]
	s_and_saveexec_b64 s[44:45], vcc
	s_cbranch_execnz .LBB49_80
.LBB49_64:                              ;   in Loop: Header=BB49_48 Depth=1
	s_or_b64 exec, exec, s[44:45]
	s_and_saveexec_b64 s[44:45], s[0:1]
	s_cbranch_execz .LBB49_47
	s_branch .LBB49_81
.LBB49_65:                              ;   in Loop: Header=BB49_48 Depth=1
	s_or_b64 exec, exec, s[44:45]
	s_and_saveexec_b64 s[44:45], s[4:5]
	s_cbranch_execz .LBB49_50
.LBB49_66:                              ;   in Loop: Header=BB49_48 Depth=1
	ds_read_b32 v13, v6 offset:24580
	s_waitcnt lgkmcnt(0)
	v_add_u32_e32 v12, v13, v12
	s_or_b64 exec, exec, s[44:45]
	s_and_saveexec_b64 s[44:45], s[6:7]
	s_cbranch_execnz .LBB49_51
.LBB49_67:                              ;   in Loop: Header=BB49_48 Depth=1
	s_or_b64 exec, exec, s[44:45]
	s_and_saveexec_b64 s[44:45], s[8:9]
	s_cbranch_execz .LBB49_52
.LBB49_68:                              ;   in Loop: Header=BB49_48 Depth=1
	ds_read_b32 v13, v6 offset:24588
	s_waitcnt lgkmcnt(0)
	v_add_u32_e32 v12, v13, v12
	s_or_b64 exec, exec, s[44:45]
	s_and_saveexec_b64 s[44:45], s[10:11]
	s_cbranch_execnz .LBB49_53
.LBB49_69:                              ;   in Loop: Header=BB49_48 Depth=1
	s_or_b64 exec, exec, s[44:45]
	s_and_saveexec_b64 s[44:45], s[12:13]
	s_cbranch_execz .LBB49_54
.LBB49_70:                              ;   in Loop: Header=BB49_48 Depth=1
	ds_read_b32 v13, v6 offset:24596
	s_waitcnt lgkmcnt(0)
	v_add_u32_e32 v12, v13, v12
	s_or_b64 exec, exec, s[44:45]
	s_and_saveexec_b64 s[44:45], s[14:15]
	s_cbranch_execnz .LBB49_55
.LBB49_71:                              ;   in Loop: Header=BB49_48 Depth=1
	s_or_b64 exec, exec, s[44:45]
	s_and_saveexec_b64 s[44:45], s[16:17]
	s_cbranch_execz .LBB49_56
.LBB49_72:                              ;   in Loop: Header=BB49_48 Depth=1
	ds_read_b32 v13, v6 offset:24604
	s_waitcnt lgkmcnt(0)
	v_add_u32_e32 v12, v13, v12
	s_or_b64 exec, exec, s[44:45]
	s_and_saveexec_b64 s[44:45], s[18:19]
	s_cbranch_execnz .LBB49_57
.LBB49_73:                              ;   in Loop: Header=BB49_48 Depth=1
	s_or_b64 exec, exec, s[44:45]
	s_and_saveexec_b64 s[44:45], s[20:21]
	s_cbranch_execz .LBB49_58
.LBB49_74:                              ;   in Loop: Header=BB49_48 Depth=1
	ds_read_b32 v13, v6 offset:24612
	s_waitcnt lgkmcnt(0)
	v_add_u32_e32 v12, v13, v12
	s_or_b64 exec, exec, s[44:45]
	s_and_saveexec_b64 s[44:45], s[22:23]
	s_cbranch_execnz .LBB49_59
.LBB49_75:                              ;   in Loop: Header=BB49_48 Depth=1
	s_or_b64 exec, exec, s[44:45]
	s_and_saveexec_b64 s[44:45], s[24:25]
	s_cbranch_execz .LBB49_60
.LBB49_76:                              ;   in Loop: Header=BB49_48 Depth=1
	ds_read_b32 v13, v6 offset:24620
	s_waitcnt lgkmcnt(0)
	v_add_u32_e32 v12, v13, v12
	s_or_b64 exec, exec, s[44:45]
	s_and_saveexec_b64 s[44:45], s[26:27]
	s_cbranch_execnz .LBB49_61
.LBB49_77:                              ;   in Loop: Header=BB49_48 Depth=1
	s_or_b64 exec, exec, s[44:45]
	s_and_saveexec_b64 s[44:45], s[28:29]
	s_cbranch_execz .LBB49_62
.LBB49_78:                              ;   in Loop: Header=BB49_48 Depth=1
	ds_read_b32 v13, v6 offset:24628
	s_waitcnt lgkmcnt(0)
	v_add_u32_e32 v12, v13, v12
	s_or_b64 exec, exec, s[44:45]
	s_and_saveexec_b64 s[44:45], s[30:31]
	s_cbranch_execnz .LBB49_63
.LBB49_79:                              ;   in Loop: Header=BB49_48 Depth=1
	s_or_b64 exec, exec, s[44:45]
	s_and_saveexec_b64 s[44:45], vcc
	s_cbranch_execz .LBB49_64
.LBB49_80:                              ;   in Loop: Header=BB49_48 Depth=1
	v_add3_u32 v13, v10, -1, v12
	v_add_u32_e32 v14, v10, v12
	v_lshl_add_u32 v13, v13, 2, 0
	v_lshl_add_u32 v14, v14, 3, 0
	v_add_u32_e32 v14, 0x1ff8, v14
	ds_write_b32 v13, v11
	ds_write2_b32 v14, v4, v5 offset1:1
	s_or_b64 exec, exec, s[44:45]
	s_and_saveexec_b64 s[44:45], s[0:1]
	s_cbranch_execz .LBB49_47
.LBB49_81:                              ;   in Loop: Header=BB49_48 Depth=1
	ds_write_b32 v6, v12 offset:24636
	s_branch .LBB49_47
.LBB49_82:
	s_or_b64 exec, exec, s[36:37]
	s_ashr_i32 s43, s42, 31
	s_lshl_b64 s[0:1], s[42:43], 2
	s_add_u32 s2, s40, s0
	s_addc_u32 s3, s41, s1
	s_load_dwordx2 s[0:1], s[2:3], 0x0
	s_waitcnt lgkmcnt(0)
	s_sub_i32 s14, s1, s0
	v_cmp_gt_i32_e32 vcc, s14, v0
	s_and_saveexec_b64 s[2:3], vcc
	s_cbranch_execz .LBB49_96
; %bb.83:
	s_sub_i32 s8, s0, s38
	v_sub_co_u32_e64 v1, s[0:1], s14, 2
	s_nop 0
	v_readfirstlane_b32 s2, v1
	s_lshr_b32 s2, s2, 1
	s_add_i32 s2, s2, 1
	s_xor_b64 s[0:1], s[0:1], -1
	s_and_b32 s15, s14, -2
	s_and_b32 s3, s2, 7
	s_and_b32 s16, s2, -8
	s_cmp_lg_u32 s3, 0
	v_cmp_lt_u32_e32 vcc, 13, v1
	s_cselect_b64 s[4:5], -1, 0
	s_cmp_lg_u32 s14, s15
	v_cndmask_b32_e64 v1, 0, 1, vcc
	s_cselect_b64 s[10:11], -1, 0
	s_lshl_b32 s17, s3, 3
	v_cndmask_b32_e64 v2, 0, 1, s[0:1]
	v_cmp_ne_u32_e64 s[2:3], 1, v1
	v_cndmask_b32_e64 v1, 0, 1, s[4:5]
	s_mov_b32 s9, 0
	s_mov_b64 s[12:13], 0
	s_movk_i32 s18, 0x2000
	v_cmp_ne_u32_e64 s[0:1], 1, v2
	v_cmp_ne_u32_e64 s[4:5], 1, v1
	s_branch .LBB49_85
.LBB49_84:                              ;   in Loop: Header=BB49_85 Depth=1
	v_add_u32_e32 v0, 0x400, v0
	v_ashrrev_i32_e32 v5, 31, v4
	v_cmp_le_i32_e32 vcc, s14, v0
	v_lshl_add_u64 v[4:5], v[4:5], 3, s[34:35]
	s_or_b64 s[12:13], vcc, s[12:13]
	s_waitcnt lgkmcnt(0)
	global_store_dwordx2 v[4:5], v[2:3], off
	s_andn2_b64 exec, exec, s[12:13]
	s_cbranch_execz .LBB49_96
.LBB49_85:                              ; =>This Loop Header: Depth=1
                                        ;     Child Loop BB49_88 Depth 2
                                        ;     Child Loop BB49_91 Depth 2
	;; [unrolled: 1-line block ×3, first 2 shown]
	v_lshlrev_b32_e32 v1, 2, v0
	v_add_u32_e32 v2, 0, v1
	v_add3_u32 v3, v2, v1, s18
	ds_read_b32 v1, v2
	ds_read2_b32 v[2:3], v3 offset1:1
	s_and_b64 vcc, exec, s[0:1]
	v_mov_b32_e32 v4, s8
	s_mov_b32 s19, 0
	s_mov_b64 s[6:7], -1
	s_cbranch_vccnz .LBB49_93
; %bb.86:                               ;   in Loop: Header=BB49_85 Depth=1
	s_and_b64 vcc, exec, s[2:3]
	v_mov_b64_e32 v[4:5], s[8:9]
	s_cbranch_vccnz .LBB49_89
; %bb.87:                               ;   in Loop: Header=BB49_85 Depth=1
	s_mov_b32 s20, 0
	v_mov_b32_e32 v4, s8
	v_mov_b32_e32 v5, 0
	s_mov_b32 s21, s16
.LBB49_88:                              ;   Parent Loop BB49_85 Depth=1
                                        ; =>  This Inner Loop Header: Depth=2
	v_mov_b32_e32 v20, s20
	ds_read2_b32 v[6:7], v20 offset1:1
	ds_read2_b32 v[8:9], v20 offset0:2 offset1:3
	ds_read2_b32 v[10:11], v20 offset0:4 offset1:5
	;; [unrolled: 1-line block ×7, first 2 shown]
	s_waitcnt lgkmcnt(7)
	v_cmp_gt_i32_e32 vcc, v1, v7
	s_waitcnt lgkmcnt(5)
	v_cmp_gt_i32_e64 s[6:7], v1, v10
	s_add_i32 s19, s19, 16
	v_cndmask_b32_e64 v7, 0, 1, vcc
	v_cmp_gt_i32_e32 vcc, v1, v6
	s_add_i32 s20, s20, 64
	s_add_i32 s21, s21, -8
	v_cndmask_b32_e64 v6, 0, 1, vcc
	v_cmp_gt_i32_e32 vcc, v1, v9
	v_cndmask_b32_e64 v9, 0, 1, s[6:7]
	v_cmp_gt_i32_e64 s[6:7], v1, v11
	v_addc_co_u32_e32 v5, vcc, v5, v7, vcc
	s_nop 0
	v_cndmask_b32_e64 v10, 0, 1, s[6:7]
	s_waitcnt lgkmcnt(3)
	v_cmp_gt_i32_e64 s[6:7], v1, v15
	v_cmp_gt_i32_e32 vcc, v1, v12
	s_cmp_lg_u32 s21, 0
	v_cndmask_b32_e64 v11, 0, 1, s[6:7]
	v_cmp_gt_i32_e64 s[6:7], v1, v14
	s_nop 1
	v_cndmask_b32_e64 v14, 0, 1, s[6:7]
	s_waitcnt lgkmcnt(1)
	v_cmp_gt_i32_e64 s[6:7], v1, v18
	s_nop 1
	v_cndmask_b32_e64 v15, 0, 1, s[6:7]
	v_cmp_gt_i32_e64 s[6:7], v1, v19
	s_nop 1
	v_cndmask_b32_e64 v18, 0, 1, s[6:7]
	v_cmp_gt_i32_e64 s[6:7], v1, v8
	s_nop 1
	v_addc_co_u32_e64 v4, s[6:7], v4, v6, s[6:7]
	v_cmp_gt_i32_e64 s[6:7], v1, v13
	v_addc_co_u32_e32 v4, vcc, v4, v9, vcc
	s_nop 0
	v_addc_co_u32_e64 v5, s[6:7], v5, v10, s[6:7]
	v_cmp_gt_i32_e32 vcc, v1, v17
	v_cmp_gt_i32_e64 s[6:7], v1, v16
	s_nop 0
	v_addc_co_u32_e32 v5, vcc, v5, v11, vcc
	v_addc_co_u32_e64 v4, s[6:7], v4, v14, s[6:7]
	s_waitcnt lgkmcnt(0)
	v_cmp_gt_i32_e32 vcc, v1, v20
	v_cmp_gt_i32_e64 s[6:7], v1, v21
	s_nop 0
	v_addc_co_u32_e32 v4, vcc, v4, v15, vcc
	v_addc_co_u32_e64 v5, s[6:7], v5, v18, s[6:7]
	s_cbranch_scc1 .LBB49_88
.LBB49_89:                              ;   in Loop: Header=BB49_85 Depth=1
	s_and_b64 vcc, exec, s[4:5]
	s_cbranch_vccnz .LBB49_92
; %bb.90:                               ;   in Loop: Header=BB49_85 Depth=1
	s_lshl_b32 s6, s19, 2
	s_add_i32 s6, s6, 0
	s_mov_b32 s7, s17
.LBB49_91:                              ;   Parent Loop BB49_85 Depth=1
                                        ; =>  This Inner Loop Header: Depth=2
	v_mov_b32_e32 v6, s6
	ds_read2_b32 v[6:7], v6 offset1:1
	s_add_i32 s6, s6, 8
	s_add_i32 s7, s7, -8
	s_cmp_lg_u32 s7, 0
	s_waitcnt lgkmcnt(0)
	v_cmp_gt_i32_e32 vcc, v1, v7
	s_nop 1
	v_addc_co_u32_e32 v5, vcc, 0, v5, vcc
	v_cmp_gt_i32_e32 vcc, v1, v6
	s_nop 1
	v_addc_co_u32_e32 v4, vcc, 0, v4, vcc
	s_cbranch_scc1 .LBB49_91
.LBB49_92:                              ;   in Loop: Header=BB49_85 Depth=1
	v_add_u32_e32 v4, v4, v5
	s_mov_b32 s19, s15
	s_mov_b64 s[6:7], s[10:11]
.LBB49_93:                              ;   in Loop: Header=BB49_85 Depth=1
	s_and_b64 vcc, exec, s[6:7]
	s_cbranch_vccz .LBB49_84
; %bb.94:                               ;   in Loop: Header=BB49_85 Depth=1
	s_lshl_b32 s6, s19, 2
	s_add_i32 s6, s6, 0
.LBB49_95:                              ;   Parent Loop BB49_85 Depth=1
                                        ; =>  This Inner Loop Header: Depth=2
	v_mov_b32_e32 v5, s6
	ds_read_b32 v5, v5
	s_add_i32 s19, s19, 1
	s_add_i32 s6, s6, 4
	s_cmp_ge_i32 s19, s14
	s_waitcnt lgkmcnt(0)
	v_cmp_gt_i32_e32 vcc, v1, v5
	s_nop 1
	v_addc_co_u32_e32 v4, vcc, 0, v4, vcc
	s_cbranch_scc0 .LBB49_95
	s_branch .LBB49_84
.LBB49_96:
	s_endpgm
	.section	.rodata,"a",@progbits
	.p2align	6, 0x0
	.amdhsa_kernel _ZN9rocsparseL41csrgemm_numeric_fill_block_per_row_kernelILj1024ELj32ELj2048ELj137ELj64Eii21rocsparse_complex_numIfEEEvT5_PKS3_S5_NS_24const_host_device_scalarIT6_EEPKT4_S5_PKS7_SB_S5_SD_S8_SB_S5_SD_SB_S5_PS7_21rocsparse_index_base_SF_SF_SF_bbb
		.amdhsa_group_segment_fixed_size 0
		.amdhsa_private_segment_fixed_size 0
		.amdhsa_kernarg_size 156
		.amdhsa_user_sgpr_count 2
		.amdhsa_user_sgpr_dispatch_ptr 0
		.amdhsa_user_sgpr_queue_ptr 0
		.amdhsa_user_sgpr_kernarg_segment_ptr 1
		.amdhsa_user_sgpr_dispatch_id 0
		.amdhsa_user_sgpr_kernarg_preload_length 0
		.amdhsa_user_sgpr_kernarg_preload_offset 0
		.amdhsa_user_sgpr_private_segment_size 0
		.amdhsa_uses_dynamic_stack 0
		.amdhsa_enable_private_segment 0
		.amdhsa_system_sgpr_workgroup_id_x 1
		.amdhsa_system_sgpr_workgroup_id_y 0
		.amdhsa_system_sgpr_workgroup_id_z 0
		.amdhsa_system_sgpr_workgroup_info 0
		.amdhsa_system_vgpr_workitem_id 0
		.amdhsa_next_free_vgpr 22
		.amdhsa_next_free_sgpr 53
		.amdhsa_accum_offset 24
		.amdhsa_reserve_vcc 1
		.amdhsa_float_round_mode_32 0
		.amdhsa_float_round_mode_16_64 0
		.amdhsa_float_denorm_mode_32 3
		.amdhsa_float_denorm_mode_16_64 3
		.amdhsa_dx10_clamp 1
		.amdhsa_ieee_mode 1
		.amdhsa_fp16_overflow 0
		.amdhsa_tg_split 0
		.amdhsa_exception_fp_ieee_invalid_op 0
		.amdhsa_exception_fp_denorm_src 0
		.amdhsa_exception_fp_ieee_div_zero 0
		.amdhsa_exception_fp_ieee_overflow 0
		.amdhsa_exception_fp_ieee_underflow 0
		.amdhsa_exception_fp_ieee_inexact 0
		.amdhsa_exception_int_div_zero 0
	.end_amdhsa_kernel
	.section	.text._ZN9rocsparseL41csrgemm_numeric_fill_block_per_row_kernelILj1024ELj32ELj2048ELj137ELj64Eii21rocsparse_complex_numIfEEEvT5_PKS3_S5_NS_24const_host_device_scalarIT6_EEPKT4_S5_PKS7_SB_S5_SD_S8_SB_S5_SD_SB_S5_PS7_21rocsparse_index_base_SF_SF_SF_bbb,"axG",@progbits,_ZN9rocsparseL41csrgemm_numeric_fill_block_per_row_kernelILj1024ELj32ELj2048ELj137ELj64Eii21rocsparse_complex_numIfEEEvT5_PKS3_S5_NS_24const_host_device_scalarIT6_EEPKT4_S5_PKS7_SB_S5_SD_S8_SB_S5_SD_SB_S5_PS7_21rocsparse_index_base_SF_SF_SF_bbb,comdat
.Lfunc_end49:
	.size	_ZN9rocsparseL41csrgemm_numeric_fill_block_per_row_kernelILj1024ELj32ELj2048ELj137ELj64Eii21rocsparse_complex_numIfEEEvT5_PKS3_S5_NS_24const_host_device_scalarIT6_EEPKT4_S5_PKS7_SB_S5_SD_S8_SB_S5_SD_SB_S5_PS7_21rocsparse_index_base_SF_SF_SF_bbb, .Lfunc_end49-_ZN9rocsparseL41csrgemm_numeric_fill_block_per_row_kernelILj1024ELj32ELj2048ELj137ELj64Eii21rocsparse_complex_numIfEEEvT5_PKS3_S5_NS_24const_host_device_scalarIT6_EEPKT4_S5_PKS7_SB_S5_SD_S8_SB_S5_SD_SB_S5_PS7_21rocsparse_index_base_SF_SF_SF_bbb
                                        ; -- End function
	.set _ZN9rocsparseL41csrgemm_numeric_fill_block_per_row_kernelILj1024ELj32ELj2048ELj137ELj64Eii21rocsparse_complex_numIfEEEvT5_PKS3_S5_NS_24const_host_device_scalarIT6_EEPKT4_S5_PKS7_SB_S5_SD_S8_SB_S5_SD_SB_S5_PS7_21rocsparse_index_base_SF_SF_SF_bbb.num_vgpr, 22
	.set _ZN9rocsparseL41csrgemm_numeric_fill_block_per_row_kernelILj1024ELj32ELj2048ELj137ELj64Eii21rocsparse_complex_numIfEEEvT5_PKS3_S5_NS_24const_host_device_scalarIT6_EEPKT4_S5_PKS7_SB_S5_SD_S8_SB_S5_SD_SB_S5_PS7_21rocsparse_index_base_SF_SF_SF_bbb.num_agpr, 0
	.set _ZN9rocsparseL41csrgemm_numeric_fill_block_per_row_kernelILj1024ELj32ELj2048ELj137ELj64Eii21rocsparse_complex_numIfEEEvT5_PKS3_S5_NS_24const_host_device_scalarIT6_EEPKT4_S5_PKS7_SB_S5_SD_S8_SB_S5_SD_SB_S5_PS7_21rocsparse_index_base_SF_SF_SF_bbb.numbered_sgpr, 53
	.set _ZN9rocsparseL41csrgemm_numeric_fill_block_per_row_kernelILj1024ELj32ELj2048ELj137ELj64Eii21rocsparse_complex_numIfEEEvT5_PKS3_S5_NS_24const_host_device_scalarIT6_EEPKT4_S5_PKS7_SB_S5_SD_S8_SB_S5_SD_SB_S5_PS7_21rocsparse_index_base_SF_SF_SF_bbb.num_named_barrier, 0
	.set _ZN9rocsparseL41csrgemm_numeric_fill_block_per_row_kernelILj1024ELj32ELj2048ELj137ELj64Eii21rocsparse_complex_numIfEEEvT5_PKS3_S5_NS_24const_host_device_scalarIT6_EEPKT4_S5_PKS7_SB_S5_SD_S8_SB_S5_SD_SB_S5_PS7_21rocsparse_index_base_SF_SF_SF_bbb.private_seg_size, 0
	.set _ZN9rocsparseL41csrgemm_numeric_fill_block_per_row_kernelILj1024ELj32ELj2048ELj137ELj64Eii21rocsparse_complex_numIfEEEvT5_PKS3_S5_NS_24const_host_device_scalarIT6_EEPKT4_S5_PKS7_SB_S5_SD_S8_SB_S5_SD_SB_S5_PS7_21rocsparse_index_base_SF_SF_SF_bbb.uses_vcc, 1
	.set _ZN9rocsparseL41csrgemm_numeric_fill_block_per_row_kernelILj1024ELj32ELj2048ELj137ELj64Eii21rocsparse_complex_numIfEEEvT5_PKS3_S5_NS_24const_host_device_scalarIT6_EEPKT4_S5_PKS7_SB_S5_SD_S8_SB_S5_SD_SB_S5_PS7_21rocsparse_index_base_SF_SF_SF_bbb.uses_flat_scratch, 0
	.set _ZN9rocsparseL41csrgemm_numeric_fill_block_per_row_kernelILj1024ELj32ELj2048ELj137ELj64Eii21rocsparse_complex_numIfEEEvT5_PKS3_S5_NS_24const_host_device_scalarIT6_EEPKT4_S5_PKS7_SB_S5_SD_S8_SB_S5_SD_SB_S5_PS7_21rocsparse_index_base_SF_SF_SF_bbb.has_dyn_sized_stack, 0
	.set _ZN9rocsparseL41csrgemm_numeric_fill_block_per_row_kernelILj1024ELj32ELj2048ELj137ELj64Eii21rocsparse_complex_numIfEEEvT5_PKS3_S5_NS_24const_host_device_scalarIT6_EEPKT4_S5_PKS7_SB_S5_SD_S8_SB_S5_SD_SB_S5_PS7_21rocsparse_index_base_SF_SF_SF_bbb.has_recursion, 0
	.set _ZN9rocsparseL41csrgemm_numeric_fill_block_per_row_kernelILj1024ELj32ELj2048ELj137ELj64Eii21rocsparse_complex_numIfEEEvT5_PKS3_S5_NS_24const_host_device_scalarIT6_EEPKT4_S5_PKS7_SB_S5_SD_S8_SB_S5_SD_SB_S5_PS7_21rocsparse_index_base_SF_SF_SF_bbb.has_indirect_call, 0
	.section	.AMDGPU.csdata,"",@progbits
; Kernel info:
; codeLenInByte = 3332
; TotalNumSgprs: 59
; NumVgprs: 22
; NumAgprs: 0
; TotalNumVgprs: 22
; ScratchSize: 0
; MemoryBound: 0
; FloatMode: 240
; IeeeMode: 1
; LDSByteSize: 0 bytes/workgroup (compile time only)
; SGPRBlocks: 7
; VGPRBlocks: 2
; NumSGPRsForWavesPerEU: 59
; NumVGPRsForWavesPerEU: 22
; AccumOffset: 24
; Occupancy: 8
; WaveLimiterHint : 1
; COMPUTE_PGM_RSRC2:SCRATCH_EN: 0
; COMPUTE_PGM_RSRC2:USER_SGPR: 2
; COMPUTE_PGM_RSRC2:TRAP_HANDLER: 0
; COMPUTE_PGM_RSRC2:TGID_X_EN: 1
; COMPUTE_PGM_RSRC2:TGID_Y_EN: 0
; COMPUTE_PGM_RSRC2:TGID_Z_EN: 0
; COMPUTE_PGM_RSRC2:TIDIG_COMP_CNT: 0
; COMPUTE_PGM_RSRC3_GFX90A:ACCUM_OFFSET: 5
; COMPUTE_PGM_RSRC3_GFX90A:TG_SPLIT: 0
	.section	.text._ZN9rocsparseL41csrgemm_numeric_fill_block_per_row_kernelILj1024ELj64ELj4096ELj137ELj32Eii21rocsparse_complex_numIfEEEvT5_PKS3_S5_NS_24const_host_device_scalarIT6_EEPKT4_S5_PKS7_SB_S5_SD_S8_SB_S5_SD_SB_S5_PS7_21rocsparse_index_base_SF_SF_SF_bbb,"axG",@progbits,_ZN9rocsparseL41csrgemm_numeric_fill_block_per_row_kernelILj1024ELj64ELj4096ELj137ELj32Eii21rocsparse_complex_numIfEEEvT5_PKS3_S5_NS_24const_host_device_scalarIT6_EEPKT4_S5_PKS7_SB_S5_SD_S8_SB_S5_SD_SB_S5_PS7_21rocsparse_index_base_SF_SF_SF_bbb,comdat
	.globl	_ZN9rocsparseL41csrgemm_numeric_fill_block_per_row_kernelILj1024ELj64ELj4096ELj137ELj32Eii21rocsparse_complex_numIfEEEvT5_PKS3_S5_NS_24const_host_device_scalarIT6_EEPKT4_S5_PKS7_SB_S5_SD_S8_SB_S5_SD_SB_S5_PS7_21rocsparse_index_base_SF_SF_SF_bbb ; -- Begin function _ZN9rocsparseL41csrgemm_numeric_fill_block_per_row_kernelILj1024ELj64ELj4096ELj137ELj32Eii21rocsparse_complex_numIfEEEvT5_PKS3_S5_NS_24const_host_device_scalarIT6_EEPKT4_S5_PKS7_SB_S5_SD_S8_SB_S5_SD_SB_S5_PS7_21rocsparse_index_base_SF_SF_SF_bbb
	.p2align	8
	.type	_ZN9rocsparseL41csrgemm_numeric_fill_block_per_row_kernelILj1024ELj64ELj4096ELj137ELj32Eii21rocsparse_complex_numIfEEEvT5_PKS3_S5_NS_24const_host_device_scalarIT6_EEPKT4_S5_PKS7_SB_S5_SD_S8_SB_S5_SD_SB_S5_PS7_21rocsparse_index_base_SF_SF_SF_bbb,@function
_ZN9rocsparseL41csrgemm_numeric_fill_block_per_row_kernelILj1024ELj64ELj4096ELj137ELj32Eii21rocsparse_complex_numIfEEEvT5_PKS3_S5_NS_24const_host_device_scalarIT6_EEPKT4_S5_PKS7_SB_S5_SD_S8_SB_S5_SD_SB_S5_PS7_21rocsparse_index_base_SF_SF_SF_bbb: ; @_ZN9rocsparseL41csrgemm_numeric_fill_block_per_row_kernelILj1024ELj64ELj4096ELj137ELj32Eii21rocsparse_complex_numIfEEEvT5_PKS3_S5_NS_24const_host_device_scalarIT6_EEPKT4_S5_PKS7_SB_S5_SD_S8_SB_S5_SD_SB_S5_PS7_21rocsparse_index_base_SF_SF_SF_bbb
; %bb.0:
	s_load_dwordx2 s[70:71], s[0:1], 0x70
	s_load_dwordx4 s[24:27], s[0:1], 0x60
	s_load_dwordx8 s[8:15], s[0:1], 0x40
	s_load_dword s3, s[0:1], 0x98
	s_load_dwordx4 s[28:31], s[0:1], 0x8
	s_load_dwordx8 s[16:23], s[0:1], 0x20
	s_load_dwordx2 s[68:69], s[0:1], 0x80
	s_load_dwordx4 s[64:67], s[0:1], 0x88
	s_waitcnt lgkmcnt(0)
	s_bitcmp1_b32 s3, 0
	s_cselect_b64 s[36:37], -1, 0
	s_bitcmp1_b32 s3, 16
	s_cselect_b64 s[4:5], -1, 0
	s_xor_b64 s[4:5], s[4:5], -1
	v_cndmask_b32_e64 v1, 0, 1, s[4:5]
	s_mov_b32 s7, 0
	s_bitcmp0_b32 s3, 0
	v_cmp_ne_u32_e64 s[4:5], 1, v1
	s_mov_b32 s42, 0
	s_cbranch_scc1 .LBB50_5
; %bb.1:
	s_load_dwordx2 s[6:7], s[0:1], 0x18
	s_and_b64 vcc, exec, s[4:5]
	s_waitcnt lgkmcnt(0)
	s_mov_b32 s42, s6
	s_cbranch_vccnz .LBB50_3
; %bb.2:
	s_load_dword s42, s[6:7], 0x0
.LBB50_3:
	s_and_b64 vcc, exec, s[4:5]
	s_cbranch_vccnz .LBB50_5
; %bb.4:
	s_load_dword s7, s[6:7], 0x4
.LBB50_5:
	s_bitcmp1_b32 s3, 8
	s_cselect_b64 s[34:35], -1, 0
	s_bfe_u32 s3, s3, 0x10008
	s_mov_b32 s40, 0
	s_cmp_eq_u32 s3, 0
	s_mov_b32 s41, 0
	s_cbranch_scc1 .LBB50_11
; %bb.6:
	s_and_b64 vcc, exec, s[4:5]
	s_mov_b32 s40, s12
	s_cbranch_vccnz .LBB50_8
; %bb.7:
	s_load_dword s40, s[12:13], 0x0
.LBB50_8:
	s_and_b64 vcc, exec, s[4:5]
	s_cbranch_vccnz .LBB50_10
; %bb.9:
	s_load_dword s13, s[12:13], 0x4
.LBB50_10:
	s_waitcnt lgkmcnt(0)
	s_mov_b32 s41, s13
.LBB50_11:
	s_load_dword s33, s[0:1], 0x0
	v_lshl_add_u32 v1, v0, 3, 0
	v_add_u32_e32 v1, 0x4000, v1
	v_or_b32_e32 v8, 0xfffffc00, v0
	v_lshl_add_u32 v9, v0, 2, 0
	s_mov_b64 s[0:1], 0
	s_waitcnt lgkmcnt(0)
	v_mov_b32_e32 v6, s33
	v_mov_b32_e32 v2, 0
	s_movk_i32 s3, 0xbff
	v_mov_b32_e32 v3, v9
	v_mov_b32_e32 v4, v8
	;; [unrolled: 1-line block ×3, first 2 shown]
.LBB50_12:                              ; =>This Inner Loop Header: Depth=1
	v_add_u32_e32 v4, 0x400, v4
	v_cmp_lt_u32_e32 vcc, s3, v4
	ds_write_b32 v3, v6
	ds_write2_b32 v5, v2, v2 offset1:1
	v_add_u32_e32 v5, 0x2000, v5
	s_or_b64 s[0:1], vcc, s[0:1]
	v_add_u32_e32 v3, 0x1000, v3
	s_andn2_b64 exec, exec, s[0:1]
	s_cbranch_execnz .LBB50_12
; %bb.13:
	s_or_b64 exec, exec, s[0:1]
	s_waitcnt lgkmcnt(0)
	s_barrier
	s_load_dword s0, s[28:29], 0x0
	s_mov_b32 s1, 0
	s_waitcnt lgkmcnt(0)
	s_add_i32 s0, s0, s2
	s_lshl_b64 s[0:1], s[0:1], 2
	s_add_u32 s0, s30, s0
	s_addc_u32 s1, s31, s1
	s_load_dword s72, s[0:1], 0x0
	s_and_b64 vcc, exec, s[36:37]
	s_cbranch_vccz .LBB50_31
; %bb.14:
	s_waitcnt lgkmcnt(0)
	s_ashr_i32 s73, s72, 31
	s_lshl_b64 s[0:1], s[72:73], 2
	s_add_u32 s0, s16, s0
	s_addc_u32 s1, s17, s1
	s_load_dwordx2 s[2:3], s[0:1], 0x0
	v_lshrrev_b32_e32 v2, 6, v0
	v_subrev_u32_e32 v2, s64, v2
	s_waitcnt lgkmcnt(0)
	s_sub_i32 s6, s3, s64
	v_add_u32_e32 v2, s2, v2
	v_cmp_gt_i32_e32 vcc, s6, v2
	s_and_saveexec_b64 s[0:1], vcc
	s_cbranch_execz .LBB50_30
; %bb.15:
	v_and_b32_e32 v3, 63, v0
	v_subrev_u32_e32 v10, s65, v3
	s_mov_b64 s[2:3], 0
	s_movk_i32 s43, 0x89
	s_branch .LBB50_17
.LBB50_16:                              ;   in Loop: Header=BB50_17 Depth=1
	s_or_b64 exec, exec, s[4:5]
	v_add_u32_e32 v2, 16, v2
	v_cmp_le_i32_e32 vcc, s6, v2
	s_or_b64 s[2:3], vcc, s[2:3]
	s_andn2_b64 exec, exec, s[2:3]
	s_cbranch_execz .LBB50_30
.LBB50_17:                              ; =>This Loop Header: Depth=1
                                        ;     Child Loop BB50_21 Depth 2
                                        ;       Child Loop BB50_24 Depth 3
	v_ashrrev_i32_e32 v3, 31, v2
	v_lshl_add_u64 v[4:5], v[2:3], 2, s[18:19]
	global_load_dword v4, v[4:5], off
	s_waitcnt vmcnt(0)
	v_subrev_u32_e32 v4, s64, v4
	v_ashrrev_i32_e32 v5, 31, v4
	v_lshl_add_u64 v[4:5], v[4:5], 2, s[22:23]
	global_load_dwordx2 v[4:5], v[4:5], off
	s_waitcnt vmcnt(0)
	v_subrev_u32_e32 v11, s65, v5
	v_add_u32_e32 v4, v4, v10
	v_cmp_lt_i32_e32 vcc, v4, v11
	s_and_saveexec_b64 s[4:5], vcc
	s_cbranch_execz .LBB50_16
; %bb.18:                               ;   in Loop: Header=BB50_17 Depth=1
	v_lshl_add_u64 v[6:7], v[2:3], 3, s[20:21]
	global_load_dwordx2 v[6:7], v[6:7], off
	s_mov_b64 s[12:13], 0
	s_waitcnt vmcnt(0)
	v_mul_f32_e64 v3, v7, -s7
	v_mul_f32_e32 v12, s42, v7
	v_fmac_f32_e32 v3, s42, v6
	v_fmac_f32_e32 v12, s7, v6
	s_branch .LBB50_21
.LBB50_19:                              ;   in Loop: Header=BB50_21 Depth=2
	s_or_b64 exec, exec, s[28:29]
.LBB50_20:                              ;   in Loop: Header=BB50_21 Depth=2
	s_or_b64 exec, exec, s[16:17]
	s_waitcnt vmcnt(0)
	v_mul_f32_e64 v13, v7, -v12
	v_fmac_f32_e32 v13, v3, v6
	v_mul_f32_e32 v7, v3, v7
	v_lshl_add_u32 v5, v5, 3, 0
	v_fmac_f32_e32 v7, v12, v6
	ds_add_f32 v5, v13 offset:16384
	ds_add_f32 v5, v7 offset:16388
	v_add_u32_e32 v4, 64, v4
	v_cmp_ge_i32_e32 vcc, v4, v11
	s_or_b64 s[12:13], vcc, s[12:13]
	s_andn2_b64 exec, exec, s[12:13]
	s_cbranch_execz .LBB50_16
.LBB50_21:                              ;   Parent Loop BB50_17 Depth=1
                                        ; =>  This Loop Header: Depth=2
                                        ;       Child Loop BB50_24 Depth 3
	v_ashrrev_i32_e32 v5, 31, v4
	v_lshl_add_u64 v[6:7], v[4:5], 2, s[8:9]
	global_load_dword v13, v[6:7], off
	v_lshl_add_u64 v[6:7], v[4:5], 3, s[10:11]
	global_load_dwordx2 v[6:7], v[6:7], off
	s_waitcnt vmcnt(1)
	v_subrev_u32_e32 v13, s65, v13
	v_mul_lo_u32 v5, v13, s43
	v_and_b32_e32 v5, 0xfff, v5
	v_lshl_add_u32 v14, v5, 2, 0
	ds_read_b32 v15, v14
	s_waitcnt lgkmcnt(0)
	v_cmp_ne_u32_e32 vcc, v15, v13
	s_and_saveexec_b64 s[16:17], vcc
	s_cbranch_execz .LBB50_20
; %bb.22:                               ;   in Loop: Header=BB50_21 Depth=2
	s_mov_b64 s[28:29], 0
	s_branch .LBB50_24
.LBB50_23:                              ;   in Loop: Header=BB50_24 Depth=3
	s_or_b64 exec, exec, s[38:39]
	s_and_b64 s[30:31], exec, s[36:37]
	s_or_b64 s[28:29], s[30:31], s[28:29]
	s_andn2_b64 exec, exec, s[28:29]
	s_cbranch_execz .LBB50_19
.LBB50_24:                              ;   Parent Loop BB50_17 Depth=1
                                        ;     Parent Loop BB50_21 Depth=2
                                        ; =>    This Inner Loop Header: Depth=3
	v_cmp_ne_u32_e32 vcc, s33, v15
	s_mov_b64 s[30:31], 0
	s_and_saveexec_b64 s[36:37], vcc
	s_xor_b64 s[36:37], exec, s[36:37]
	s_cbranch_execz .LBB50_26
; %bb.25:                               ;   in Loop: Header=BB50_24 Depth=3
	v_add_u32_e32 v5, 1, v5
	s_mov_b64 s[30:31], exec
	v_and_b32_e32 v5, 0xfff, v5
                                        ; implicit-def: $vgpr14
	s_andn2_saveexec_b64 s[36:37], s[36:37]
	s_cbranch_execz .LBB50_28
	s_branch .LBB50_27
.LBB50_26:                              ;   in Loop: Header=BB50_24 Depth=3
	s_andn2_saveexec_b64 s[36:37], s[36:37]
	s_cbranch_execz .LBB50_28
.LBB50_27:                              ;   in Loop: Header=BB50_24 Depth=3
	v_mov_b32_e32 v15, s33
	ds_cmpst_rtn_b32 v14, v14, v15, v13
	s_andn2_b64 s[30:31], s[30:31], exec
	s_waitcnt lgkmcnt(0)
	v_cmp_ne_u32_e32 vcc, s33, v14
	s_and_b64 s[38:39], vcc, exec
	s_or_b64 s[30:31], s[30:31], s[38:39]
.LBB50_28:                              ;   in Loop: Header=BB50_24 Depth=3
	s_or_b64 exec, exec, s[36:37]
	s_mov_b64 s[36:37], -1
                                        ; implicit-def: $vgpr14
                                        ; implicit-def: $vgpr15
	s_and_saveexec_b64 s[38:39], s[30:31]
	s_cbranch_execz .LBB50_23
; %bb.29:                               ;   in Loop: Header=BB50_24 Depth=3
	v_lshl_add_u32 v14, v5, 2, 0
	ds_read_b32 v15, v14
	s_waitcnt lgkmcnt(0)
	v_cmp_eq_u32_e32 vcc, v15, v13
	s_orn2_b64 s[36:37], vcc, exec
	s_branch .LBB50_23
.LBB50_30:
	s_or_b64 exec, exec, s[0:1]
.LBB50_31:
	s_andn2_b64 vcc, exec, s[34:35]
	s_cbranch_vccnz .LBB50_46
; %bb.32:
	s_waitcnt lgkmcnt(0)
	s_ashr_i32 s73, s72, 31
	s_lshl_b64 s[0:1], s[72:73], 2
	s_add_u32 s0, s14, s0
	s_addc_u32 s1, s15, s1
	s_load_dwordx2 s[2:3], s[0:1], 0x0
	v_subrev_u32_e32 v2, s67, v0
	s_waitcnt lgkmcnt(0)
	s_sub_i32 s14, s3, s67
	v_add_u32_e32 v2, s2, v2
	v_cmp_gt_i32_e32 vcc, s14, v2
	s_and_saveexec_b64 s[0:1], vcc
	s_cbranch_execz .LBB50_45
; %bb.33:
	s_mov_b64 s[2:3], 0
	s_movk_i32 s15, 0x89
	s_branch .LBB50_36
.LBB50_34:                              ;   in Loop: Header=BB50_36 Depth=1
	s_or_b64 exec, exec, s[6:7]
.LBB50_35:                              ;   in Loop: Header=BB50_36 Depth=1
	s_or_b64 exec, exec, s[4:5]
	s_waitcnt vmcnt(0)
	v_mul_f32_e64 v6, v5, -s41
	v_fmac_f32_e32 v6, s40, v4
	v_mul_f32_e32 v5, s40, v5
	v_lshl_add_u32 v3, v3, 3, 0
	v_fmac_f32_e32 v5, s41, v4
	ds_add_f32 v3, v6 offset:16384
	ds_add_f32 v3, v5 offset:16388
	v_add_u32_e32 v2, 0x400, v2
	v_cmp_le_i32_e32 vcc, s14, v2
	s_or_b64 s[2:3], vcc, s[2:3]
	s_andn2_b64 exec, exec, s[2:3]
	s_cbranch_execz .LBB50_45
.LBB50_36:                              ; =>This Loop Header: Depth=1
                                        ;     Child Loop BB50_39 Depth 2
	v_ashrrev_i32_e32 v3, 31, v2
	v_lshl_add_u64 v[4:5], v[2:3], 2, s[24:25]
	global_load_dword v6, v[4:5], off
	v_lshl_add_u64 v[4:5], v[2:3], 3, s[26:27]
	global_load_dwordx2 v[4:5], v[4:5], off
	s_waitcnt vmcnt(1)
	v_subrev_u32_e32 v6, s67, v6
	v_mul_lo_u32 v3, v6, s15
	v_and_b32_e32 v3, 0xfff, v3
	v_lshl_add_u32 v7, v3, 2, 0
	ds_read_b32 v10, v7
	s_waitcnt lgkmcnt(0)
	v_cmp_ne_u32_e32 vcc, v10, v6
	s_and_saveexec_b64 s[4:5], vcc
	s_cbranch_execz .LBB50_35
; %bb.37:                               ;   in Loop: Header=BB50_36 Depth=1
	s_mov_b64 s[6:7], 0
	s_branch .LBB50_39
.LBB50_38:                              ;   in Loop: Header=BB50_39 Depth=2
	s_or_b64 exec, exec, s[12:13]
	s_and_b64 s[8:9], exec, s[10:11]
	s_or_b64 s[6:7], s[8:9], s[6:7]
	s_andn2_b64 exec, exec, s[6:7]
	s_cbranch_execz .LBB50_34
.LBB50_39:                              ;   Parent Loop BB50_36 Depth=1
                                        ; =>  This Inner Loop Header: Depth=2
	v_cmp_ne_u32_e32 vcc, s33, v10
	s_mov_b64 s[8:9], 0
	s_and_saveexec_b64 s[10:11], vcc
	s_xor_b64 s[10:11], exec, s[10:11]
	s_cbranch_execz .LBB50_41
; %bb.40:                               ;   in Loop: Header=BB50_39 Depth=2
	v_add_u32_e32 v3, 1, v3
	s_mov_b64 s[8:9], exec
	v_and_b32_e32 v3, 0xfff, v3
                                        ; implicit-def: $vgpr7
	s_andn2_saveexec_b64 s[10:11], s[10:11]
	s_cbranch_execz .LBB50_43
	s_branch .LBB50_42
.LBB50_41:                              ;   in Loop: Header=BB50_39 Depth=2
	s_andn2_saveexec_b64 s[10:11], s[10:11]
	s_cbranch_execz .LBB50_43
.LBB50_42:                              ;   in Loop: Header=BB50_39 Depth=2
	v_mov_b32_e32 v10, s33
	ds_cmpst_rtn_b32 v7, v7, v10, v6
	s_andn2_b64 s[8:9], s[8:9], exec
	s_waitcnt lgkmcnt(0)
	v_cmp_ne_u32_e32 vcc, s33, v7
	s_and_b64 s[12:13], vcc, exec
	s_or_b64 s[8:9], s[8:9], s[12:13]
.LBB50_43:                              ;   in Loop: Header=BB50_39 Depth=2
	s_or_b64 exec, exec, s[10:11]
	s_mov_b64 s[10:11], -1
                                        ; implicit-def: $vgpr7
                                        ; implicit-def: $vgpr10
	s_and_saveexec_b64 s[12:13], s[8:9]
	s_cbranch_execz .LBB50_38
; %bb.44:                               ;   in Loop: Header=BB50_39 Depth=2
	v_lshl_add_u32 v7, v3, 2, 0
	ds_read_b32 v10, v7
	s_waitcnt lgkmcnt(0)
	v_cmp_eq_u32_e32 vcc, v10, v6
	s_orn2_b64 s[10:11], vcc, exec
	s_branch .LBB50_38
.LBB50_45:
	s_or_b64 exec, exec, s[0:1]
.LBB50_46:
	v_mbcnt_lo_u32_b32 v2, -1, 0
	v_mbcnt_hi_u32_b32 v2, -1, v2
	v_lshrrev_b32_e32 v4, 3, v0
	v_sub_u32_e32 v2, 63, v2
	v_and_b32_e32 v4, 0x7c, v4
	s_movk_i32 s0, 0x3ff
	s_movk_i32 s4, 0x5f
	;; [unrolled: 1-line block ×30, first 2 shown]
	v_mov_b32_e32 v6, 0
	v_lshrrev_b64 v[2:3], v2, -1
	v_add_u32_e32 v7, 0, v4
	v_cmp_eq_u32_e32 vcc, s0, v0
	v_cmp_lt_u32_e64 s[0:1], 31, v0
	v_cmp_lt_u32_e64 s[2:3], 63, v0
	;; [unrolled: 1-line block ×31, first 2 shown]
	s_mov_b64 s[74:75], 0
	s_movk_i32 s67, 0xbff
	v_mov_b32_e32 v10, 0
	s_waitcnt lgkmcnt(0)
	s_barrier
	s_branch .LBB50_48
.LBB50_47:                              ;   in Loop: Header=BB50_48 Depth=1
	s_or_b64 exec, exec, s[64:65]
	s_waitcnt lgkmcnt(0)
	s_barrier
	ds_read_b32 v4, v6 offset:49276
	v_add_u32_e32 v8, 0x400, v8
	v_cmp_lt_u32_e64 s[64:65], s67, v8
	v_add_u32_e32 v1, 0x2000, v1
	s_or_b64 s[74:75], s[64:65], s[74:75]
	s_waitcnt lgkmcnt(0)
	v_add_u32_e32 v10, v4, v10
	v_add_u32_e32 v9, 0x1000, v9
	s_andn2_b64 exec, exec, s[74:75]
	s_cbranch_execz .LBB50_114
.LBB50_48:                              ; =>This Inner Loop Header: Depth=1
	ds_read_b32 v11, v9
	ds_read2_b32 v[4:5], v1 offset1:1
	s_waitcnt lgkmcnt(0)
	s_barrier
	v_cmp_gt_i32_e64 s[64:65], s33, v11
	s_bcnt1_i32_b64 s73, s[64:65]
	s_nop 0
	v_and_b32_e32 v13, s64, v2
	v_and_b32_e32 v12, s65, v3
	v_bcnt_u32_b32 v13, v13, 0
	v_bcnt_u32_b32 v12, v12, v13
	v_mov_b32_e32 v13, s73
	ds_write_b32 v7, v13 offset:49152
	s_waitcnt lgkmcnt(0)
	s_barrier
	s_and_saveexec_b64 s[76:77], s[0:1]
	s_cbranch_execz .LBB50_81
; %bb.49:                               ;   in Loop: Header=BB50_48 Depth=1
	ds_read_b32 v13, v6 offset:49152
	s_waitcnt lgkmcnt(0)
	v_add_u32_e32 v12, v13, v12
	s_or_b64 exec, exec, s[76:77]
	s_and_saveexec_b64 s[76:77], s[2:3]
	s_cbranch_execnz .LBB50_82
.LBB50_50:                              ;   in Loop: Header=BB50_48 Depth=1
	s_or_b64 exec, exec, s[76:77]
	s_and_saveexec_b64 s[76:77], s[4:5]
	s_cbranch_execz .LBB50_83
.LBB50_51:                              ;   in Loop: Header=BB50_48 Depth=1
	ds_read_b32 v13, v6 offset:49160
	s_waitcnt lgkmcnt(0)
	v_add_u32_e32 v12, v13, v12
	s_or_b64 exec, exec, s[76:77]
	s_and_saveexec_b64 s[76:77], s[6:7]
	s_cbranch_execnz .LBB50_84
.LBB50_52:                              ;   in Loop: Header=BB50_48 Depth=1
	s_or_b64 exec, exec, s[76:77]
	s_and_saveexec_b64 s[76:77], s[8:9]
	s_cbranch_execz .LBB50_85
.LBB50_53:                              ;   in Loop: Header=BB50_48 Depth=1
	ds_read_b32 v13, v6 offset:49168
	s_waitcnt lgkmcnt(0)
	v_add_u32_e32 v12, v13, v12
	s_or_b64 exec, exec, s[76:77]
	s_and_saveexec_b64 s[76:77], s[10:11]
	s_cbranch_execnz .LBB50_86
.LBB50_54:                              ;   in Loop: Header=BB50_48 Depth=1
	s_or_b64 exec, exec, s[76:77]
	s_and_saveexec_b64 s[76:77], s[12:13]
	s_cbranch_execz .LBB50_87
.LBB50_55:                              ;   in Loop: Header=BB50_48 Depth=1
	ds_read_b32 v13, v6 offset:49176
	s_waitcnt lgkmcnt(0)
	v_add_u32_e32 v12, v13, v12
	s_or_b64 exec, exec, s[76:77]
	s_and_saveexec_b64 s[76:77], s[14:15]
	s_cbranch_execnz .LBB50_88
.LBB50_56:                              ;   in Loop: Header=BB50_48 Depth=1
	s_or_b64 exec, exec, s[76:77]
	s_and_saveexec_b64 s[76:77], s[16:17]
	s_cbranch_execz .LBB50_89
.LBB50_57:                              ;   in Loop: Header=BB50_48 Depth=1
	ds_read_b32 v13, v6 offset:49184
	s_waitcnt lgkmcnt(0)
	v_add_u32_e32 v12, v13, v12
	s_or_b64 exec, exec, s[76:77]
	s_and_saveexec_b64 s[76:77], s[18:19]
	s_cbranch_execnz .LBB50_90
.LBB50_58:                              ;   in Loop: Header=BB50_48 Depth=1
	s_or_b64 exec, exec, s[76:77]
	s_and_saveexec_b64 s[76:77], s[20:21]
	s_cbranch_execz .LBB50_91
.LBB50_59:                              ;   in Loop: Header=BB50_48 Depth=1
	ds_read_b32 v13, v6 offset:49192
	s_waitcnt lgkmcnt(0)
	v_add_u32_e32 v12, v13, v12
	s_or_b64 exec, exec, s[76:77]
	s_and_saveexec_b64 s[76:77], s[22:23]
	s_cbranch_execnz .LBB50_92
.LBB50_60:                              ;   in Loop: Header=BB50_48 Depth=1
	s_or_b64 exec, exec, s[76:77]
	s_and_saveexec_b64 s[76:77], s[24:25]
	s_cbranch_execz .LBB50_93
.LBB50_61:                              ;   in Loop: Header=BB50_48 Depth=1
	ds_read_b32 v13, v6 offset:49200
	s_waitcnt lgkmcnt(0)
	v_add_u32_e32 v12, v13, v12
	s_or_b64 exec, exec, s[76:77]
	s_and_saveexec_b64 s[76:77], s[26:27]
	s_cbranch_execnz .LBB50_94
.LBB50_62:                              ;   in Loop: Header=BB50_48 Depth=1
	s_or_b64 exec, exec, s[76:77]
	s_and_saveexec_b64 s[76:77], s[28:29]
	s_cbranch_execz .LBB50_95
.LBB50_63:                              ;   in Loop: Header=BB50_48 Depth=1
	ds_read_b32 v13, v6 offset:49208
	s_waitcnt lgkmcnt(0)
	v_add_u32_e32 v12, v13, v12
	s_or_b64 exec, exec, s[76:77]
	s_and_saveexec_b64 s[76:77], s[30:31]
	s_cbranch_execnz .LBB50_96
.LBB50_64:                              ;   in Loop: Header=BB50_48 Depth=1
	s_or_b64 exec, exec, s[76:77]
	s_and_saveexec_b64 s[76:77], s[34:35]
	s_cbranch_execz .LBB50_97
.LBB50_65:                              ;   in Loop: Header=BB50_48 Depth=1
	ds_read_b32 v13, v6 offset:49216
	s_waitcnt lgkmcnt(0)
	v_add_u32_e32 v12, v13, v12
	s_or_b64 exec, exec, s[76:77]
	s_and_saveexec_b64 s[76:77], s[36:37]
	s_cbranch_execnz .LBB50_98
.LBB50_66:                              ;   in Loop: Header=BB50_48 Depth=1
	s_or_b64 exec, exec, s[76:77]
	s_and_saveexec_b64 s[76:77], s[38:39]
	s_cbranch_execz .LBB50_99
.LBB50_67:                              ;   in Loop: Header=BB50_48 Depth=1
	ds_read_b32 v13, v6 offset:49224
	s_waitcnt lgkmcnt(0)
	v_add_u32_e32 v12, v13, v12
	s_or_b64 exec, exec, s[76:77]
	s_and_saveexec_b64 s[76:77], s[40:41]
	s_cbranch_execnz .LBB50_100
.LBB50_68:                              ;   in Loop: Header=BB50_48 Depth=1
	s_or_b64 exec, exec, s[76:77]
	s_and_saveexec_b64 s[76:77], s[42:43]
	s_cbranch_execz .LBB50_101
.LBB50_69:                              ;   in Loop: Header=BB50_48 Depth=1
	ds_read_b32 v13, v6 offset:49232
	s_waitcnt lgkmcnt(0)
	v_add_u32_e32 v12, v13, v12
	s_or_b64 exec, exec, s[76:77]
	s_and_saveexec_b64 s[76:77], s[44:45]
	s_cbranch_execnz .LBB50_102
.LBB50_70:                              ;   in Loop: Header=BB50_48 Depth=1
	s_or_b64 exec, exec, s[76:77]
	s_and_saveexec_b64 s[76:77], s[46:47]
	s_cbranch_execz .LBB50_103
.LBB50_71:                              ;   in Loop: Header=BB50_48 Depth=1
	ds_read_b32 v13, v6 offset:49240
	s_waitcnt lgkmcnt(0)
	v_add_u32_e32 v12, v13, v12
	s_or_b64 exec, exec, s[76:77]
	s_and_saveexec_b64 s[76:77], s[48:49]
	s_cbranch_execnz .LBB50_104
.LBB50_72:                              ;   in Loop: Header=BB50_48 Depth=1
	s_or_b64 exec, exec, s[76:77]
	s_and_saveexec_b64 s[76:77], s[50:51]
	s_cbranch_execz .LBB50_105
.LBB50_73:                              ;   in Loop: Header=BB50_48 Depth=1
	ds_read_b32 v13, v6 offset:49248
	s_waitcnt lgkmcnt(0)
	v_add_u32_e32 v12, v13, v12
	s_or_b64 exec, exec, s[76:77]
	s_and_saveexec_b64 s[76:77], s[52:53]
	s_cbranch_execnz .LBB50_106
.LBB50_74:                              ;   in Loop: Header=BB50_48 Depth=1
	s_or_b64 exec, exec, s[76:77]
	s_and_saveexec_b64 s[76:77], s[54:55]
	s_cbranch_execz .LBB50_107
.LBB50_75:                              ;   in Loop: Header=BB50_48 Depth=1
	ds_read_b32 v13, v6 offset:49256
	s_waitcnt lgkmcnt(0)
	v_add_u32_e32 v12, v13, v12
	s_or_b64 exec, exec, s[76:77]
	s_and_saveexec_b64 s[76:77], s[56:57]
	s_cbranch_execnz .LBB50_108
.LBB50_76:                              ;   in Loop: Header=BB50_48 Depth=1
	s_or_b64 exec, exec, s[76:77]
	s_and_saveexec_b64 s[76:77], s[58:59]
	s_cbranch_execz .LBB50_109
.LBB50_77:                              ;   in Loop: Header=BB50_48 Depth=1
	ds_read_b32 v13, v6 offset:49264
	s_waitcnt lgkmcnt(0)
	v_add_u32_e32 v12, v13, v12
	s_or_b64 exec, exec, s[76:77]
	s_and_saveexec_b64 s[76:77], s[60:61]
	s_cbranch_execnz .LBB50_110
.LBB50_78:                              ;   in Loop: Header=BB50_48 Depth=1
	s_or_b64 exec, exec, s[76:77]
	s_and_saveexec_b64 s[76:77], s[62:63]
	s_cbranch_execz .LBB50_111
.LBB50_79:                              ;   in Loop: Header=BB50_48 Depth=1
	ds_read_b32 v13, v6 offset:49272
	s_waitcnt lgkmcnt(0)
	v_add_u32_e32 v12, v13, v12
	s_or_b64 exec, exec, s[76:77]
	s_and_saveexec_b64 s[76:77], s[64:65]
	s_cbranch_execnz .LBB50_112
.LBB50_80:                              ;   in Loop: Header=BB50_48 Depth=1
	s_or_b64 exec, exec, s[76:77]
	s_and_saveexec_b64 s[64:65], vcc
	s_cbranch_execz .LBB50_47
	s_branch .LBB50_113
.LBB50_81:                              ;   in Loop: Header=BB50_48 Depth=1
	s_or_b64 exec, exec, s[76:77]
	s_and_saveexec_b64 s[76:77], s[2:3]
	s_cbranch_execz .LBB50_50
.LBB50_82:                              ;   in Loop: Header=BB50_48 Depth=1
	ds_read_b32 v13, v6 offset:49156
	s_waitcnt lgkmcnt(0)
	v_add_u32_e32 v12, v13, v12
	s_or_b64 exec, exec, s[76:77]
	s_and_saveexec_b64 s[76:77], s[4:5]
	s_cbranch_execnz .LBB50_51
.LBB50_83:                              ;   in Loop: Header=BB50_48 Depth=1
	s_or_b64 exec, exec, s[76:77]
	s_and_saveexec_b64 s[76:77], s[6:7]
	s_cbranch_execz .LBB50_52
.LBB50_84:                              ;   in Loop: Header=BB50_48 Depth=1
	ds_read_b32 v13, v6 offset:49164
	s_waitcnt lgkmcnt(0)
	v_add_u32_e32 v12, v13, v12
	s_or_b64 exec, exec, s[76:77]
	s_and_saveexec_b64 s[76:77], s[8:9]
	s_cbranch_execnz .LBB50_53
.LBB50_85:                              ;   in Loop: Header=BB50_48 Depth=1
	s_or_b64 exec, exec, s[76:77]
	s_and_saveexec_b64 s[76:77], s[10:11]
	s_cbranch_execz .LBB50_54
.LBB50_86:                              ;   in Loop: Header=BB50_48 Depth=1
	ds_read_b32 v13, v6 offset:49172
	s_waitcnt lgkmcnt(0)
	v_add_u32_e32 v12, v13, v12
	s_or_b64 exec, exec, s[76:77]
	s_and_saveexec_b64 s[76:77], s[12:13]
	s_cbranch_execnz .LBB50_55
.LBB50_87:                              ;   in Loop: Header=BB50_48 Depth=1
	s_or_b64 exec, exec, s[76:77]
	s_and_saveexec_b64 s[76:77], s[14:15]
	s_cbranch_execz .LBB50_56
.LBB50_88:                              ;   in Loop: Header=BB50_48 Depth=1
	ds_read_b32 v13, v6 offset:49180
	s_waitcnt lgkmcnt(0)
	v_add_u32_e32 v12, v13, v12
	s_or_b64 exec, exec, s[76:77]
	s_and_saveexec_b64 s[76:77], s[16:17]
	s_cbranch_execnz .LBB50_57
.LBB50_89:                              ;   in Loop: Header=BB50_48 Depth=1
	s_or_b64 exec, exec, s[76:77]
	s_and_saveexec_b64 s[76:77], s[18:19]
	s_cbranch_execz .LBB50_58
.LBB50_90:                              ;   in Loop: Header=BB50_48 Depth=1
	ds_read_b32 v13, v6 offset:49188
	s_waitcnt lgkmcnt(0)
	v_add_u32_e32 v12, v13, v12
	s_or_b64 exec, exec, s[76:77]
	s_and_saveexec_b64 s[76:77], s[20:21]
	s_cbranch_execnz .LBB50_59
.LBB50_91:                              ;   in Loop: Header=BB50_48 Depth=1
	s_or_b64 exec, exec, s[76:77]
	s_and_saveexec_b64 s[76:77], s[22:23]
	s_cbranch_execz .LBB50_60
.LBB50_92:                              ;   in Loop: Header=BB50_48 Depth=1
	ds_read_b32 v13, v6 offset:49196
	s_waitcnt lgkmcnt(0)
	v_add_u32_e32 v12, v13, v12
	s_or_b64 exec, exec, s[76:77]
	s_and_saveexec_b64 s[76:77], s[24:25]
	s_cbranch_execnz .LBB50_61
.LBB50_93:                              ;   in Loop: Header=BB50_48 Depth=1
	s_or_b64 exec, exec, s[76:77]
	s_and_saveexec_b64 s[76:77], s[26:27]
	s_cbranch_execz .LBB50_62
.LBB50_94:                              ;   in Loop: Header=BB50_48 Depth=1
	ds_read_b32 v13, v6 offset:49204
	s_waitcnt lgkmcnt(0)
	v_add_u32_e32 v12, v13, v12
	s_or_b64 exec, exec, s[76:77]
	s_and_saveexec_b64 s[76:77], s[28:29]
	s_cbranch_execnz .LBB50_63
.LBB50_95:                              ;   in Loop: Header=BB50_48 Depth=1
	s_or_b64 exec, exec, s[76:77]
	s_and_saveexec_b64 s[76:77], s[30:31]
	s_cbranch_execz .LBB50_64
.LBB50_96:                              ;   in Loop: Header=BB50_48 Depth=1
	ds_read_b32 v13, v6 offset:49212
	s_waitcnt lgkmcnt(0)
	v_add_u32_e32 v12, v13, v12
	s_or_b64 exec, exec, s[76:77]
	s_and_saveexec_b64 s[76:77], s[34:35]
	s_cbranch_execnz .LBB50_65
.LBB50_97:                              ;   in Loop: Header=BB50_48 Depth=1
	s_or_b64 exec, exec, s[76:77]
	s_and_saveexec_b64 s[76:77], s[36:37]
	s_cbranch_execz .LBB50_66
.LBB50_98:                              ;   in Loop: Header=BB50_48 Depth=1
	ds_read_b32 v13, v6 offset:49220
	s_waitcnt lgkmcnt(0)
	v_add_u32_e32 v12, v13, v12
	s_or_b64 exec, exec, s[76:77]
	s_and_saveexec_b64 s[76:77], s[38:39]
	s_cbranch_execnz .LBB50_67
.LBB50_99:                              ;   in Loop: Header=BB50_48 Depth=1
	s_or_b64 exec, exec, s[76:77]
	s_and_saveexec_b64 s[76:77], s[40:41]
	s_cbranch_execz .LBB50_68
.LBB50_100:                             ;   in Loop: Header=BB50_48 Depth=1
	ds_read_b32 v13, v6 offset:49228
	s_waitcnt lgkmcnt(0)
	v_add_u32_e32 v12, v13, v12
	s_or_b64 exec, exec, s[76:77]
	s_and_saveexec_b64 s[76:77], s[42:43]
	s_cbranch_execnz .LBB50_69
.LBB50_101:                             ;   in Loop: Header=BB50_48 Depth=1
	s_or_b64 exec, exec, s[76:77]
	s_and_saveexec_b64 s[76:77], s[44:45]
	s_cbranch_execz .LBB50_70
.LBB50_102:                             ;   in Loop: Header=BB50_48 Depth=1
	ds_read_b32 v13, v6 offset:49236
	s_waitcnt lgkmcnt(0)
	v_add_u32_e32 v12, v13, v12
	s_or_b64 exec, exec, s[76:77]
	s_and_saveexec_b64 s[76:77], s[46:47]
	s_cbranch_execnz .LBB50_71
.LBB50_103:                             ;   in Loop: Header=BB50_48 Depth=1
	s_or_b64 exec, exec, s[76:77]
	s_and_saveexec_b64 s[76:77], s[48:49]
	s_cbranch_execz .LBB50_72
.LBB50_104:                             ;   in Loop: Header=BB50_48 Depth=1
	ds_read_b32 v13, v6 offset:49244
	s_waitcnt lgkmcnt(0)
	v_add_u32_e32 v12, v13, v12
	s_or_b64 exec, exec, s[76:77]
	s_and_saveexec_b64 s[76:77], s[50:51]
	s_cbranch_execnz .LBB50_73
.LBB50_105:                             ;   in Loop: Header=BB50_48 Depth=1
	s_or_b64 exec, exec, s[76:77]
	s_and_saveexec_b64 s[76:77], s[52:53]
	s_cbranch_execz .LBB50_74
.LBB50_106:                             ;   in Loop: Header=BB50_48 Depth=1
	ds_read_b32 v13, v6 offset:49252
	s_waitcnt lgkmcnt(0)
	v_add_u32_e32 v12, v13, v12
	s_or_b64 exec, exec, s[76:77]
	s_and_saveexec_b64 s[76:77], s[54:55]
	s_cbranch_execnz .LBB50_75
.LBB50_107:                             ;   in Loop: Header=BB50_48 Depth=1
	s_or_b64 exec, exec, s[76:77]
	s_and_saveexec_b64 s[76:77], s[56:57]
	s_cbranch_execz .LBB50_76
.LBB50_108:                             ;   in Loop: Header=BB50_48 Depth=1
	ds_read_b32 v13, v6 offset:49260
	s_waitcnt lgkmcnt(0)
	v_add_u32_e32 v12, v13, v12
	s_or_b64 exec, exec, s[76:77]
	s_and_saveexec_b64 s[76:77], s[58:59]
	s_cbranch_execnz .LBB50_77
.LBB50_109:                             ;   in Loop: Header=BB50_48 Depth=1
	s_or_b64 exec, exec, s[76:77]
	s_and_saveexec_b64 s[76:77], s[60:61]
	s_cbranch_execz .LBB50_78
.LBB50_110:                             ;   in Loop: Header=BB50_48 Depth=1
	ds_read_b32 v13, v6 offset:49268
	s_waitcnt lgkmcnt(0)
	v_add_u32_e32 v12, v13, v12
	s_or_b64 exec, exec, s[76:77]
	s_and_saveexec_b64 s[76:77], s[62:63]
	s_cbranch_execnz .LBB50_79
.LBB50_111:                             ;   in Loop: Header=BB50_48 Depth=1
	s_or_b64 exec, exec, s[76:77]
	s_and_saveexec_b64 s[76:77], s[64:65]
	s_cbranch_execz .LBB50_80
.LBB50_112:                             ;   in Loop: Header=BB50_48 Depth=1
	v_add3_u32 v13, v10, -1, v12
	v_add_u32_e32 v14, v10, v12
	v_lshl_add_u32 v13, v13, 2, 0
	v_lshl_add_u32 v14, v14, 3, 0
	v_add_u32_e32 v14, 0x3ff8, v14
	ds_write_b32 v13, v11
	ds_write2_b32 v14, v4, v5 offset1:1
	s_or_b64 exec, exec, s[76:77]
	s_and_saveexec_b64 s[64:65], vcc
	s_cbranch_execz .LBB50_47
.LBB50_113:                             ;   in Loop: Header=BB50_48 Depth=1
	ds_write_b32 v6, v12 offset:49276
	s_branch .LBB50_47
.LBB50_114:
	s_or_b64 exec, exec, s[74:75]
	s_ashr_i32 s73, s72, 31
	s_lshl_b64 s[0:1], s[72:73], 2
	s_add_u32 s2, s70, s0
	s_addc_u32 s3, s71, s1
	s_load_dwordx2 s[0:1], s[2:3], 0x0
	s_waitcnt lgkmcnt(0)
	s_sub_i32 s14, s1, s0
	v_cmp_gt_i32_e32 vcc, s14, v0
	s_and_saveexec_b64 s[2:3], vcc
	s_cbranch_execz .LBB50_128
; %bb.115:
	s_sub_i32 s8, s0, s66
	v_sub_co_u32_e64 v1, s[0:1], s14, 2
	s_nop 0
	v_readfirstlane_b32 s2, v1
	s_lshr_b32 s2, s2, 1
	s_add_i32 s2, s2, 1
	s_xor_b64 s[0:1], s[0:1], -1
	s_and_b32 s15, s14, -2
	s_and_b32 s3, s2, 7
	s_and_b32 s16, s2, -8
	s_cmp_lg_u32 s3, 0
	v_cmp_lt_u32_e32 vcc, 13, v1
	s_cselect_b64 s[4:5], -1, 0
	s_cmp_lg_u32 s14, s15
	v_cndmask_b32_e64 v1, 0, 1, vcc
	s_cselect_b64 s[10:11], -1, 0
	s_lshl_b32 s17, s3, 3
	v_cndmask_b32_e64 v2, 0, 1, s[0:1]
	v_cmp_ne_u32_e64 s[2:3], 1, v1
	v_cndmask_b32_e64 v1, 0, 1, s[4:5]
	s_mov_b32 s9, 0
	s_mov_b64 s[12:13], 0
	s_movk_i32 s18, 0x4000
	v_cmp_ne_u32_e64 s[0:1], 1, v2
	v_cmp_ne_u32_e64 s[4:5], 1, v1
	s_branch .LBB50_117
.LBB50_116:                             ;   in Loop: Header=BB50_117 Depth=1
	v_add_u32_e32 v0, 0x400, v0
	v_ashrrev_i32_e32 v5, 31, v4
	v_cmp_le_i32_e32 vcc, s14, v0
	v_lshl_add_u64 v[4:5], v[4:5], 3, s[68:69]
	s_or_b64 s[12:13], vcc, s[12:13]
	s_waitcnt lgkmcnt(0)
	global_store_dwordx2 v[4:5], v[2:3], off
	s_andn2_b64 exec, exec, s[12:13]
	s_cbranch_execz .LBB50_128
.LBB50_117:                             ; =>This Loop Header: Depth=1
                                        ;     Child Loop BB50_120 Depth 2
                                        ;     Child Loop BB50_123 Depth 2
	;; [unrolled: 1-line block ×3, first 2 shown]
	v_lshlrev_b32_e32 v1, 2, v0
	v_add_u32_e32 v2, 0, v1
	v_add3_u32 v3, v2, v1, s18
	ds_read_b32 v1, v2
	ds_read2_b32 v[2:3], v3 offset1:1
	s_and_b64 vcc, exec, s[0:1]
	v_mov_b32_e32 v4, s8
	s_mov_b32 s19, 0
	s_mov_b64 s[6:7], -1
	s_cbranch_vccnz .LBB50_125
; %bb.118:                              ;   in Loop: Header=BB50_117 Depth=1
	s_and_b64 vcc, exec, s[2:3]
	v_mov_b64_e32 v[4:5], s[8:9]
	s_cbranch_vccnz .LBB50_121
; %bb.119:                              ;   in Loop: Header=BB50_117 Depth=1
	s_mov_b32 s20, 0
	v_mov_b32_e32 v4, s8
	v_mov_b32_e32 v5, 0
	s_mov_b32 s21, s16
.LBB50_120:                             ;   Parent Loop BB50_117 Depth=1
                                        ; =>  This Inner Loop Header: Depth=2
	v_mov_b32_e32 v20, s20
	ds_read2_b32 v[6:7], v20 offset1:1
	ds_read2_b32 v[8:9], v20 offset0:2 offset1:3
	ds_read2_b32 v[10:11], v20 offset0:4 offset1:5
	;; [unrolled: 1-line block ×7, first 2 shown]
	s_waitcnt lgkmcnt(7)
	v_cmp_gt_i32_e32 vcc, v1, v7
	s_waitcnt lgkmcnt(5)
	v_cmp_gt_i32_e64 s[6:7], v1, v10
	s_add_i32 s19, s19, 16
	v_cndmask_b32_e64 v7, 0, 1, vcc
	v_cmp_gt_i32_e32 vcc, v1, v6
	s_add_i32 s20, s20, 64
	s_add_i32 s21, s21, -8
	v_cndmask_b32_e64 v6, 0, 1, vcc
	v_cmp_gt_i32_e32 vcc, v1, v9
	v_cndmask_b32_e64 v9, 0, 1, s[6:7]
	v_cmp_gt_i32_e64 s[6:7], v1, v11
	v_addc_co_u32_e32 v5, vcc, v5, v7, vcc
	s_nop 0
	v_cndmask_b32_e64 v10, 0, 1, s[6:7]
	s_waitcnt lgkmcnt(3)
	v_cmp_gt_i32_e64 s[6:7], v1, v15
	v_cmp_gt_i32_e32 vcc, v1, v12
	s_cmp_lg_u32 s21, 0
	v_cndmask_b32_e64 v11, 0, 1, s[6:7]
	v_cmp_gt_i32_e64 s[6:7], v1, v14
	s_nop 1
	v_cndmask_b32_e64 v14, 0, 1, s[6:7]
	s_waitcnt lgkmcnt(1)
	v_cmp_gt_i32_e64 s[6:7], v1, v18
	s_nop 1
	v_cndmask_b32_e64 v15, 0, 1, s[6:7]
	v_cmp_gt_i32_e64 s[6:7], v1, v19
	s_nop 1
	v_cndmask_b32_e64 v18, 0, 1, s[6:7]
	v_cmp_gt_i32_e64 s[6:7], v1, v8
	s_nop 1
	v_addc_co_u32_e64 v4, s[6:7], v4, v6, s[6:7]
	v_cmp_gt_i32_e64 s[6:7], v1, v13
	v_addc_co_u32_e32 v4, vcc, v4, v9, vcc
	s_nop 0
	v_addc_co_u32_e64 v5, s[6:7], v5, v10, s[6:7]
	v_cmp_gt_i32_e32 vcc, v1, v17
	v_cmp_gt_i32_e64 s[6:7], v1, v16
	s_nop 0
	v_addc_co_u32_e32 v5, vcc, v5, v11, vcc
	v_addc_co_u32_e64 v4, s[6:7], v4, v14, s[6:7]
	s_waitcnt lgkmcnt(0)
	v_cmp_gt_i32_e32 vcc, v1, v20
	v_cmp_gt_i32_e64 s[6:7], v1, v21
	s_nop 0
	v_addc_co_u32_e32 v4, vcc, v4, v15, vcc
	v_addc_co_u32_e64 v5, s[6:7], v5, v18, s[6:7]
	s_cbranch_scc1 .LBB50_120
.LBB50_121:                             ;   in Loop: Header=BB50_117 Depth=1
	s_and_b64 vcc, exec, s[4:5]
	s_cbranch_vccnz .LBB50_124
; %bb.122:                              ;   in Loop: Header=BB50_117 Depth=1
	s_lshl_b32 s6, s19, 2
	s_add_i32 s6, s6, 0
	s_mov_b32 s7, s17
.LBB50_123:                             ;   Parent Loop BB50_117 Depth=1
                                        ; =>  This Inner Loop Header: Depth=2
	v_mov_b32_e32 v6, s6
	ds_read2_b32 v[6:7], v6 offset1:1
	s_add_i32 s6, s6, 8
	s_add_i32 s7, s7, -8
	s_cmp_lg_u32 s7, 0
	s_waitcnt lgkmcnt(0)
	v_cmp_gt_i32_e32 vcc, v1, v7
	s_nop 1
	v_addc_co_u32_e32 v5, vcc, 0, v5, vcc
	v_cmp_gt_i32_e32 vcc, v1, v6
	s_nop 1
	v_addc_co_u32_e32 v4, vcc, 0, v4, vcc
	s_cbranch_scc1 .LBB50_123
.LBB50_124:                             ;   in Loop: Header=BB50_117 Depth=1
	v_add_u32_e32 v4, v4, v5
	s_mov_b32 s19, s15
	s_mov_b64 s[6:7], s[10:11]
.LBB50_125:                             ;   in Loop: Header=BB50_117 Depth=1
	s_and_b64 vcc, exec, s[6:7]
	s_cbranch_vccz .LBB50_116
; %bb.126:                              ;   in Loop: Header=BB50_117 Depth=1
	s_lshl_b32 s6, s19, 2
	s_add_i32 s6, s6, 0
.LBB50_127:                             ;   Parent Loop BB50_117 Depth=1
                                        ; =>  This Inner Loop Header: Depth=2
	v_mov_b32_e32 v5, s6
	ds_read_b32 v5, v5
	s_add_i32 s19, s19, 1
	s_add_i32 s6, s6, 4
	s_cmp_ge_i32 s19, s14
	s_waitcnt lgkmcnt(0)
	v_cmp_gt_i32_e32 vcc, v1, v5
	s_nop 1
	v_addc_co_u32_e32 v4, vcc, 0, v4, vcc
	s_cbranch_scc0 .LBB50_127
	s_branch .LBB50_116
.LBB50_128:
	s_endpgm
	.section	.rodata,"a",@progbits
	.p2align	6, 0x0
	.amdhsa_kernel _ZN9rocsparseL41csrgemm_numeric_fill_block_per_row_kernelILj1024ELj64ELj4096ELj137ELj32Eii21rocsparse_complex_numIfEEEvT5_PKS3_S5_NS_24const_host_device_scalarIT6_EEPKT4_S5_PKS7_SB_S5_SD_S8_SB_S5_SD_SB_S5_PS7_21rocsparse_index_base_SF_SF_SF_bbb
		.amdhsa_group_segment_fixed_size 0
		.amdhsa_private_segment_fixed_size 0
		.amdhsa_kernarg_size 156
		.amdhsa_user_sgpr_count 2
		.amdhsa_user_sgpr_dispatch_ptr 0
		.amdhsa_user_sgpr_queue_ptr 0
		.amdhsa_user_sgpr_kernarg_segment_ptr 1
		.amdhsa_user_sgpr_dispatch_id 0
		.amdhsa_user_sgpr_kernarg_preload_length 0
		.amdhsa_user_sgpr_kernarg_preload_offset 0
		.amdhsa_user_sgpr_private_segment_size 0
		.amdhsa_uses_dynamic_stack 0
		.amdhsa_enable_private_segment 0
		.amdhsa_system_sgpr_workgroup_id_x 1
		.amdhsa_system_sgpr_workgroup_id_y 0
		.amdhsa_system_sgpr_workgroup_id_z 0
		.amdhsa_system_sgpr_workgroup_info 0
		.amdhsa_system_vgpr_workitem_id 0
		.amdhsa_next_free_vgpr 22
		.amdhsa_next_free_sgpr 78
		.amdhsa_accum_offset 24
		.amdhsa_reserve_vcc 1
		.amdhsa_float_round_mode_32 0
		.amdhsa_float_round_mode_16_64 0
		.amdhsa_float_denorm_mode_32 3
		.amdhsa_float_denorm_mode_16_64 3
		.amdhsa_dx10_clamp 1
		.amdhsa_ieee_mode 1
		.amdhsa_fp16_overflow 0
		.amdhsa_tg_split 0
		.amdhsa_exception_fp_ieee_invalid_op 0
		.amdhsa_exception_fp_denorm_src 0
		.amdhsa_exception_fp_ieee_div_zero 0
		.amdhsa_exception_fp_ieee_overflow 0
		.amdhsa_exception_fp_ieee_underflow 0
		.amdhsa_exception_fp_ieee_inexact 0
		.amdhsa_exception_int_div_zero 0
	.end_amdhsa_kernel
	.section	.text._ZN9rocsparseL41csrgemm_numeric_fill_block_per_row_kernelILj1024ELj64ELj4096ELj137ELj32Eii21rocsparse_complex_numIfEEEvT5_PKS3_S5_NS_24const_host_device_scalarIT6_EEPKT4_S5_PKS7_SB_S5_SD_S8_SB_S5_SD_SB_S5_PS7_21rocsparse_index_base_SF_SF_SF_bbb,"axG",@progbits,_ZN9rocsparseL41csrgemm_numeric_fill_block_per_row_kernelILj1024ELj64ELj4096ELj137ELj32Eii21rocsparse_complex_numIfEEEvT5_PKS3_S5_NS_24const_host_device_scalarIT6_EEPKT4_S5_PKS7_SB_S5_SD_S8_SB_S5_SD_SB_S5_PS7_21rocsparse_index_base_SF_SF_SF_bbb,comdat
.Lfunc_end50:
	.size	_ZN9rocsparseL41csrgemm_numeric_fill_block_per_row_kernelILj1024ELj64ELj4096ELj137ELj32Eii21rocsparse_complex_numIfEEEvT5_PKS3_S5_NS_24const_host_device_scalarIT6_EEPKT4_S5_PKS7_SB_S5_SD_S8_SB_S5_SD_SB_S5_PS7_21rocsparse_index_base_SF_SF_SF_bbb, .Lfunc_end50-_ZN9rocsparseL41csrgemm_numeric_fill_block_per_row_kernelILj1024ELj64ELj4096ELj137ELj32Eii21rocsparse_complex_numIfEEEvT5_PKS3_S5_NS_24const_host_device_scalarIT6_EEPKT4_S5_PKS7_SB_S5_SD_S8_SB_S5_SD_SB_S5_PS7_21rocsparse_index_base_SF_SF_SF_bbb
                                        ; -- End function
	.set _ZN9rocsparseL41csrgemm_numeric_fill_block_per_row_kernelILj1024ELj64ELj4096ELj137ELj32Eii21rocsparse_complex_numIfEEEvT5_PKS3_S5_NS_24const_host_device_scalarIT6_EEPKT4_S5_PKS7_SB_S5_SD_S8_SB_S5_SD_SB_S5_PS7_21rocsparse_index_base_SF_SF_SF_bbb.num_vgpr, 22
	.set _ZN9rocsparseL41csrgemm_numeric_fill_block_per_row_kernelILj1024ELj64ELj4096ELj137ELj32Eii21rocsparse_complex_numIfEEEvT5_PKS3_S5_NS_24const_host_device_scalarIT6_EEPKT4_S5_PKS7_SB_S5_SD_S8_SB_S5_SD_SB_S5_PS7_21rocsparse_index_base_SF_SF_SF_bbb.num_agpr, 0
	.set _ZN9rocsparseL41csrgemm_numeric_fill_block_per_row_kernelILj1024ELj64ELj4096ELj137ELj32Eii21rocsparse_complex_numIfEEEvT5_PKS3_S5_NS_24const_host_device_scalarIT6_EEPKT4_S5_PKS7_SB_S5_SD_S8_SB_S5_SD_SB_S5_PS7_21rocsparse_index_base_SF_SF_SF_bbb.numbered_sgpr, 78
	.set _ZN9rocsparseL41csrgemm_numeric_fill_block_per_row_kernelILj1024ELj64ELj4096ELj137ELj32Eii21rocsparse_complex_numIfEEEvT5_PKS3_S5_NS_24const_host_device_scalarIT6_EEPKT4_S5_PKS7_SB_S5_SD_S8_SB_S5_SD_SB_S5_PS7_21rocsparse_index_base_SF_SF_SF_bbb.num_named_barrier, 0
	.set _ZN9rocsparseL41csrgemm_numeric_fill_block_per_row_kernelILj1024ELj64ELj4096ELj137ELj32Eii21rocsparse_complex_numIfEEEvT5_PKS3_S5_NS_24const_host_device_scalarIT6_EEPKT4_S5_PKS7_SB_S5_SD_S8_SB_S5_SD_SB_S5_PS7_21rocsparse_index_base_SF_SF_SF_bbb.private_seg_size, 0
	.set _ZN9rocsparseL41csrgemm_numeric_fill_block_per_row_kernelILj1024ELj64ELj4096ELj137ELj32Eii21rocsparse_complex_numIfEEEvT5_PKS3_S5_NS_24const_host_device_scalarIT6_EEPKT4_S5_PKS7_SB_S5_SD_S8_SB_S5_SD_SB_S5_PS7_21rocsparse_index_base_SF_SF_SF_bbb.uses_vcc, 1
	.set _ZN9rocsparseL41csrgemm_numeric_fill_block_per_row_kernelILj1024ELj64ELj4096ELj137ELj32Eii21rocsparse_complex_numIfEEEvT5_PKS3_S5_NS_24const_host_device_scalarIT6_EEPKT4_S5_PKS7_SB_S5_SD_S8_SB_S5_SD_SB_S5_PS7_21rocsparse_index_base_SF_SF_SF_bbb.uses_flat_scratch, 0
	.set _ZN9rocsparseL41csrgemm_numeric_fill_block_per_row_kernelILj1024ELj64ELj4096ELj137ELj32Eii21rocsparse_complex_numIfEEEvT5_PKS3_S5_NS_24const_host_device_scalarIT6_EEPKT4_S5_PKS7_SB_S5_SD_S8_SB_S5_SD_SB_S5_PS7_21rocsparse_index_base_SF_SF_SF_bbb.has_dyn_sized_stack, 0
	.set _ZN9rocsparseL41csrgemm_numeric_fill_block_per_row_kernelILj1024ELj64ELj4096ELj137ELj32Eii21rocsparse_complex_numIfEEEvT5_PKS3_S5_NS_24const_host_device_scalarIT6_EEPKT4_S5_PKS7_SB_S5_SD_S8_SB_S5_SD_SB_S5_PS7_21rocsparse_index_base_SF_SF_SF_bbb.has_recursion, 0
	.set _ZN9rocsparseL41csrgemm_numeric_fill_block_per_row_kernelILj1024ELj64ELj4096ELj137ELj32Eii21rocsparse_complex_numIfEEEvT5_PKS3_S5_NS_24const_host_device_scalarIT6_EEPKT4_S5_PKS7_SB_S5_SD_S8_SB_S5_SD_SB_S5_PS7_21rocsparse_index_base_SF_SF_SF_bbb.has_indirect_call, 0
	.section	.AMDGPU.csdata,"",@progbits
; Kernel info:
; codeLenInByte = 4168
; TotalNumSgprs: 84
; NumVgprs: 22
; NumAgprs: 0
; TotalNumVgprs: 22
; ScratchSize: 0
; MemoryBound: 0
; FloatMode: 240
; IeeeMode: 1
; LDSByteSize: 0 bytes/workgroup (compile time only)
; SGPRBlocks: 10
; VGPRBlocks: 2
; NumSGPRsForWavesPerEU: 84
; NumVGPRsForWavesPerEU: 22
; AccumOffset: 24
; Occupancy: 8
; WaveLimiterHint : 1
; COMPUTE_PGM_RSRC2:SCRATCH_EN: 0
; COMPUTE_PGM_RSRC2:USER_SGPR: 2
; COMPUTE_PGM_RSRC2:TRAP_HANDLER: 0
; COMPUTE_PGM_RSRC2:TGID_X_EN: 1
; COMPUTE_PGM_RSRC2:TGID_Y_EN: 0
; COMPUTE_PGM_RSRC2:TGID_Z_EN: 0
; COMPUTE_PGM_RSRC2:TIDIG_COMP_CNT: 0
; COMPUTE_PGM_RSRC3_GFX90A:ACCUM_OFFSET: 5
; COMPUTE_PGM_RSRC3_GFX90A:TG_SPLIT: 0
	.section	.text._ZN9rocsparseL41csrgemm_numeric_fill_block_per_row_kernelILj1024ELj64ELj4096ELj137ELj64Eii21rocsparse_complex_numIfEEEvT5_PKS3_S5_NS_24const_host_device_scalarIT6_EEPKT4_S5_PKS7_SB_S5_SD_S8_SB_S5_SD_SB_S5_PS7_21rocsparse_index_base_SF_SF_SF_bbb,"axG",@progbits,_ZN9rocsparseL41csrgemm_numeric_fill_block_per_row_kernelILj1024ELj64ELj4096ELj137ELj64Eii21rocsparse_complex_numIfEEEvT5_PKS3_S5_NS_24const_host_device_scalarIT6_EEPKT4_S5_PKS7_SB_S5_SD_S8_SB_S5_SD_SB_S5_PS7_21rocsparse_index_base_SF_SF_SF_bbb,comdat
	.globl	_ZN9rocsparseL41csrgemm_numeric_fill_block_per_row_kernelILj1024ELj64ELj4096ELj137ELj64Eii21rocsparse_complex_numIfEEEvT5_PKS3_S5_NS_24const_host_device_scalarIT6_EEPKT4_S5_PKS7_SB_S5_SD_S8_SB_S5_SD_SB_S5_PS7_21rocsparse_index_base_SF_SF_SF_bbb ; -- Begin function _ZN9rocsparseL41csrgemm_numeric_fill_block_per_row_kernelILj1024ELj64ELj4096ELj137ELj64Eii21rocsparse_complex_numIfEEEvT5_PKS3_S5_NS_24const_host_device_scalarIT6_EEPKT4_S5_PKS7_SB_S5_SD_S8_SB_S5_SD_SB_S5_PS7_21rocsparse_index_base_SF_SF_SF_bbb
	.p2align	8
	.type	_ZN9rocsparseL41csrgemm_numeric_fill_block_per_row_kernelILj1024ELj64ELj4096ELj137ELj64Eii21rocsparse_complex_numIfEEEvT5_PKS3_S5_NS_24const_host_device_scalarIT6_EEPKT4_S5_PKS7_SB_S5_SD_S8_SB_S5_SD_SB_S5_PS7_21rocsparse_index_base_SF_SF_SF_bbb,@function
_ZN9rocsparseL41csrgemm_numeric_fill_block_per_row_kernelILj1024ELj64ELj4096ELj137ELj64Eii21rocsparse_complex_numIfEEEvT5_PKS3_S5_NS_24const_host_device_scalarIT6_EEPKT4_S5_PKS7_SB_S5_SD_S8_SB_S5_SD_SB_S5_PS7_21rocsparse_index_base_SF_SF_SF_bbb: ; @_ZN9rocsparseL41csrgemm_numeric_fill_block_per_row_kernelILj1024ELj64ELj4096ELj137ELj64Eii21rocsparse_complex_numIfEEEvT5_PKS3_S5_NS_24const_host_device_scalarIT6_EEPKT4_S5_PKS7_SB_S5_SD_S8_SB_S5_SD_SB_S5_PS7_21rocsparse_index_base_SF_SF_SF_bbb
; %bb.0:
	s_load_dwordx2 s[40:41], s[0:1], 0x70
	s_load_dwordx4 s[24:27], s[0:1], 0x60
	s_load_dwordx8 s[8:15], s[0:1], 0x40
	s_load_dword s3, s[0:1], 0x98
	s_load_dwordx4 s[28:31], s[0:1], 0x8
	s_load_dwordx8 s[16:23], s[0:1], 0x20
	s_load_dwordx2 s[34:35], s[0:1], 0x80
	s_load_dwordx4 s[36:39], s[0:1], 0x88
	s_waitcnt lgkmcnt(0)
	s_bitcmp1_b32 s3, 0
	s_cselect_b64 s[46:47], -1, 0
	s_bitcmp1_b32 s3, 16
	s_cselect_b64 s[4:5], -1, 0
	s_xor_b64 s[4:5], s[4:5], -1
	v_cndmask_b32_e64 v1, 0, 1, s[4:5]
	s_mov_b32 s7, 0
	s_bitcmp0_b32 s3, 0
	v_cmp_ne_u32_e64 s[4:5], 1, v1
	s_mov_b32 s52, 0
	s_cbranch_scc1 .LBB51_5
; %bb.1:
	s_load_dwordx2 s[6:7], s[0:1], 0x18
	s_and_b64 vcc, exec, s[4:5]
	s_waitcnt lgkmcnt(0)
	s_mov_b32 s52, s6
	s_cbranch_vccnz .LBB51_3
; %bb.2:
	s_load_dword s52, s[6:7], 0x0
.LBB51_3:
	s_and_b64 vcc, exec, s[4:5]
	s_cbranch_vccnz .LBB51_5
; %bb.4:
	s_load_dword s7, s[6:7], 0x4
.LBB51_5:
	s_bitcmp1_b32 s3, 8
	s_cselect_b64 s[44:45], -1, 0
	s_bfe_u32 s3, s3, 0x10008
	s_mov_b32 s50, 0
	s_cmp_eq_u32 s3, 0
	s_mov_b32 s51, 0
	s_cbranch_scc1 .LBB51_11
; %bb.6:
	s_and_b64 vcc, exec, s[4:5]
	s_mov_b32 s50, s12
	s_cbranch_vccnz .LBB51_8
; %bb.7:
	s_load_dword s50, s[12:13], 0x0
.LBB51_8:
	s_and_b64 vcc, exec, s[4:5]
	s_cbranch_vccnz .LBB51_10
; %bb.9:
	s_load_dword s13, s[12:13], 0x4
.LBB51_10:
	s_waitcnt lgkmcnt(0)
	s_mov_b32 s51, s13
.LBB51_11:
	s_load_dword s33, s[0:1], 0x0
	v_lshl_add_u32 v1, v0, 3, 0
	v_add_u32_e32 v1, 0x4000, v1
	v_or_b32_e32 v8, 0xfffffc00, v0
	v_lshl_add_u32 v9, v0, 2, 0
	s_mov_b64 s[0:1], 0
	s_waitcnt lgkmcnt(0)
	v_mov_b32_e32 v6, s33
	v_mov_b32_e32 v2, 0
	s_movk_i32 s3, 0xbff
	v_mov_b32_e32 v3, v9
	v_mov_b32_e32 v4, v8
	;; [unrolled: 1-line block ×3, first 2 shown]
.LBB51_12:                              ; =>This Inner Loop Header: Depth=1
	v_add_u32_e32 v4, 0x400, v4
	v_cmp_lt_u32_e32 vcc, s3, v4
	ds_write_b32 v3, v6
	ds_write2_b32 v5, v2, v2 offset1:1
	v_add_u32_e32 v5, 0x2000, v5
	s_or_b64 s[0:1], vcc, s[0:1]
	v_add_u32_e32 v3, 0x1000, v3
	s_andn2_b64 exec, exec, s[0:1]
	s_cbranch_execnz .LBB51_12
; %bb.13:
	s_or_b64 exec, exec, s[0:1]
	s_waitcnt lgkmcnt(0)
	s_barrier
	s_load_dword s0, s[28:29], 0x0
	s_mov_b32 s1, 0
	v_lshrrev_b32_e32 v10, 6, v0
	s_waitcnt lgkmcnt(0)
	s_add_i32 s0, s0, s2
	s_lshl_b64 s[0:1], s[0:1], 2
	s_add_u32 s0, s30, s0
	s_addc_u32 s1, s31, s1
	s_load_dword s42, s[0:1], 0x0
	s_and_b64 vcc, exec, s[46:47]
	s_cbranch_vccz .LBB51_31
; %bb.14:
	s_waitcnt lgkmcnt(0)
	s_ashr_i32 s43, s42, 31
	s_lshl_b64 s[0:1], s[42:43], 2
	s_add_u32 s0, s16, s0
	s_addc_u32 s1, s17, s1
	s_load_dwordx2 s[2:3], s[0:1], 0x0
	v_subrev_u32_e32 v2, s36, v10
	s_waitcnt lgkmcnt(0)
	s_sub_i32 s6, s3, s36
	v_add_u32_e32 v2, s2, v2
	v_cmp_gt_i32_e32 vcc, s6, v2
	s_and_saveexec_b64 s[0:1], vcc
	s_cbranch_execz .LBB51_30
; %bb.15:
	v_and_b32_e32 v3, 63, v0
	v_subrev_u32_e32 v11, s37, v3
	s_mov_b64 s[2:3], 0
	s_movk_i32 s43, 0x89
	s_branch .LBB51_17
.LBB51_16:                              ;   in Loop: Header=BB51_17 Depth=1
	s_or_b64 exec, exec, s[4:5]
	v_add_u32_e32 v2, 16, v2
	v_cmp_le_i32_e32 vcc, s6, v2
	s_or_b64 s[2:3], vcc, s[2:3]
	s_andn2_b64 exec, exec, s[2:3]
	s_cbranch_execz .LBB51_30
.LBB51_17:                              ; =>This Loop Header: Depth=1
                                        ;     Child Loop BB51_21 Depth 2
                                        ;       Child Loop BB51_24 Depth 3
	v_ashrrev_i32_e32 v3, 31, v2
	v_lshl_add_u64 v[4:5], v[2:3], 2, s[18:19]
	global_load_dword v4, v[4:5], off
	s_waitcnt vmcnt(0)
	v_subrev_u32_e32 v4, s36, v4
	v_ashrrev_i32_e32 v5, 31, v4
	v_lshl_add_u64 v[4:5], v[4:5], 2, s[22:23]
	global_load_dwordx2 v[4:5], v[4:5], off
	s_waitcnt vmcnt(0)
	v_subrev_u32_e32 v12, s37, v5
	v_add_u32_e32 v4, v4, v11
	v_cmp_lt_i32_e32 vcc, v4, v12
	s_and_saveexec_b64 s[4:5], vcc
	s_cbranch_execz .LBB51_16
; %bb.18:                               ;   in Loop: Header=BB51_17 Depth=1
	v_lshl_add_u64 v[6:7], v[2:3], 3, s[20:21]
	global_load_dwordx2 v[6:7], v[6:7], off
	s_mov_b64 s[12:13], 0
	s_waitcnt vmcnt(0)
	v_mul_f32_e64 v3, v7, -s7
	v_mul_f32_e32 v13, s52, v7
	v_fmac_f32_e32 v3, s52, v6
	v_fmac_f32_e32 v13, s7, v6
	s_branch .LBB51_21
.LBB51_19:                              ;   in Loop: Header=BB51_21 Depth=2
	s_or_b64 exec, exec, s[28:29]
.LBB51_20:                              ;   in Loop: Header=BB51_21 Depth=2
	s_or_b64 exec, exec, s[16:17]
	s_waitcnt vmcnt(0)
	v_mul_f32_e64 v14, v7, -v13
	v_fmac_f32_e32 v14, v3, v6
	v_mul_f32_e32 v7, v3, v7
	v_lshl_add_u32 v5, v5, 3, 0
	v_fmac_f32_e32 v7, v13, v6
	ds_add_f32 v5, v14 offset:16384
	ds_add_f32 v5, v7 offset:16388
	v_add_u32_e32 v4, 64, v4
	v_cmp_ge_i32_e32 vcc, v4, v12
	s_or_b64 s[12:13], vcc, s[12:13]
	s_andn2_b64 exec, exec, s[12:13]
	s_cbranch_execz .LBB51_16
.LBB51_21:                              ;   Parent Loop BB51_17 Depth=1
                                        ; =>  This Loop Header: Depth=2
                                        ;       Child Loop BB51_24 Depth 3
	v_ashrrev_i32_e32 v5, 31, v4
	v_lshl_add_u64 v[6:7], v[4:5], 2, s[8:9]
	global_load_dword v14, v[6:7], off
	v_lshl_add_u64 v[6:7], v[4:5], 3, s[10:11]
	global_load_dwordx2 v[6:7], v[6:7], off
	s_waitcnt vmcnt(1)
	v_subrev_u32_e32 v14, s37, v14
	v_mul_lo_u32 v5, v14, s43
	v_and_b32_e32 v5, 0xfff, v5
	v_lshl_add_u32 v15, v5, 2, 0
	ds_read_b32 v16, v15
	s_waitcnt lgkmcnt(0)
	v_cmp_ne_u32_e32 vcc, v16, v14
	s_and_saveexec_b64 s[16:17], vcc
	s_cbranch_execz .LBB51_20
; %bb.22:                               ;   in Loop: Header=BB51_21 Depth=2
	s_mov_b64 s[28:29], 0
	s_branch .LBB51_24
.LBB51_23:                              ;   in Loop: Header=BB51_24 Depth=3
	s_or_b64 exec, exec, s[48:49]
	s_and_b64 s[30:31], exec, s[46:47]
	s_or_b64 s[28:29], s[30:31], s[28:29]
	s_andn2_b64 exec, exec, s[28:29]
	s_cbranch_execz .LBB51_19
.LBB51_24:                              ;   Parent Loop BB51_17 Depth=1
                                        ;     Parent Loop BB51_21 Depth=2
                                        ; =>    This Inner Loop Header: Depth=3
	v_cmp_ne_u32_e32 vcc, s33, v16
	s_mov_b64 s[30:31], 0
	s_and_saveexec_b64 s[46:47], vcc
	s_xor_b64 s[46:47], exec, s[46:47]
	s_cbranch_execz .LBB51_26
; %bb.25:                               ;   in Loop: Header=BB51_24 Depth=3
	v_add_u32_e32 v5, 1, v5
	s_mov_b64 s[30:31], exec
	v_and_b32_e32 v5, 0xfff, v5
                                        ; implicit-def: $vgpr15
	s_andn2_saveexec_b64 s[46:47], s[46:47]
	s_cbranch_execz .LBB51_28
	s_branch .LBB51_27
.LBB51_26:                              ;   in Loop: Header=BB51_24 Depth=3
	s_andn2_saveexec_b64 s[46:47], s[46:47]
	s_cbranch_execz .LBB51_28
.LBB51_27:                              ;   in Loop: Header=BB51_24 Depth=3
	v_mov_b32_e32 v16, s33
	ds_cmpst_rtn_b32 v15, v15, v16, v14
	s_andn2_b64 s[30:31], s[30:31], exec
	s_waitcnt lgkmcnt(0)
	v_cmp_ne_u32_e32 vcc, s33, v15
	s_and_b64 s[48:49], vcc, exec
	s_or_b64 s[30:31], s[30:31], s[48:49]
.LBB51_28:                              ;   in Loop: Header=BB51_24 Depth=3
	s_or_b64 exec, exec, s[46:47]
	s_mov_b64 s[46:47], -1
                                        ; implicit-def: $vgpr15
                                        ; implicit-def: $vgpr16
	s_and_saveexec_b64 s[48:49], s[30:31]
	s_cbranch_execz .LBB51_23
; %bb.29:                               ;   in Loop: Header=BB51_24 Depth=3
	v_lshl_add_u32 v15, v5, 2, 0
	ds_read_b32 v16, v15
	s_waitcnt lgkmcnt(0)
	v_cmp_eq_u32_e32 vcc, v16, v14
	s_orn2_b64 s[46:47], vcc, exec
	s_branch .LBB51_23
.LBB51_30:
	s_or_b64 exec, exec, s[0:1]
.LBB51_31:
	s_andn2_b64 vcc, exec, s[44:45]
	s_cbranch_vccnz .LBB51_46
; %bb.32:
	s_waitcnt lgkmcnt(0)
	s_ashr_i32 s43, s42, 31
	s_lshl_b64 s[0:1], s[42:43], 2
	s_add_u32 s0, s14, s0
	s_addc_u32 s1, s15, s1
	s_load_dwordx2 s[2:3], s[0:1], 0x0
	v_subrev_u32_e32 v2, s39, v0
	s_waitcnt lgkmcnt(0)
	s_sub_i32 s14, s3, s39
	v_add_u32_e32 v2, s2, v2
	v_cmp_gt_i32_e32 vcc, s14, v2
	s_and_saveexec_b64 s[0:1], vcc
	s_cbranch_execz .LBB51_45
; %bb.33:
	s_mov_b64 s[2:3], 0
	s_movk_i32 s15, 0x89
	s_branch .LBB51_36
.LBB51_34:                              ;   in Loop: Header=BB51_36 Depth=1
	s_or_b64 exec, exec, s[6:7]
.LBB51_35:                              ;   in Loop: Header=BB51_36 Depth=1
	s_or_b64 exec, exec, s[4:5]
	s_waitcnt vmcnt(0)
	v_mul_f32_e64 v6, v5, -s51
	v_fmac_f32_e32 v6, s50, v4
	v_mul_f32_e32 v5, s50, v5
	v_lshl_add_u32 v3, v3, 3, 0
	v_fmac_f32_e32 v5, s51, v4
	ds_add_f32 v3, v6 offset:16384
	ds_add_f32 v3, v5 offset:16388
	v_add_u32_e32 v2, 0x400, v2
	v_cmp_le_i32_e32 vcc, s14, v2
	s_or_b64 s[2:3], vcc, s[2:3]
	s_andn2_b64 exec, exec, s[2:3]
	s_cbranch_execz .LBB51_45
.LBB51_36:                              ; =>This Loop Header: Depth=1
                                        ;     Child Loop BB51_39 Depth 2
	v_ashrrev_i32_e32 v3, 31, v2
	v_lshl_add_u64 v[4:5], v[2:3], 2, s[24:25]
	global_load_dword v6, v[4:5], off
	v_lshl_add_u64 v[4:5], v[2:3], 3, s[26:27]
	global_load_dwordx2 v[4:5], v[4:5], off
	s_waitcnt vmcnt(1)
	v_subrev_u32_e32 v6, s39, v6
	v_mul_lo_u32 v3, v6, s15
	v_and_b32_e32 v3, 0xfff, v3
	v_lshl_add_u32 v7, v3, 2, 0
	ds_read_b32 v11, v7
	s_waitcnt lgkmcnt(0)
	v_cmp_ne_u32_e32 vcc, v11, v6
	s_and_saveexec_b64 s[4:5], vcc
	s_cbranch_execz .LBB51_35
; %bb.37:                               ;   in Loop: Header=BB51_36 Depth=1
	s_mov_b64 s[6:7], 0
	s_branch .LBB51_39
.LBB51_38:                              ;   in Loop: Header=BB51_39 Depth=2
	s_or_b64 exec, exec, s[12:13]
	s_and_b64 s[8:9], exec, s[10:11]
	s_or_b64 s[6:7], s[8:9], s[6:7]
	s_andn2_b64 exec, exec, s[6:7]
	s_cbranch_execz .LBB51_34
.LBB51_39:                              ;   Parent Loop BB51_36 Depth=1
                                        ; =>  This Inner Loop Header: Depth=2
	v_cmp_ne_u32_e32 vcc, s33, v11
	s_mov_b64 s[8:9], 0
	s_and_saveexec_b64 s[10:11], vcc
	s_xor_b64 s[10:11], exec, s[10:11]
	s_cbranch_execz .LBB51_41
; %bb.40:                               ;   in Loop: Header=BB51_39 Depth=2
	v_add_u32_e32 v3, 1, v3
	s_mov_b64 s[8:9], exec
	v_and_b32_e32 v3, 0xfff, v3
                                        ; implicit-def: $vgpr7
	s_andn2_saveexec_b64 s[10:11], s[10:11]
	s_cbranch_execz .LBB51_43
	s_branch .LBB51_42
.LBB51_41:                              ;   in Loop: Header=BB51_39 Depth=2
	s_andn2_saveexec_b64 s[10:11], s[10:11]
	s_cbranch_execz .LBB51_43
.LBB51_42:                              ;   in Loop: Header=BB51_39 Depth=2
	v_mov_b32_e32 v11, s33
	ds_cmpst_rtn_b32 v7, v7, v11, v6
	s_andn2_b64 s[8:9], s[8:9], exec
	s_waitcnt lgkmcnt(0)
	v_cmp_ne_u32_e32 vcc, s33, v7
	s_and_b64 s[12:13], vcc, exec
	s_or_b64 s[8:9], s[8:9], s[12:13]
.LBB51_43:                              ;   in Loop: Header=BB51_39 Depth=2
	s_or_b64 exec, exec, s[10:11]
	s_mov_b64 s[10:11], -1
                                        ; implicit-def: $vgpr7
                                        ; implicit-def: $vgpr11
	s_and_saveexec_b64 s[12:13], s[8:9]
	s_cbranch_execz .LBB51_38
; %bb.44:                               ;   in Loop: Header=BB51_39 Depth=2
	v_lshl_add_u32 v7, v3, 2, 0
	ds_read_b32 v11, v7
	s_waitcnt lgkmcnt(0)
	v_cmp_eq_u32_e32 vcc, v11, v6
	s_orn2_b64 s[10:11], vcc, exec
	s_branch .LBB51_38
.LBB51_45:
	s_or_b64 exec, exec, s[0:1]
.LBB51_46:
	v_mbcnt_lo_u32_b32 v2, -1, 0
	v_mbcnt_hi_u32_b32 v2, -1, v2
	v_sub_u32_e32 v2, 63, v2
	s_movk_i32 s0, 0x3ff
	s_movk_i32 s2, 0x7f
	;; [unrolled: 1-line block ×15, first 2 shown]
	v_mov_b32_e32 v6, 0
	v_lshrrev_b64 v[2:3], v2, -1
	v_lshl_add_u32 v7, v10, 2, 0
	v_cmp_eq_u32_e32 vcc, s0, v0
	v_cmp_lt_u32_e64 s[0:1], 63, v0
	v_cmp_lt_u32_e64 s[2:3], s2, v0
	;; [unrolled: 1-line block ×15, first 2 shown]
	s_mov_b64 s[36:37], 0
	s_movk_i32 s39, 0xbff
	v_mov_b32_e32 v10, 0
	s_waitcnt lgkmcnt(0)
	s_barrier
	s_branch .LBB51_48
.LBB51_47:                              ;   in Loop: Header=BB51_48 Depth=1
	s_or_b64 exec, exec, s[30:31]
	s_waitcnt lgkmcnt(0)
	s_barrier
	ds_read_b32 v4, v6 offset:49212
	v_add_u32_e32 v8, 0x400, v8
	v_cmp_lt_u32_e64 s[30:31], s39, v8
	v_add_u32_e32 v1, 0x2000, v1
	s_or_b64 s[36:37], s[30:31], s[36:37]
	s_waitcnt lgkmcnt(0)
	v_add_u32_e32 v10, v4, v10
	v_add_u32_e32 v9, 0x1000, v9
	s_andn2_b64 exec, exec, s[36:37]
	s_cbranch_execz .LBB51_82
.LBB51_48:                              ; =>This Inner Loop Header: Depth=1
	ds_read_b32 v11, v9
	ds_read2_b32 v[4:5], v1 offset1:1
	s_waitcnt lgkmcnt(0)
	s_barrier
	v_cmp_gt_i32_e64 s[30:31], s33, v11
	s_bcnt1_i32_b64 s43, s[30:31]
	s_nop 0
	v_and_b32_e32 v13, s30, v2
	v_and_b32_e32 v12, s31, v3
	v_bcnt_u32_b32 v13, v13, 0
	v_bcnt_u32_b32 v12, v12, v13
	v_mov_b32_e32 v13, s43
	ds_write_b32 v7, v13 offset:49152
	s_waitcnt lgkmcnt(0)
	s_barrier
	s_and_saveexec_b64 s[44:45], s[0:1]
	s_cbranch_execz .LBB51_65
; %bb.49:                               ;   in Loop: Header=BB51_48 Depth=1
	ds_read_b32 v13, v6 offset:49152
	s_waitcnt lgkmcnt(0)
	v_add_u32_e32 v12, v13, v12
	s_or_b64 exec, exec, s[44:45]
	s_and_saveexec_b64 s[44:45], s[2:3]
	s_cbranch_execnz .LBB51_66
.LBB51_50:                              ;   in Loop: Header=BB51_48 Depth=1
	s_or_b64 exec, exec, s[44:45]
	s_and_saveexec_b64 s[44:45], s[4:5]
	s_cbranch_execz .LBB51_67
.LBB51_51:                              ;   in Loop: Header=BB51_48 Depth=1
	ds_read_b32 v13, v6 offset:49160
	s_waitcnt lgkmcnt(0)
	v_add_u32_e32 v12, v13, v12
	s_or_b64 exec, exec, s[44:45]
	s_and_saveexec_b64 s[44:45], s[6:7]
	s_cbranch_execnz .LBB51_68
.LBB51_52:                              ;   in Loop: Header=BB51_48 Depth=1
	s_or_b64 exec, exec, s[44:45]
	s_and_saveexec_b64 s[44:45], s[8:9]
	s_cbranch_execz .LBB51_69
.LBB51_53:                              ;   in Loop: Header=BB51_48 Depth=1
	ds_read_b32 v13, v6 offset:49168
	s_waitcnt lgkmcnt(0)
	v_add_u32_e32 v12, v13, v12
	s_or_b64 exec, exec, s[44:45]
	s_and_saveexec_b64 s[44:45], s[10:11]
	s_cbranch_execnz .LBB51_70
.LBB51_54:                              ;   in Loop: Header=BB51_48 Depth=1
	s_or_b64 exec, exec, s[44:45]
	s_and_saveexec_b64 s[44:45], s[12:13]
	s_cbranch_execz .LBB51_71
.LBB51_55:                              ;   in Loop: Header=BB51_48 Depth=1
	ds_read_b32 v13, v6 offset:49176
	s_waitcnt lgkmcnt(0)
	v_add_u32_e32 v12, v13, v12
	s_or_b64 exec, exec, s[44:45]
	s_and_saveexec_b64 s[44:45], s[14:15]
	s_cbranch_execnz .LBB51_72
.LBB51_56:                              ;   in Loop: Header=BB51_48 Depth=1
	s_or_b64 exec, exec, s[44:45]
	s_and_saveexec_b64 s[44:45], s[16:17]
	s_cbranch_execz .LBB51_73
.LBB51_57:                              ;   in Loop: Header=BB51_48 Depth=1
	ds_read_b32 v13, v6 offset:49184
	s_waitcnt lgkmcnt(0)
	v_add_u32_e32 v12, v13, v12
	s_or_b64 exec, exec, s[44:45]
	s_and_saveexec_b64 s[44:45], s[18:19]
	s_cbranch_execnz .LBB51_74
.LBB51_58:                              ;   in Loop: Header=BB51_48 Depth=1
	s_or_b64 exec, exec, s[44:45]
	s_and_saveexec_b64 s[44:45], s[20:21]
	s_cbranch_execz .LBB51_75
.LBB51_59:                              ;   in Loop: Header=BB51_48 Depth=1
	ds_read_b32 v13, v6 offset:49192
	s_waitcnt lgkmcnt(0)
	v_add_u32_e32 v12, v13, v12
	s_or_b64 exec, exec, s[44:45]
	s_and_saveexec_b64 s[44:45], s[22:23]
	s_cbranch_execnz .LBB51_76
.LBB51_60:                              ;   in Loop: Header=BB51_48 Depth=1
	s_or_b64 exec, exec, s[44:45]
	s_and_saveexec_b64 s[44:45], s[24:25]
	s_cbranch_execz .LBB51_77
.LBB51_61:                              ;   in Loop: Header=BB51_48 Depth=1
	ds_read_b32 v13, v6 offset:49200
	s_waitcnt lgkmcnt(0)
	v_add_u32_e32 v12, v13, v12
	s_or_b64 exec, exec, s[44:45]
	s_and_saveexec_b64 s[44:45], s[26:27]
	s_cbranch_execnz .LBB51_78
.LBB51_62:                              ;   in Loop: Header=BB51_48 Depth=1
	s_or_b64 exec, exec, s[44:45]
	s_and_saveexec_b64 s[44:45], s[28:29]
	s_cbranch_execz .LBB51_79
.LBB51_63:                              ;   in Loop: Header=BB51_48 Depth=1
	ds_read_b32 v13, v6 offset:49208
	s_waitcnt lgkmcnt(0)
	v_add_u32_e32 v12, v13, v12
	s_or_b64 exec, exec, s[44:45]
	s_and_saveexec_b64 s[44:45], s[30:31]
	s_cbranch_execnz .LBB51_80
.LBB51_64:                              ;   in Loop: Header=BB51_48 Depth=1
	s_or_b64 exec, exec, s[44:45]
	s_and_saveexec_b64 s[30:31], vcc
	s_cbranch_execz .LBB51_47
	s_branch .LBB51_81
.LBB51_65:                              ;   in Loop: Header=BB51_48 Depth=1
	s_or_b64 exec, exec, s[44:45]
	s_and_saveexec_b64 s[44:45], s[2:3]
	s_cbranch_execz .LBB51_50
.LBB51_66:                              ;   in Loop: Header=BB51_48 Depth=1
	ds_read_b32 v13, v6 offset:49156
	s_waitcnt lgkmcnt(0)
	v_add_u32_e32 v12, v13, v12
	s_or_b64 exec, exec, s[44:45]
	s_and_saveexec_b64 s[44:45], s[4:5]
	s_cbranch_execnz .LBB51_51
.LBB51_67:                              ;   in Loop: Header=BB51_48 Depth=1
	s_or_b64 exec, exec, s[44:45]
	s_and_saveexec_b64 s[44:45], s[6:7]
	s_cbranch_execz .LBB51_52
.LBB51_68:                              ;   in Loop: Header=BB51_48 Depth=1
	ds_read_b32 v13, v6 offset:49164
	s_waitcnt lgkmcnt(0)
	v_add_u32_e32 v12, v13, v12
	s_or_b64 exec, exec, s[44:45]
	s_and_saveexec_b64 s[44:45], s[8:9]
	s_cbranch_execnz .LBB51_53
.LBB51_69:                              ;   in Loop: Header=BB51_48 Depth=1
	s_or_b64 exec, exec, s[44:45]
	s_and_saveexec_b64 s[44:45], s[10:11]
	s_cbranch_execz .LBB51_54
.LBB51_70:                              ;   in Loop: Header=BB51_48 Depth=1
	ds_read_b32 v13, v6 offset:49172
	s_waitcnt lgkmcnt(0)
	v_add_u32_e32 v12, v13, v12
	s_or_b64 exec, exec, s[44:45]
	s_and_saveexec_b64 s[44:45], s[12:13]
	s_cbranch_execnz .LBB51_55
.LBB51_71:                              ;   in Loop: Header=BB51_48 Depth=1
	s_or_b64 exec, exec, s[44:45]
	s_and_saveexec_b64 s[44:45], s[14:15]
	s_cbranch_execz .LBB51_56
.LBB51_72:                              ;   in Loop: Header=BB51_48 Depth=1
	ds_read_b32 v13, v6 offset:49180
	s_waitcnt lgkmcnt(0)
	v_add_u32_e32 v12, v13, v12
	s_or_b64 exec, exec, s[44:45]
	s_and_saveexec_b64 s[44:45], s[16:17]
	s_cbranch_execnz .LBB51_57
.LBB51_73:                              ;   in Loop: Header=BB51_48 Depth=1
	s_or_b64 exec, exec, s[44:45]
	s_and_saveexec_b64 s[44:45], s[18:19]
	s_cbranch_execz .LBB51_58
.LBB51_74:                              ;   in Loop: Header=BB51_48 Depth=1
	ds_read_b32 v13, v6 offset:49188
	s_waitcnt lgkmcnt(0)
	v_add_u32_e32 v12, v13, v12
	s_or_b64 exec, exec, s[44:45]
	s_and_saveexec_b64 s[44:45], s[20:21]
	s_cbranch_execnz .LBB51_59
.LBB51_75:                              ;   in Loop: Header=BB51_48 Depth=1
	s_or_b64 exec, exec, s[44:45]
	s_and_saveexec_b64 s[44:45], s[22:23]
	s_cbranch_execz .LBB51_60
.LBB51_76:                              ;   in Loop: Header=BB51_48 Depth=1
	ds_read_b32 v13, v6 offset:49196
	s_waitcnt lgkmcnt(0)
	v_add_u32_e32 v12, v13, v12
	s_or_b64 exec, exec, s[44:45]
	s_and_saveexec_b64 s[44:45], s[24:25]
	s_cbranch_execnz .LBB51_61
.LBB51_77:                              ;   in Loop: Header=BB51_48 Depth=1
	s_or_b64 exec, exec, s[44:45]
	s_and_saveexec_b64 s[44:45], s[26:27]
	s_cbranch_execz .LBB51_62
.LBB51_78:                              ;   in Loop: Header=BB51_48 Depth=1
	ds_read_b32 v13, v6 offset:49204
	s_waitcnt lgkmcnt(0)
	v_add_u32_e32 v12, v13, v12
	s_or_b64 exec, exec, s[44:45]
	s_and_saveexec_b64 s[44:45], s[28:29]
	s_cbranch_execnz .LBB51_63
.LBB51_79:                              ;   in Loop: Header=BB51_48 Depth=1
	s_or_b64 exec, exec, s[44:45]
	s_and_saveexec_b64 s[44:45], s[30:31]
	s_cbranch_execz .LBB51_64
.LBB51_80:                              ;   in Loop: Header=BB51_48 Depth=1
	v_add3_u32 v13, v10, -1, v12
	v_add_u32_e32 v14, v10, v12
	v_lshl_add_u32 v13, v13, 2, 0
	v_lshl_add_u32 v14, v14, 3, 0
	v_add_u32_e32 v14, 0x3ff8, v14
	ds_write_b32 v13, v11
	ds_write2_b32 v14, v4, v5 offset1:1
	s_or_b64 exec, exec, s[44:45]
	s_and_saveexec_b64 s[30:31], vcc
	s_cbranch_execz .LBB51_47
.LBB51_81:                              ;   in Loop: Header=BB51_48 Depth=1
	ds_write_b32 v6, v12 offset:49212
	s_branch .LBB51_47
.LBB51_82:
	s_or_b64 exec, exec, s[36:37]
	s_ashr_i32 s43, s42, 31
	s_lshl_b64 s[0:1], s[42:43], 2
	s_add_u32 s2, s40, s0
	s_addc_u32 s3, s41, s1
	s_load_dwordx2 s[0:1], s[2:3], 0x0
	s_waitcnt lgkmcnt(0)
	s_sub_i32 s14, s1, s0
	v_cmp_gt_i32_e32 vcc, s14, v0
	s_and_saveexec_b64 s[2:3], vcc
	s_cbranch_execz .LBB51_96
; %bb.83:
	s_sub_i32 s8, s0, s38
	v_sub_co_u32_e64 v1, s[0:1], s14, 2
	s_nop 0
	v_readfirstlane_b32 s2, v1
	s_lshr_b32 s2, s2, 1
	s_add_i32 s2, s2, 1
	s_xor_b64 s[0:1], s[0:1], -1
	s_and_b32 s15, s14, -2
	s_and_b32 s3, s2, 7
	s_and_b32 s16, s2, -8
	s_cmp_lg_u32 s3, 0
	v_cmp_lt_u32_e32 vcc, 13, v1
	s_cselect_b64 s[4:5], -1, 0
	s_cmp_lg_u32 s14, s15
	v_cndmask_b32_e64 v1, 0, 1, vcc
	s_cselect_b64 s[10:11], -1, 0
	s_lshl_b32 s17, s3, 3
	v_cndmask_b32_e64 v2, 0, 1, s[0:1]
	v_cmp_ne_u32_e64 s[2:3], 1, v1
	v_cndmask_b32_e64 v1, 0, 1, s[4:5]
	s_mov_b32 s9, 0
	s_mov_b64 s[12:13], 0
	s_movk_i32 s18, 0x4000
	v_cmp_ne_u32_e64 s[0:1], 1, v2
	v_cmp_ne_u32_e64 s[4:5], 1, v1
	s_branch .LBB51_85
.LBB51_84:                              ;   in Loop: Header=BB51_85 Depth=1
	v_add_u32_e32 v0, 0x400, v0
	v_ashrrev_i32_e32 v5, 31, v4
	v_cmp_le_i32_e32 vcc, s14, v0
	v_lshl_add_u64 v[4:5], v[4:5], 3, s[34:35]
	s_or_b64 s[12:13], vcc, s[12:13]
	s_waitcnt lgkmcnt(0)
	global_store_dwordx2 v[4:5], v[2:3], off
	s_andn2_b64 exec, exec, s[12:13]
	s_cbranch_execz .LBB51_96
.LBB51_85:                              ; =>This Loop Header: Depth=1
                                        ;     Child Loop BB51_88 Depth 2
                                        ;     Child Loop BB51_91 Depth 2
	;; [unrolled: 1-line block ×3, first 2 shown]
	v_lshlrev_b32_e32 v1, 2, v0
	v_add_u32_e32 v2, 0, v1
	v_add3_u32 v3, v2, v1, s18
	ds_read_b32 v1, v2
	ds_read2_b32 v[2:3], v3 offset1:1
	s_and_b64 vcc, exec, s[0:1]
	v_mov_b32_e32 v4, s8
	s_mov_b32 s19, 0
	s_mov_b64 s[6:7], -1
	s_cbranch_vccnz .LBB51_93
; %bb.86:                               ;   in Loop: Header=BB51_85 Depth=1
	s_and_b64 vcc, exec, s[2:3]
	v_mov_b64_e32 v[4:5], s[8:9]
	s_cbranch_vccnz .LBB51_89
; %bb.87:                               ;   in Loop: Header=BB51_85 Depth=1
	s_mov_b32 s20, 0
	v_mov_b32_e32 v4, s8
	v_mov_b32_e32 v5, 0
	s_mov_b32 s21, s16
.LBB51_88:                              ;   Parent Loop BB51_85 Depth=1
                                        ; =>  This Inner Loop Header: Depth=2
	v_mov_b32_e32 v20, s20
	ds_read2_b32 v[6:7], v20 offset1:1
	ds_read2_b32 v[8:9], v20 offset0:2 offset1:3
	ds_read2_b32 v[10:11], v20 offset0:4 offset1:5
	;; [unrolled: 1-line block ×7, first 2 shown]
	s_waitcnt lgkmcnt(7)
	v_cmp_gt_i32_e32 vcc, v1, v7
	s_waitcnt lgkmcnt(5)
	v_cmp_gt_i32_e64 s[6:7], v1, v10
	s_add_i32 s19, s19, 16
	v_cndmask_b32_e64 v7, 0, 1, vcc
	v_cmp_gt_i32_e32 vcc, v1, v6
	s_add_i32 s20, s20, 64
	s_add_i32 s21, s21, -8
	v_cndmask_b32_e64 v6, 0, 1, vcc
	v_cmp_gt_i32_e32 vcc, v1, v9
	v_cndmask_b32_e64 v9, 0, 1, s[6:7]
	v_cmp_gt_i32_e64 s[6:7], v1, v11
	v_addc_co_u32_e32 v5, vcc, v5, v7, vcc
	s_nop 0
	v_cndmask_b32_e64 v10, 0, 1, s[6:7]
	s_waitcnt lgkmcnt(3)
	v_cmp_gt_i32_e64 s[6:7], v1, v15
	v_cmp_gt_i32_e32 vcc, v1, v12
	s_cmp_lg_u32 s21, 0
	v_cndmask_b32_e64 v11, 0, 1, s[6:7]
	v_cmp_gt_i32_e64 s[6:7], v1, v14
	s_nop 1
	v_cndmask_b32_e64 v14, 0, 1, s[6:7]
	s_waitcnt lgkmcnt(1)
	v_cmp_gt_i32_e64 s[6:7], v1, v18
	s_nop 1
	v_cndmask_b32_e64 v15, 0, 1, s[6:7]
	v_cmp_gt_i32_e64 s[6:7], v1, v19
	s_nop 1
	v_cndmask_b32_e64 v18, 0, 1, s[6:7]
	v_cmp_gt_i32_e64 s[6:7], v1, v8
	s_nop 1
	v_addc_co_u32_e64 v4, s[6:7], v4, v6, s[6:7]
	v_cmp_gt_i32_e64 s[6:7], v1, v13
	v_addc_co_u32_e32 v4, vcc, v4, v9, vcc
	s_nop 0
	v_addc_co_u32_e64 v5, s[6:7], v5, v10, s[6:7]
	v_cmp_gt_i32_e32 vcc, v1, v17
	v_cmp_gt_i32_e64 s[6:7], v1, v16
	s_nop 0
	v_addc_co_u32_e32 v5, vcc, v5, v11, vcc
	v_addc_co_u32_e64 v4, s[6:7], v4, v14, s[6:7]
	s_waitcnt lgkmcnt(0)
	v_cmp_gt_i32_e32 vcc, v1, v20
	v_cmp_gt_i32_e64 s[6:7], v1, v21
	s_nop 0
	v_addc_co_u32_e32 v4, vcc, v4, v15, vcc
	v_addc_co_u32_e64 v5, s[6:7], v5, v18, s[6:7]
	s_cbranch_scc1 .LBB51_88
.LBB51_89:                              ;   in Loop: Header=BB51_85 Depth=1
	s_and_b64 vcc, exec, s[4:5]
	s_cbranch_vccnz .LBB51_92
; %bb.90:                               ;   in Loop: Header=BB51_85 Depth=1
	s_lshl_b32 s6, s19, 2
	s_add_i32 s6, s6, 0
	s_mov_b32 s7, s17
.LBB51_91:                              ;   Parent Loop BB51_85 Depth=1
                                        ; =>  This Inner Loop Header: Depth=2
	v_mov_b32_e32 v6, s6
	ds_read2_b32 v[6:7], v6 offset1:1
	s_add_i32 s6, s6, 8
	s_add_i32 s7, s7, -8
	s_cmp_lg_u32 s7, 0
	s_waitcnt lgkmcnt(0)
	v_cmp_gt_i32_e32 vcc, v1, v7
	s_nop 1
	v_addc_co_u32_e32 v5, vcc, 0, v5, vcc
	v_cmp_gt_i32_e32 vcc, v1, v6
	s_nop 1
	v_addc_co_u32_e32 v4, vcc, 0, v4, vcc
	s_cbranch_scc1 .LBB51_91
.LBB51_92:                              ;   in Loop: Header=BB51_85 Depth=1
	v_add_u32_e32 v4, v4, v5
	s_mov_b32 s19, s15
	s_mov_b64 s[6:7], s[10:11]
.LBB51_93:                              ;   in Loop: Header=BB51_85 Depth=1
	s_and_b64 vcc, exec, s[6:7]
	s_cbranch_vccz .LBB51_84
; %bb.94:                               ;   in Loop: Header=BB51_85 Depth=1
	s_lshl_b32 s6, s19, 2
	s_add_i32 s6, s6, 0
.LBB51_95:                              ;   Parent Loop BB51_85 Depth=1
                                        ; =>  This Inner Loop Header: Depth=2
	v_mov_b32_e32 v5, s6
	ds_read_b32 v5, v5
	s_add_i32 s19, s19, 1
	s_add_i32 s6, s6, 4
	s_cmp_ge_i32 s19, s14
	s_waitcnt lgkmcnt(0)
	v_cmp_gt_i32_e32 vcc, v1, v5
	s_nop 1
	v_addc_co_u32_e32 v4, vcc, 0, v4, vcc
	s_cbranch_scc0 .LBB51_95
	s_branch .LBB51_84
.LBB51_96:
	s_endpgm
	.section	.rodata,"a",@progbits
	.p2align	6, 0x0
	.amdhsa_kernel _ZN9rocsparseL41csrgemm_numeric_fill_block_per_row_kernelILj1024ELj64ELj4096ELj137ELj64Eii21rocsparse_complex_numIfEEEvT5_PKS3_S5_NS_24const_host_device_scalarIT6_EEPKT4_S5_PKS7_SB_S5_SD_S8_SB_S5_SD_SB_S5_PS7_21rocsparse_index_base_SF_SF_SF_bbb
		.amdhsa_group_segment_fixed_size 0
		.amdhsa_private_segment_fixed_size 0
		.amdhsa_kernarg_size 156
		.amdhsa_user_sgpr_count 2
		.amdhsa_user_sgpr_dispatch_ptr 0
		.amdhsa_user_sgpr_queue_ptr 0
		.amdhsa_user_sgpr_kernarg_segment_ptr 1
		.amdhsa_user_sgpr_dispatch_id 0
		.amdhsa_user_sgpr_kernarg_preload_length 0
		.amdhsa_user_sgpr_kernarg_preload_offset 0
		.amdhsa_user_sgpr_private_segment_size 0
		.amdhsa_uses_dynamic_stack 0
		.amdhsa_enable_private_segment 0
		.amdhsa_system_sgpr_workgroup_id_x 1
		.amdhsa_system_sgpr_workgroup_id_y 0
		.amdhsa_system_sgpr_workgroup_id_z 0
		.amdhsa_system_sgpr_workgroup_info 0
		.amdhsa_system_vgpr_workitem_id 0
		.amdhsa_next_free_vgpr 22
		.amdhsa_next_free_sgpr 53
		.amdhsa_accum_offset 24
		.amdhsa_reserve_vcc 1
		.amdhsa_float_round_mode_32 0
		.amdhsa_float_round_mode_16_64 0
		.amdhsa_float_denorm_mode_32 3
		.amdhsa_float_denorm_mode_16_64 3
		.amdhsa_dx10_clamp 1
		.amdhsa_ieee_mode 1
		.amdhsa_fp16_overflow 0
		.amdhsa_tg_split 0
		.amdhsa_exception_fp_ieee_invalid_op 0
		.amdhsa_exception_fp_denorm_src 0
		.amdhsa_exception_fp_ieee_div_zero 0
		.amdhsa_exception_fp_ieee_overflow 0
		.amdhsa_exception_fp_ieee_underflow 0
		.amdhsa_exception_fp_ieee_inexact 0
		.amdhsa_exception_int_div_zero 0
	.end_amdhsa_kernel
	.section	.text._ZN9rocsparseL41csrgemm_numeric_fill_block_per_row_kernelILj1024ELj64ELj4096ELj137ELj64Eii21rocsparse_complex_numIfEEEvT5_PKS3_S5_NS_24const_host_device_scalarIT6_EEPKT4_S5_PKS7_SB_S5_SD_S8_SB_S5_SD_SB_S5_PS7_21rocsparse_index_base_SF_SF_SF_bbb,"axG",@progbits,_ZN9rocsparseL41csrgemm_numeric_fill_block_per_row_kernelILj1024ELj64ELj4096ELj137ELj64Eii21rocsparse_complex_numIfEEEvT5_PKS3_S5_NS_24const_host_device_scalarIT6_EEPKT4_S5_PKS7_SB_S5_SD_S8_SB_S5_SD_SB_S5_PS7_21rocsparse_index_base_SF_SF_SF_bbb,comdat
.Lfunc_end51:
	.size	_ZN9rocsparseL41csrgemm_numeric_fill_block_per_row_kernelILj1024ELj64ELj4096ELj137ELj64Eii21rocsparse_complex_numIfEEEvT5_PKS3_S5_NS_24const_host_device_scalarIT6_EEPKT4_S5_PKS7_SB_S5_SD_S8_SB_S5_SD_SB_S5_PS7_21rocsparse_index_base_SF_SF_SF_bbb, .Lfunc_end51-_ZN9rocsparseL41csrgemm_numeric_fill_block_per_row_kernelILj1024ELj64ELj4096ELj137ELj64Eii21rocsparse_complex_numIfEEEvT5_PKS3_S5_NS_24const_host_device_scalarIT6_EEPKT4_S5_PKS7_SB_S5_SD_S8_SB_S5_SD_SB_S5_PS7_21rocsparse_index_base_SF_SF_SF_bbb
                                        ; -- End function
	.set _ZN9rocsparseL41csrgemm_numeric_fill_block_per_row_kernelILj1024ELj64ELj4096ELj137ELj64Eii21rocsparse_complex_numIfEEEvT5_PKS3_S5_NS_24const_host_device_scalarIT6_EEPKT4_S5_PKS7_SB_S5_SD_S8_SB_S5_SD_SB_S5_PS7_21rocsparse_index_base_SF_SF_SF_bbb.num_vgpr, 22
	.set _ZN9rocsparseL41csrgemm_numeric_fill_block_per_row_kernelILj1024ELj64ELj4096ELj137ELj64Eii21rocsparse_complex_numIfEEEvT5_PKS3_S5_NS_24const_host_device_scalarIT6_EEPKT4_S5_PKS7_SB_S5_SD_S8_SB_S5_SD_SB_S5_PS7_21rocsparse_index_base_SF_SF_SF_bbb.num_agpr, 0
	.set _ZN9rocsparseL41csrgemm_numeric_fill_block_per_row_kernelILj1024ELj64ELj4096ELj137ELj64Eii21rocsparse_complex_numIfEEEvT5_PKS3_S5_NS_24const_host_device_scalarIT6_EEPKT4_S5_PKS7_SB_S5_SD_S8_SB_S5_SD_SB_S5_PS7_21rocsparse_index_base_SF_SF_SF_bbb.numbered_sgpr, 53
	.set _ZN9rocsparseL41csrgemm_numeric_fill_block_per_row_kernelILj1024ELj64ELj4096ELj137ELj64Eii21rocsparse_complex_numIfEEEvT5_PKS3_S5_NS_24const_host_device_scalarIT6_EEPKT4_S5_PKS7_SB_S5_SD_S8_SB_S5_SD_SB_S5_PS7_21rocsparse_index_base_SF_SF_SF_bbb.num_named_barrier, 0
	.set _ZN9rocsparseL41csrgemm_numeric_fill_block_per_row_kernelILj1024ELj64ELj4096ELj137ELj64Eii21rocsparse_complex_numIfEEEvT5_PKS3_S5_NS_24const_host_device_scalarIT6_EEPKT4_S5_PKS7_SB_S5_SD_S8_SB_S5_SD_SB_S5_PS7_21rocsparse_index_base_SF_SF_SF_bbb.private_seg_size, 0
	.set _ZN9rocsparseL41csrgemm_numeric_fill_block_per_row_kernelILj1024ELj64ELj4096ELj137ELj64Eii21rocsparse_complex_numIfEEEvT5_PKS3_S5_NS_24const_host_device_scalarIT6_EEPKT4_S5_PKS7_SB_S5_SD_S8_SB_S5_SD_SB_S5_PS7_21rocsparse_index_base_SF_SF_SF_bbb.uses_vcc, 1
	.set _ZN9rocsparseL41csrgemm_numeric_fill_block_per_row_kernelILj1024ELj64ELj4096ELj137ELj64Eii21rocsparse_complex_numIfEEEvT5_PKS3_S5_NS_24const_host_device_scalarIT6_EEPKT4_S5_PKS7_SB_S5_SD_S8_SB_S5_SD_SB_S5_PS7_21rocsparse_index_base_SF_SF_SF_bbb.uses_flat_scratch, 0
	.set _ZN9rocsparseL41csrgemm_numeric_fill_block_per_row_kernelILj1024ELj64ELj4096ELj137ELj64Eii21rocsparse_complex_numIfEEEvT5_PKS3_S5_NS_24const_host_device_scalarIT6_EEPKT4_S5_PKS7_SB_S5_SD_S8_SB_S5_SD_SB_S5_PS7_21rocsparse_index_base_SF_SF_SF_bbb.has_dyn_sized_stack, 0
	.set _ZN9rocsparseL41csrgemm_numeric_fill_block_per_row_kernelILj1024ELj64ELj4096ELj137ELj64Eii21rocsparse_complex_numIfEEEvT5_PKS3_S5_NS_24const_host_device_scalarIT6_EEPKT4_S5_PKS7_SB_S5_SD_S8_SB_S5_SD_SB_S5_PS7_21rocsparse_index_base_SF_SF_SF_bbb.has_recursion, 0
	.set _ZN9rocsparseL41csrgemm_numeric_fill_block_per_row_kernelILj1024ELj64ELj4096ELj137ELj64Eii21rocsparse_complex_numIfEEEvT5_PKS3_S5_NS_24const_host_device_scalarIT6_EEPKT4_S5_PKS7_SB_S5_SD_S8_SB_S5_SD_SB_S5_PS7_21rocsparse_index_base_SF_SF_SF_bbb.has_indirect_call, 0
	.section	.AMDGPU.csdata,"",@progbits
; Kernel info:
; codeLenInByte = 3332
; TotalNumSgprs: 59
; NumVgprs: 22
; NumAgprs: 0
; TotalNumVgprs: 22
; ScratchSize: 0
; MemoryBound: 0
; FloatMode: 240
; IeeeMode: 1
; LDSByteSize: 0 bytes/workgroup (compile time only)
; SGPRBlocks: 7
; VGPRBlocks: 2
; NumSGPRsForWavesPerEU: 59
; NumVGPRsForWavesPerEU: 22
; AccumOffset: 24
; Occupancy: 8
; WaveLimiterHint : 1
; COMPUTE_PGM_RSRC2:SCRATCH_EN: 0
; COMPUTE_PGM_RSRC2:USER_SGPR: 2
; COMPUTE_PGM_RSRC2:TRAP_HANDLER: 0
; COMPUTE_PGM_RSRC2:TGID_X_EN: 1
; COMPUTE_PGM_RSRC2:TGID_Y_EN: 0
; COMPUTE_PGM_RSRC2:TGID_Z_EN: 0
; COMPUTE_PGM_RSRC2:TIDIG_COMP_CNT: 0
; COMPUTE_PGM_RSRC3_GFX90A:ACCUM_OFFSET: 5
; COMPUTE_PGM_RSRC3_GFX90A:TG_SPLIT: 0
	.section	.text._ZN9rocsparseL41csrgemm_numeric_fill_block_per_row_kernelILj1024ELj64ELj8192ELj137ELj32Eii21rocsparse_complex_numIfEEEvT5_PKS3_S5_NS_24const_host_device_scalarIT6_EEPKT4_S5_PKS7_SB_S5_SD_S8_SB_S5_SD_SB_S5_PS7_21rocsparse_index_base_SF_SF_SF_bbb,"axG",@progbits,_ZN9rocsparseL41csrgemm_numeric_fill_block_per_row_kernelILj1024ELj64ELj8192ELj137ELj32Eii21rocsparse_complex_numIfEEEvT5_PKS3_S5_NS_24const_host_device_scalarIT6_EEPKT4_S5_PKS7_SB_S5_SD_S8_SB_S5_SD_SB_S5_PS7_21rocsparse_index_base_SF_SF_SF_bbb,comdat
	.globl	_ZN9rocsparseL41csrgemm_numeric_fill_block_per_row_kernelILj1024ELj64ELj8192ELj137ELj32Eii21rocsparse_complex_numIfEEEvT5_PKS3_S5_NS_24const_host_device_scalarIT6_EEPKT4_S5_PKS7_SB_S5_SD_S8_SB_S5_SD_SB_S5_PS7_21rocsparse_index_base_SF_SF_SF_bbb ; -- Begin function _ZN9rocsparseL41csrgemm_numeric_fill_block_per_row_kernelILj1024ELj64ELj8192ELj137ELj32Eii21rocsparse_complex_numIfEEEvT5_PKS3_S5_NS_24const_host_device_scalarIT6_EEPKT4_S5_PKS7_SB_S5_SD_S8_SB_S5_SD_SB_S5_PS7_21rocsparse_index_base_SF_SF_SF_bbb
	.p2align	8
	.type	_ZN9rocsparseL41csrgemm_numeric_fill_block_per_row_kernelILj1024ELj64ELj8192ELj137ELj32Eii21rocsparse_complex_numIfEEEvT5_PKS3_S5_NS_24const_host_device_scalarIT6_EEPKT4_S5_PKS7_SB_S5_SD_S8_SB_S5_SD_SB_S5_PS7_21rocsparse_index_base_SF_SF_SF_bbb,@function
_ZN9rocsparseL41csrgemm_numeric_fill_block_per_row_kernelILj1024ELj64ELj8192ELj137ELj32Eii21rocsparse_complex_numIfEEEvT5_PKS3_S5_NS_24const_host_device_scalarIT6_EEPKT4_S5_PKS7_SB_S5_SD_S8_SB_S5_SD_SB_S5_PS7_21rocsparse_index_base_SF_SF_SF_bbb: ; @_ZN9rocsparseL41csrgemm_numeric_fill_block_per_row_kernelILj1024ELj64ELj8192ELj137ELj32Eii21rocsparse_complex_numIfEEEvT5_PKS3_S5_NS_24const_host_device_scalarIT6_EEPKT4_S5_PKS7_SB_S5_SD_S8_SB_S5_SD_SB_S5_PS7_21rocsparse_index_base_SF_SF_SF_bbb
; %bb.0:
	s_load_dwordx2 s[4:5], s[0:1], 0x70
	s_load_dwordx4 s[64:67], s[0:1], 0x88
                                        ; implicit-def: $vgpr22 : SGPR spill to VGPR lane
	s_mov_b32 s7, 0
	s_mov_b32 s42, 0
	s_waitcnt lgkmcnt(0)
	v_writelane_b32 v22, s4, 0
	s_nop 1
	v_writelane_b32 v22, s5, 1
	s_load_dwordx4 s[24:27], s[0:1], 0x60
	s_load_dwordx8 s[8:15], s[0:1], 0x40
	s_load_dword s3, s[0:1], 0x98
	s_load_dwordx4 s[28:31], s[0:1], 0x8
	s_load_dwordx8 s[16:23], s[0:1], 0x20
	s_load_dwordx2 s[4:5], s[0:1], 0x80
	s_waitcnt lgkmcnt(0)
	s_bitcmp1_b32 s3, 0
	s_cselect_b64 s[36:37], -1, 0
	s_bitcmp1_b32 s3, 16
	v_writelane_b32 v22, s4, 2
	s_nop 1
	v_writelane_b32 v22, s5, 3
	s_cselect_b64 s[4:5], -1, 0
	s_xor_b64 s[4:5], s[4:5], -1
	v_cndmask_b32_e64 v1, 0, 1, s[4:5]
	s_bitcmp0_b32 s3, 0
	v_cmp_ne_u32_e64 s[4:5], 1, v1
	s_cbranch_scc1 .LBB52_5
; %bb.1:
	s_load_dwordx2 s[6:7], s[0:1], 0x18
	s_and_b64 vcc, exec, s[4:5]
	s_waitcnt lgkmcnt(0)
	s_mov_b32 s42, s6
	s_cbranch_vccnz .LBB52_3
; %bb.2:
	s_load_dword s42, s[6:7], 0x0
.LBB52_3:
	s_and_b64 vcc, exec, s[4:5]
	s_cbranch_vccnz .LBB52_5
; %bb.4:
	s_load_dword s7, s[6:7], 0x4
.LBB52_5:
	s_bitcmp1_b32 s3, 8
	s_cselect_b64 s[34:35], -1, 0
	s_bfe_u32 s3, s3, 0x10008
	s_mov_b32 s40, 0
	s_cmp_eq_u32 s3, 0
	s_mov_b32 s41, 0
	s_cbranch_scc1 .LBB52_11
; %bb.6:
	s_and_b64 vcc, exec, s[4:5]
	s_mov_b32 s40, s12
	s_cbranch_vccnz .LBB52_8
; %bb.7:
	s_load_dword s40, s[12:13], 0x0
.LBB52_8:
	s_and_b64 vcc, exec, s[4:5]
	s_cbranch_vccnz .LBB52_10
; %bb.9:
	s_load_dword s13, s[12:13], 0x4
.LBB52_10:
	s_waitcnt lgkmcnt(0)
	s_mov_b32 s41, s13
.LBB52_11:
	s_load_dword s33, s[0:1], 0x0
	v_lshlrev_b32_e32 v2, 2, v0
	v_add_u32_e32 v1, 0, v2
	v_add_u32_e32 v2, v1, v2
	;; [unrolled: 1-line block ×3, first 2 shown]
	v_mov_b32_e32 v5, 0
	s_waitcnt lgkmcnt(0)
	v_mov_b32_e32 v4, s33
	ds_write2_b32 v3, v5, v5 offset1:1
	v_mov_b32_e32 v3, s33
	ds_write2st64_b32 v1, v4, v3 offset1:16
	v_add_u32_e32 v3, 0xa000, v2
	v_add_u32_e32 v4, 0xc000, v2
	ds_write2_b32 v3, v5, v5 offset1:1
	v_mov_b32_e32 v3, s33
	ds_write2_b32 v4, v5, v5 offset1:1
	v_mov_b32_e32 v4, s33
	v_add_u32_e32 v2, 0xe000, v2
	ds_write2st64_b32 v1, v3, v4 offset0:32 offset1:48
	ds_write2_b32 v2, v5, v5 offset1:1
	v_mov_b32_e32 v2, s33
	s_add_i32 s0, 0, 0x8000
	ds_write_b32 v1, v2 offset:16384
	v_lshl_add_u32 v2, v0, 3, s0
	v_add_u32_e32 v3, 0x8000, v2
	ds_write2_b32 v3, v5, v5 offset1:1
	v_mov_b32_e32 v3, s33
	ds_write_b32 v1, v3 offset:20480
	v_add_u32_e32 v3, 0xa000, v2
	ds_write2_b32 v3, v5, v5 offset1:1
	v_mov_b32_e32 v3, s33
	ds_write_b32 v1, v3 offset:24576
	v_add_u32_e32 v3, 0xc000, v2
	ds_write2_b32 v3, v5, v5 offset1:1
	v_mov_b32_e32 v3, s33
	v_add_u32_e32 v2, 0xe000, v2
	ds_write_b32 v1, v3 offset:28672
	ds_write2_b32 v2, v5, v5 offset1:1
	s_waitcnt lgkmcnt(0)
	s_barrier
	s_load_dword s0, s[28:29], 0x0
	s_mov_b32 s1, 0
	s_waitcnt lgkmcnt(0)
	s_add_i32 s0, s0, s2
	s_lshl_b64 s[0:1], s[0:1], 2
	s_add_u32 s0, s30, s0
	s_addc_u32 s1, s31, s1
	s_load_dword s44, s[0:1], 0x0
	s_andn2_b64 vcc, exec, s[36:37]
	s_cbranch_vccnz .LBB52_29
; %bb.12:
	s_waitcnt lgkmcnt(0)
	s_ashr_i32 s45, s44, 31
	s_lshl_b64 s[0:1], s[44:45], 2
	s_add_u32 s0, s16, s0
	s_addc_u32 s1, s17, s1
	s_load_dwordx2 s[2:3], s[0:1], 0x0
	v_lshrrev_b32_e32 v2, 6, v0
	v_subrev_u32_e32 v2, s64, v2
	s_waitcnt lgkmcnt(0)
	s_sub_i32 s6, s3, s64
	v_add_u32_e32 v2, s2, v2
	v_cmp_gt_i32_e32 vcc, s6, v2
	s_and_saveexec_b64 s[0:1], vcc
	s_cbranch_execz .LBB52_28
; %bb.13:
	v_and_b32_e32 v3, 63, v0
	v_subrev_u32_e32 v8, s65, v3
	s_mov_b64 s[2:3], 0
	s_movk_i32 s43, 0x89
	s_branch .LBB52_15
.LBB52_14:                              ;   in Loop: Header=BB52_15 Depth=1
	s_or_b64 exec, exec, s[4:5]
	v_add_u32_e32 v2, 16, v2
	v_cmp_le_i32_e32 vcc, s6, v2
	s_or_b64 s[2:3], vcc, s[2:3]
	s_andn2_b64 exec, exec, s[2:3]
	s_cbranch_execz .LBB52_28
.LBB52_15:                              ; =>This Loop Header: Depth=1
                                        ;     Child Loop BB52_19 Depth 2
                                        ;       Child Loop BB52_22 Depth 3
	v_ashrrev_i32_e32 v3, 31, v2
	v_lshl_add_u64 v[4:5], v[2:3], 2, s[18:19]
	global_load_dword v4, v[4:5], off
	s_waitcnt vmcnt(0)
	v_subrev_u32_e32 v4, s64, v4
	v_ashrrev_i32_e32 v5, 31, v4
	v_lshl_add_u64 v[4:5], v[4:5], 2, s[22:23]
	global_load_dwordx2 v[4:5], v[4:5], off
	s_waitcnt vmcnt(0)
	v_subrev_u32_e32 v9, s65, v5
	v_add_u32_e32 v4, v4, v8
	v_cmp_lt_i32_e32 vcc, v4, v9
	s_and_saveexec_b64 s[4:5], vcc
	s_cbranch_execz .LBB52_14
; %bb.16:                               ;   in Loop: Header=BB52_15 Depth=1
	v_lshl_add_u64 v[6:7], v[2:3], 3, s[20:21]
	global_load_dwordx2 v[6:7], v[6:7], off
	s_mov_b64 s[12:13], 0
	s_waitcnt vmcnt(0)
	v_mul_f32_e64 v3, v7, -s7
	v_mul_f32_e32 v10, s42, v7
	v_fmac_f32_e32 v3, s42, v6
	v_fmac_f32_e32 v10, s7, v6
	s_branch .LBB52_19
.LBB52_17:                              ;   in Loop: Header=BB52_19 Depth=2
	s_or_b64 exec, exec, s[28:29]
.LBB52_18:                              ;   in Loop: Header=BB52_19 Depth=2
	s_or_b64 exec, exec, s[16:17]
	s_waitcnt vmcnt(0)
	v_mul_f32_e64 v11, v7, -v10
	v_fmac_f32_e32 v11, v3, v6
	v_mul_f32_e32 v7, v3, v7
	v_lshl_add_u32 v5, v5, 3, 0
	v_fmac_f32_e32 v7, v10, v6
	ds_add_f32 v5, v11 offset:32768
	ds_add_f32 v5, v7 offset:32772
	v_add_u32_e32 v4, 64, v4
	v_cmp_ge_i32_e32 vcc, v4, v9
	s_or_b64 s[12:13], vcc, s[12:13]
	s_andn2_b64 exec, exec, s[12:13]
	s_cbranch_execz .LBB52_14
.LBB52_19:                              ;   Parent Loop BB52_15 Depth=1
                                        ; =>  This Loop Header: Depth=2
                                        ;       Child Loop BB52_22 Depth 3
	v_ashrrev_i32_e32 v5, 31, v4
	v_lshl_add_u64 v[6:7], v[4:5], 2, s[8:9]
	global_load_dword v11, v[6:7], off
	v_lshl_add_u64 v[6:7], v[4:5], 3, s[10:11]
	global_load_dwordx2 v[6:7], v[6:7], off
	s_waitcnt vmcnt(1)
	v_subrev_u32_e32 v11, s65, v11
	v_mul_lo_u32 v5, v11, s43
	v_and_b32_e32 v5, 0x1fff, v5
	v_lshl_add_u32 v12, v5, 2, 0
	ds_read_b32 v13, v12
	s_waitcnt lgkmcnt(0)
	v_cmp_ne_u32_e32 vcc, v13, v11
	s_and_saveexec_b64 s[16:17], vcc
	s_cbranch_execz .LBB52_18
; %bb.20:                               ;   in Loop: Header=BB52_19 Depth=2
	s_mov_b64 s[28:29], 0
	s_branch .LBB52_22
.LBB52_21:                              ;   in Loop: Header=BB52_22 Depth=3
	s_or_b64 exec, exec, s[38:39]
	s_and_b64 s[30:31], exec, s[36:37]
	s_or_b64 s[28:29], s[30:31], s[28:29]
	s_andn2_b64 exec, exec, s[28:29]
	s_cbranch_execz .LBB52_17
.LBB52_22:                              ;   Parent Loop BB52_15 Depth=1
                                        ;     Parent Loop BB52_19 Depth=2
                                        ; =>    This Inner Loop Header: Depth=3
	v_cmp_ne_u32_e32 vcc, s33, v13
	s_mov_b64 s[30:31], 0
	s_and_saveexec_b64 s[36:37], vcc
	s_xor_b64 s[36:37], exec, s[36:37]
	s_cbranch_execz .LBB52_24
; %bb.23:                               ;   in Loop: Header=BB52_22 Depth=3
	v_add_u32_e32 v5, 1, v5
	s_mov_b64 s[30:31], exec
	v_and_b32_e32 v5, 0x1fff, v5
                                        ; implicit-def: $vgpr12
	s_andn2_saveexec_b64 s[36:37], s[36:37]
	s_cbranch_execz .LBB52_26
	s_branch .LBB52_25
.LBB52_24:                              ;   in Loop: Header=BB52_22 Depth=3
	s_andn2_saveexec_b64 s[36:37], s[36:37]
	s_cbranch_execz .LBB52_26
.LBB52_25:                              ;   in Loop: Header=BB52_22 Depth=3
	v_mov_b32_e32 v13, s33
	ds_cmpst_rtn_b32 v12, v12, v13, v11
	s_andn2_b64 s[30:31], s[30:31], exec
	s_waitcnt lgkmcnt(0)
	v_cmp_ne_u32_e32 vcc, s33, v12
	s_and_b64 s[38:39], vcc, exec
	s_or_b64 s[30:31], s[30:31], s[38:39]
.LBB52_26:                              ;   in Loop: Header=BB52_22 Depth=3
	s_or_b64 exec, exec, s[36:37]
	s_mov_b64 s[36:37], -1
                                        ; implicit-def: $vgpr12
                                        ; implicit-def: $vgpr13
	s_and_saveexec_b64 s[38:39], s[30:31]
	s_cbranch_execz .LBB52_21
; %bb.27:                               ;   in Loop: Header=BB52_22 Depth=3
	v_lshl_add_u32 v12, v5, 2, 0
	ds_read_b32 v13, v12
	s_waitcnt lgkmcnt(0)
	v_cmp_eq_u32_e32 vcc, v13, v11
	s_orn2_b64 s[36:37], vcc, exec
	s_branch .LBB52_21
.LBB52_28:
	s_or_b64 exec, exec, s[0:1]
.LBB52_29:
	s_andn2_b64 vcc, exec, s[34:35]
	s_cbranch_vccnz .LBB52_44
; %bb.30:
	s_waitcnt lgkmcnt(0)
	s_ashr_i32 s45, s44, 31
	s_lshl_b64 s[0:1], s[44:45], 2
	s_add_u32 s0, s14, s0
	s_addc_u32 s1, s15, s1
	s_load_dwordx2 s[2:3], s[0:1], 0x0
	v_subrev_u32_e32 v2, s67, v0
	s_waitcnt lgkmcnt(0)
	s_sub_i32 s14, s3, s67
	v_add_u32_e32 v2, s2, v2
	v_cmp_gt_i32_e32 vcc, s14, v2
	s_and_saveexec_b64 s[0:1], vcc
	s_cbranch_execz .LBB52_43
; %bb.31:
	s_mov_b64 s[2:3], 0
	s_movk_i32 s15, 0x89
	s_branch .LBB52_34
.LBB52_32:                              ;   in Loop: Header=BB52_34 Depth=1
	s_or_b64 exec, exec, s[6:7]
.LBB52_33:                              ;   in Loop: Header=BB52_34 Depth=1
	s_or_b64 exec, exec, s[4:5]
	s_waitcnt vmcnt(0)
	v_mul_f32_e64 v6, v5, -s41
	v_fmac_f32_e32 v6, s40, v4
	v_mul_f32_e32 v5, s40, v5
	v_lshl_add_u32 v3, v3, 3, 0
	v_fmac_f32_e32 v5, s41, v4
	ds_add_f32 v3, v6 offset:32768
	ds_add_f32 v3, v5 offset:32772
	v_add_u32_e32 v2, 0x400, v2
	v_cmp_le_i32_e32 vcc, s14, v2
	s_or_b64 s[2:3], vcc, s[2:3]
	s_andn2_b64 exec, exec, s[2:3]
	s_cbranch_execz .LBB52_43
.LBB52_34:                              ; =>This Loop Header: Depth=1
                                        ;     Child Loop BB52_37 Depth 2
	v_ashrrev_i32_e32 v3, 31, v2
	v_lshl_add_u64 v[4:5], v[2:3], 2, s[24:25]
	global_load_dword v6, v[4:5], off
	v_lshl_add_u64 v[4:5], v[2:3], 3, s[26:27]
	global_load_dwordx2 v[4:5], v[4:5], off
	s_waitcnt vmcnt(1)
	v_subrev_u32_e32 v6, s67, v6
	v_mul_lo_u32 v3, v6, s15
	v_and_b32_e32 v3, 0x1fff, v3
	v_lshl_add_u32 v7, v3, 2, 0
	ds_read_b32 v8, v7
	s_waitcnt lgkmcnt(0)
	v_cmp_ne_u32_e32 vcc, v8, v6
	s_and_saveexec_b64 s[4:5], vcc
	s_cbranch_execz .LBB52_33
; %bb.35:                               ;   in Loop: Header=BB52_34 Depth=1
	s_mov_b64 s[6:7], 0
	s_branch .LBB52_37
.LBB52_36:                              ;   in Loop: Header=BB52_37 Depth=2
	s_or_b64 exec, exec, s[12:13]
	s_and_b64 s[8:9], exec, s[10:11]
	s_or_b64 s[6:7], s[8:9], s[6:7]
	s_andn2_b64 exec, exec, s[6:7]
	s_cbranch_execz .LBB52_32
.LBB52_37:                              ;   Parent Loop BB52_34 Depth=1
                                        ; =>  This Inner Loop Header: Depth=2
	v_cmp_ne_u32_e32 vcc, s33, v8
	s_mov_b64 s[8:9], 0
	s_and_saveexec_b64 s[10:11], vcc
	s_xor_b64 s[10:11], exec, s[10:11]
	s_cbranch_execz .LBB52_39
; %bb.38:                               ;   in Loop: Header=BB52_37 Depth=2
	v_add_u32_e32 v3, 1, v3
	s_mov_b64 s[8:9], exec
	v_and_b32_e32 v3, 0x1fff, v3
                                        ; implicit-def: $vgpr7
	s_andn2_saveexec_b64 s[10:11], s[10:11]
	s_cbranch_execz .LBB52_41
	s_branch .LBB52_40
.LBB52_39:                              ;   in Loop: Header=BB52_37 Depth=2
	s_andn2_saveexec_b64 s[10:11], s[10:11]
	s_cbranch_execz .LBB52_41
.LBB52_40:                              ;   in Loop: Header=BB52_37 Depth=2
	v_mov_b32_e32 v8, s33
	ds_cmpst_rtn_b32 v7, v7, v8, v6
	s_andn2_b64 s[8:9], s[8:9], exec
	s_waitcnt lgkmcnt(0)
	v_cmp_ne_u32_e32 vcc, s33, v7
	s_and_b64 s[12:13], vcc, exec
	s_or_b64 s[8:9], s[8:9], s[12:13]
.LBB52_41:                              ;   in Loop: Header=BB52_37 Depth=2
	s_or_b64 exec, exec, s[10:11]
	s_mov_b64 s[10:11], -1
                                        ; implicit-def: $vgpr7
                                        ; implicit-def: $vgpr8
	s_and_saveexec_b64 s[12:13], s[8:9]
	s_cbranch_execz .LBB52_36
; %bb.42:                               ;   in Loop: Header=BB52_37 Depth=2
	v_lshl_add_u32 v7, v3, 2, 0
	ds_read_b32 v8, v7
	s_waitcnt lgkmcnt(0)
	v_cmp_eq_u32_e32 vcc, v8, v6
	s_orn2_b64 s[10:11], vcc, exec
	s_branch .LBB52_36
.LBB52_43:
	s_or_b64 exec, exec, s[0:1]
.LBB52_44:
	s_waitcnt lgkmcnt(0)
	v_writelane_b32 v22, s44, 4
	s_add_i32 s0, 0, 0x18000
	v_lshrrev_b32_e32 v4, 3, v0
	v_writelane_b32 v22, s45, 5
	v_writelane_b32 v22, s0, 6
	s_add_i32 s60, 0, 0x18004
	v_mbcnt_lo_u32_b32 v2, -1, 0
	v_and_b32_e32 v4, 0x7c, v4
	v_writelane_b32 v22, s60, 7
	s_add_i32 s60, 0, 0x18008
	v_mbcnt_hi_u32_b32 v2, -1, v2
	v_add_u32_e32 v6, s0, v4
	s_movk_i32 s0, 0x3ff
	v_writelane_b32 v22, s60, 8
	s_add_i32 s60, 0, 0x1800c
	v_sub_u32_e32 v2, 63, v2
	v_cmp_eq_u32_e32 vcc, s0, v0
	s_movk_i32 s0, 0x5f
	s_movk_i32 s2, 0x7f
	;; [unrolled: 1-line block ×29, first 2 shown]
	v_lshl_add_u32 v4, v0, 3, 0
	v_writelane_b32 v22, s60, 9
	s_add_i32 s60, 0, 0x18014
	v_lshrrev_b64 v[2:3], v2, -1
	v_cmp_lt_u32_e64 s[0:1], s0, v0
	v_cmp_lt_u32_e64 s[2:3], s2, v0
	;; [unrolled: 1-line block ×29, first 2 shown]
	v_add_u32_e32 v7, 0x8000, v4
	v_or_b32_e32 v8, 0xfffffc00, v0
	v_mov_b32_e32 v9, 0
	s_add_i32 s79, 0, 0x18010
	v_writelane_b32 v22, s60, 10
	s_add_i32 s82, 0, 0x18018
	s_add_i32 s83, 0, 0x1801c
	s_add_i32 s84, 0, 0x18020
	s_add_i32 s85, 0, 0x18024
	s_add_i32 s86, 0, 0x18028
	s_add_i32 s87, 0, 0x1802c
	s_add_i32 s88, 0, 0x18030
	s_add_i32 s89, 0, 0x18034
	s_add_i32 s90, 0, 0x18038
	s_add_i32 s91, 0, 0x1803c
	s_add_i32 s92, 0, 0x18040
	s_add_i32 s93, 0, 0x18044
	s_add_i32 s94, 0, 0x18048
	s_add_i32 s95, 0, 0x1804c
	s_add_i32 s96, 0, 0x18050
	s_add_i32 s97, 0, 0x18054
	s_add_i32 s98, 0, 0x18058
	s_add_i32 s99, 0, 0x1805c
	s_add_i32 s70, 0, 0x18060
	s_add_i32 s71, 0, 0x18064
	s_add_i32 s72, 0, 0x18068
	s_add_i32 s68, 0, 0x1806c
	s_add_i32 s69, 0, 0x18070
	s_add_i32 s67, 0, 0x18074
	s_add_i32 s73, 0, 0x18078
	s_add_i32 s78, 0, 0x1807c
	v_cmp_lt_u32_e64 s[60:61], 31, v0
	v_cmp_lt_u32_e64 s[62:63], 63, v0
	s_mov_b64 s[74:75], 0
	s_barrier
	s_branch .LBB52_46
.LBB52_45:                              ;   in Loop: Header=BB52_46 Depth=1
	s_or_b64 exec, exec, s[64:65]
	v_mov_b32_e32 v4, s78
	s_waitcnt lgkmcnt(0)
	s_barrier
	ds_read_b32 v4, v4
	v_add_u32_e32 v8, 0x400, v8
	s_movk_i32 s64, 0x1bff
	v_cmp_lt_u32_e64 s[64:65], s64, v8
	v_add_u32_e32 v7, 0x2000, v7
	s_waitcnt lgkmcnt(0)
	v_add_u32_e32 v9, v4, v9
	s_or_b64 s[74:75], s[64:65], s[74:75]
	v_add_u32_e32 v1, 0x1000, v1
	s_andn2_b64 exec, exec, s[74:75]
	s_cbranch_execz .LBB52_112
.LBB52_46:                              ; =>This Inner Loop Header: Depth=1
	ds_read_b32 v10, v1
	ds_read2_b32 v[4:5], v7 offset1:1
	s_waitcnt lgkmcnt(0)
	s_barrier
	v_cmp_gt_i32_e64 s[64:65], s33, v10
	s_bcnt1_i32_b64 s76, s[64:65]
	s_nop 0
	v_and_b32_e32 v12, s64, v2
	v_and_b32_e32 v11, s65, v3
	v_bcnt_u32_b32 v12, v12, 0
	v_bcnt_u32_b32 v11, v11, v12
	v_mov_b32_e32 v12, s76
	ds_write_b32 v6, v12
	s_waitcnt lgkmcnt(0)
	s_barrier
	s_and_saveexec_b64 s[76:77], s[60:61]
	s_cbranch_execz .LBB52_79
; %bb.47:                               ;   in Loop: Header=BB52_46 Depth=1
	v_readlane_b32 s80, v22, 6
	s_nop 1
	v_mov_b32_e32 v12, s80
	ds_read_b32 v12, v12
	s_waitcnt lgkmcnt(0)
	v_add_u32_e32 v11, v12, v11
	s_or_b64 exec, exec, s[76:77]
	s_and_saveexec_b64 s[76:77], s[62:63]
	s_cbranch_execnz .LBB52_80
.LBB52_48:                              ;   in Loop: Header=BB52_46 Depth=1
	s_or_b64 exec, exec, s[76:77]
	s_and_saveexec_b64 s[76:77], s[0:1]
	s_cbranch_execz .LBB52_81
.LBB52_49:                              ;   in Loop: Header=BB52_46 Depth=1
	v_readlane_b32 s80, v22, 8
	s_nop 1
	v_mov_b32_e32 v12, s80
	ds_read_b32 v12, v12
	s_waitcnt lgkmcnt(0)
	v_add_u32_e32 v11, v12, v11
	s_or_b64 exec, exec, s[76:77]
	s_and_saveexec_b64 s[76:77], s[2:3]
	s_cbranch_execnz .LBB52_82
.LBB52_50:                              ;   in Loop: Header=BB52_46 Depth=1
	s_or_b64 exec, exec, s[76:77]
	s_and_saveexec_b64 s[76:77], s[4:5]
	s_cbranch_execz .LBB52_83
.LBB52_51:                              ;   in Loop: Header=BB52_46 Depth=1
	v_mov_b32_e32 v12, s79
	ds_read_b32 v12, v12
	s_waitcnt lgkmcnt(0)
	v_add_u32_e32 v11, v12, v11
	s_or_b64 exec, exec, s[76:77]
	s_and_saveexec_b64 s[76:77], s[6:7]
	s_cbranch_execnz .LBB52_84
.LBB52_52:                              ;   in Loop: Header=BB52_46 Depth=1
	s_or_b64 exec, exec, s[76:77]
	s_and_saveexec_b64 s[76:77], s[8:9]
	s_cbranch_execz .LBB52_85
.LBB52_53:                              ;   in Loop: Header=BB52_46 Depth=1
	v_mov_b32_e32 v12, s82
	ds_read_b32 v12, v12
	s_waitcnt lgkmcnt(0)
	v_add_u32_e32 v11, v12, v11
	s_or_b64 exec, exec, s[76:77]
	s_and_saveexec_b64 s[76:77], s[10:11]
	s_cbranch_execnz .LBB52_86
.LBB52_54:                              ;   in Loop: Header=BB52_46 Depth=1
	s_or_b64 exec, exec, s[76:77]
	s_and_saveexec_b64 s[76:77], s[12:13]
	s_cbranch_execz .LBB52_87
.LBB52_55:                              ;   in Loop: Header=BB52_46 Depth=1
	v_mov_b32_e32 v12, s84
	ds_read_b32 v12, v12
	s_waitcnt lgkmcnt(0)
	v_add_u32_e32 v11, v12, v11
	s_or_b64 exec, exec, s[76:77]
	s_and_saveexec_b64 s[76:77], s[14:15]
	s_cbranch_execnz .LBB52_88
.LBB52_56:                              ;   in Loop: Header=BB52_46 Depth=1
	s_or_b64 exec, exec, s[76:77]
	s_and_saveexec_b64 s[76:77], s[16:17]
	s_cbranch_execz .LBB52_89
.LBB52_57:                              ;   in Loop: Header=BB52_46 Depth=1
	v_mov_b32_e32 v12, s86
	ds_read_b32 v12, v12
	s_waitcnt lgkmcnt(0)
	v_add_u32_e32 v11, v12, v11
	s_or_b64 exec, exec, s[76:77]
	s_and_saveexec_b64 s[76:77], s[18:19]
	s_cbranch_execnz .LBB52_90
.LBB52_58:                              ;   in Loop: Header=BB52_46 Depth=1
	s_or_b64 exec, exec, s[76:77]
	s_and_saveexec_b64 s[76:77], s[20:21]
	s_cbranch_execz .LBB52_91
.LBB52_59:                              ;   in Loop: Header=BB52_46 Depth=1
	v_mov_b32_e32 v12, s88
	ds_read_b32 v12, v12
	s_waitcnt lgkmcnt(0)
	v_add_u32_e32 v11, v12, v11
	s_or_b64 exec, exec, s[76:77]
	s_and_saveexec_b64 s[76:77], s[22:23]
	s_cbranch_execnz .LBB52_92
.LBB52_60:                              ;   in Loop: Header=BB52_46 Depth=1
	s_or_b64 exec, exec, s[76:77]
	s_and_saveexec_b64 s[76:77], s[24:25]
	s_cbranch_execz .LBB52_93
.LBB52_61:                              ;   in Loop: Header=BB52_46 Depth=1
	v_mov_b32_e32 v12, s90
	ds_read_b32 v12, v12
	s_waitcnt lgkmcnt(0)
	v_add_u32_e32 v11, v12, v11
	s_or_b64 exec, exec, s[76:77]
	s_and_saveexec_b64 s[76:77], s[26:27]
	s_cbranch_execnz .LBB52_94
.LBB52_62:                              ;   in Loop: Header=BB52_46 Depth=1
	s_or_b64 exec, exec, s[76:77]
	s_and_saveexec_b64 s[76:77], s[28:29]
	s_cbranch_execz .LBB52_95
.LBB52_63:                              ;   in Loop: Header=BB52_46 Depth=1
	v_mov_b32_e32 v12, s92
	ds_read_b32 v12, v12
	s_waitcnt lgkmcnt(0)
	v_add_u32_e32 v11, v12, v11
	s_or_b64 exec, exec, s[76:77]
	s_and_saveexec_b64 s[76:77], s[30:31]
	s_cbranch_execnz .LBB52_96
.LBB52_64:                              ;   in Loop: Header=BB52_46 Depth=1
	s_or_b64 exec, exec, s[76:77]
	s_and_saveexec_b64 s[76:77], s[34:35]
	s_cbranch_execz .LBB52_97
.LBB52_65:                              ;   in Loop: Header=BB52_46 Depth=1
	v_mov_b32_e32 v12, s94
	ds_read_b32 v12, v12
	s_waitcnt lgkmcnt(0)
	v_add_u32_e32 v11, v12, v11
	s_or_b64 exec, exec, s[76:77]
	s_and_saveexec_b64 s[76:77], s[36:37]
	s_cbranch_execnz .LBB52_98
.LBB52_66:                              ;   in Loop: Header=BB52_46 Depth=1
	s_or_b64 exec, exec, s[76:77]
	s_and_saveexec_b64 s[76:77], s[38:39]
	s_cbranch_execz .LBB52_99
.LBB52_67:                              ;   in Loop: Header=BB52_46 Depth=1
	v_mov_b32_e32 v12, s96
	ds_read_b32 v12, v12
	s_waitcnt lgkmcnt(0)
	v_add_u32_e32 v11, v12, v11
	s_or_b64 exec, exec, s[76:77]
	s_and_saveexec_b64 s[76:77], s[40:41]
	s_cbranch_execnz .LBB52_100
.LBB52_68:                              ;   in Loop: Header=BB52_46 Depth=1
	s_or_b64 exec, exec, s[76:77]
	s_and_saveexec_b64 s[76:77], s[42:43]
	s_cbranch_execz .LBB52_101
.LBB52_69:                              ;   in Loop: Header=BB52_46 Depth=1
	v_mov_b32_e32 v12, s98
	ds_read_b32 v12, v12
	s_waitcnt lgkmcnt(0)
	v_add_u32_e32 v11, v12, v11
	s_or_b64 exec, exec, s[76:77]
	s_and_saveexec_b64 s[76:77], s[44:45]
	s_cbranch_execnz .LBB52_102
.LBB52_70:                              ;   in Loop: Header=BB52_46 Depth=1
	s_or_b64 exec, exec, s[76:77]
	s_and_saveexec_b64 s[76:77], s[46:47]
	s_cbranch_execz .LBB52_103
.LBB52_71:                              ;   in Loop: Header=BB52_46 Depth=1
	v_mov_b32_e32 v12, s70
	ds_read_b32 v12, v12
	s_waitcnt lgkmcnt(0)
	v_add_u32_e32 v11, v12, v11
	s_or_b64 exec, exec, s[76:77]
	s_and_saveexec_b64 s[76:77], s[48:49]
	s_cbranch_execnz .LBB52_104
.LBB52_72:                              ;   in Loop: Header=BB52_46 Depth=1
	s_or_b64 exec, exec, s[76:77]
	s_and_saveexec_b64 s[76:77], s[50:51]
	s_cbranch_execz .LBB52_105
.LBB52_73:                              ;   in Loop: Header=BB52_46 Depth=1
	v_mov_b32_e32 v12, s72
	ds_read_b32 v12, v12
	s_waitcnt lgkmcnt(0)
	v_add_u32_e32 v11, v12, v11
	s_or_b64 exec, exec, s[76:77]
	s_and_saveexec_b64 s[76:77], s[52:53]
	s_cbranch_execnz .LBB52_106
.LBB52_74:                              ;   in Loop: Header=BB52_46 Depth=1
	s_or_b64 exec, exec, s[76:77]
	s_and_saveexec_b64 s[76:77], s[54:55]
	s_cbranch_execz .LBB52_107
.LBB52_75:                              ;   in Loop: Header=BB52_46 Depth=1
	v_mov_b32_e32 v12, s69
	ds_read_b32 v12, v12
	s_waitcnt lgkmcnt(0)
	v_add_u32_e32 v11, v12, v11
	s_or_b64 exec, exec, s[76:77]
	s_and_saveexec_b64 s[76:77], s[56:57]
	s_cbranch_execnz .LBB52_108
.LBB52_76:                              ;   in Loop: Header=BB52_46 Depth=1
	s_or_b64 exec, exec, s[76:77]
	s_and_saveexec_b64 s[76:77], s[58:59]
	s_cbranch_execz .LBB52_109
.LBB52_77:                              ;   in Loop: Header=BB52_46 Depth=1
	v_mov_b32_e32 v12, s73
	ds_read_b32 v12, v12
	s_waitcnt lgkmcnt(0)
	v_add_u32_e32 v11, v12, v11
	s_or_b64 exec, exec, s[76:77]
	s_and_saveexec_b64 s[76:77], s[64:65]
	s_cbranch_execnz .LBB52_110
.LBB52_78:                              ;   in Loop: Header=BB52_46 Depth=1
	s_or_b64 exec, exec, s[76:77]
	s_and_saveexec_b64 s[64:65], vcc
	s_cbranch_execz .LBB52_45
	s_branch .LBB52_111
.LBB52_79:                              ;   in Loop: Header=BB52_46 Depth=1
	s_or_b64 exec, exec, s[76:77]
	s_and_saveexec_b64 s[76:77], s[62:63]
	s_cbranch_execz .LBB52_48
.LBB52_80:                              ;   in Loop: Header=BB52_46 Depth=1
	v_readlane_b32 s80, v22, 7
	s_nop 1
	v_mov_b32_e32 v12, s80
	ds_read_b32 v12, v12
	s_waitcnt lgkmcnt(0)
	v_add_u32_e32 v11, v12, v11
	s_or_b64 exec, exec, s[76:77]
	s_and_saveexec_b64 s[76:77], s[0:1]
	s_cbranch_execnz .LBB52_49
.LBB52_81:                              ;   in Loop: Header=BB52_46 Depth=1
	s_or_b64 exec, exec, s[76:77]
	s_and_saveexec_b64 s[76:77], s[2:3]
	s_cbranch_execz .LBB52_50
.LBB52_82:                              ;   in Loop: Header=BB52_46 Depth=1
	v_readlane_b32 s80, v22, 9
	s_nop 1
	v_mov_b32_e32 v12, s80
	ds_read_b32 v12, v12
	s_waitcnt lgkmcnt(0)
	v_add_u32_e32 v11, v12, v11
	s_or_b64 exec, exec, s[76:77]
	s_and_saveexec_b64 s[76:77], s[4:5]
	s_cbranch_execnz .LBB52_51
.LBB52_83:                              ;   in Loop: Header=BB52_46 Depth=1
	s_or_b64 exec, exec, s[76:77]
	s_and_saveexec_b64 s[76:77], s[6:7]
	s_cbranch_execz .LBB52_52
.LBB52_84:                              ;   in Loop: Header=BB52_46 Depth=1
	v_readlane_b32 s80, v22, 10
	s_nop 1
	v_mov_b32_e32 v12, s80
	ds_read_b32 v12, v12
	s_waitcnt lgkmcnt(0)
	v_add_u32_e32 v11, v12, v11
	s_or_b64 exec, exec, s[76:77]
	s_and_saveexec_b64 s[76:77], s[8:9]
	s_cbranch_execnz .LBB52_53
.LBB52_85:                              ;   in Loop: Header=BB52_46 Depth=1
	s_or_b64 exec, exec, s[76:77]
	s_and_saveexec_b64 s[76:77], s[10:11]
	s_cbranch_execz .LBB52_54
.LBB52_86:                              ;   in Loop: Header=BB52_46 Depth=1
	v_mov_b32_e32 v12, s83
	ds_read_b32 v12, v12
	s_waitcnt lgkmcnt(0)
	v_add_u32_e32 v11, v12, v11
	s_or_b64 exec, exec, s[76:77]
	s_and_saveexec_b64 s[76:77], s[12:13]
	s_cbranch_execnz .LBB52_55
.LBB52_87:                              ;   in Loop: Header=BB52_46 Depth=1
	s_or_b64 exec, exec, s[76:77]
	s_and_saveexec_b64 s[76:77], s[14:15]
	s_cbranch_execz .LBB52_56
.LBB52_88:                              ;   in Loop: Header=BB52_46 Depth=1
	v_mov_b32_e32 v12, s85
	ds_read_b32 v12, v12
	s_waitcnt lgkmcnt(0)
	v_add_u32_e32 v11, v12, v11
	s_or_b64 exec, exec, s[76:77]
	s_and_saveexec_b64 s[76:77], s[16:17]
	s_cbranch_execnz .LBB52_57
.LBB52_89:                              ;   in Loop: Header=BB52_46 Depth=1
	s_or_b64 exec, exec, s[76:77]
	s_and_saveexec_b64 s[76:77], s[18:19]
	s_cbranch_execz .LBB52_58
.LBB52_90:                              ;   in Loop: Header=BB52_46 Depth=1
	v_mov_b32_e32 v12, s87
	ds_read_b32 v12, v12
	s_waitcnt lgkmcnt(0)
	v_add_u32_e32 v11, v12, v11
	s_or_b64 exec, exec, s[76:77]
	s_and_saveexec_b64 s[76:77], s[20:21]
	s_cbranch_execnz .LBB52_59
.LBB52_91:                              ;   in Loop: Header=BB52_46 Depth=1
	s_or_b64 exec, exec, s[76:77]
	s_and_saveexec_b64 s[76:77], s[22:23]
	s_cbranch_execz .LBB52_60
.LBB52_92:                              ;   in Loop: Header=BB52_46 Depth=1
	v_mov_b32_e32 v12, s89
	ds_read_b32 v12, v12
	s_waitcnt lgkmcnt(0)
	v_add_u32_e32 v11, v12, v11
	s_or_b64 exec, exec, s[76:77]
	s_and_saveexec_b64 s[76:77], s[24:25]
	s_cbranch_execnz .LBB52_61
.LBB52_93:                              ;   in Loop: Header=BB52_46 Depth=1
	s_or_b64 exec, exec, s[76:77]
	s_and_saveexec_b64 s[76:77], s[26:27]
	s_cbranch_execz .LBB52_62
.LBB52_94:                              ;   in Loop: Header=BB52_46 Depth=1
	v_mov_b32_e32 v12, s91
	ds_read_b32 v12, v12
	s_waitcnt lgkmcnt(0)
	v_add_u32_e32 v11, v12, v11
	s_or_b64 exec, exec, s[76:77]
	s_and_saveexec_b64 s[76:77], s[28:29]
	s_cbranch_execnz .LBB52_63
.LBB52_95:                              ;   in Loop: Header=BB52_46 Depth=1
	s_or_b64 exec, exec, s[76:77]
	s_and_saveexec_b64 s[76:77], s[30:31]
	s_cbranch_execz .LBB52_64
.LBB52_96:                              ;   in Loop: Header=BB52_46 Depth=1
	v_mov_b32_e32 v12, s93
	ds_read_b32 v12, v12
	s_waitcnt lgkmcnt(0)
	v_add_u32_e32 v11, v12, v11
	s_or_b64 exec, exec, s[76:77]
	s_and_saveexec_b64 s[76:77], s[34:35]
	s_cbranch_execnz .LBB52_65
.LBB52_97:                              ;   in Loop: Header=BB52_46 Depth=1
	s_or_b64 exec, exec, s[76:77]
	s_and_saveexec_b64 s[76:77], s[36:37]
	s_cbranch_execz .LBB52_66
.LBB52_98:                              ;   in Loop: Header=BB52_46 Depth=1
	v_mov_b32_e32 v12, s95
	ds_read_b32 v12, v12
	s_waitcnt lgkmcnt(0)
	v_add_u32_e32 v11, v12, v11
	s_or_b64 exec, exec, s[76:77]
	s_and_saveexec_b64 s[76:77], s[38:39]
	s_cbranch_execnz .LBB52_67
.LBB52_99:                              ;   in Loop: Header=BB52_46 Depth=1
	s_or_b64 exec, exec, s[76:77]
	s_and_saveexec_b64 s[76:77], s[40:41]
	s_cbranch_execz .LBB52_68
.LBB52_100:                             ;   in Loop: Header=BB52_46 Depth=1
	v_mov_b32_e32 v12, s97
	ds_read_b32 v12, v12
	s_waitcnt lgkmcnt(0)
	v_add_u32_e32 v11, v12, v11
	s_or_b64 exec, exec, s[76:77]
	s_and_saveexec_b64 s[76:77], s[42:43]
	s_cbranch_execnz .LBB52_69
.LBB52_101:                             ;   in Loop: Header=BB52_46 Depth=1
	s_or_b64 exec, exec, s[76:77]
	s_and_saveexec_b64 s[76:77], s[44:45]
	s_cbranch_execz .LBB52_70
.LBB52_102:                             ;   in Loop: Header=BB52_46 Depth=1
	v_mov_b32_e32 v12, s99
	ds_read_b32 v12, v12
	s_waitcnt lgkmcnt(0)
	v_add_u32_e32 v11, v12, v11
	s_or_b64 exec, exec, s[76:77]
	s_and_saveexec_b64 s[76:77], s[46:47]
	s_cbranch_execnz .LBB52_71
.LBB52_103:                             ;   in Loop: Header=BB52_46 Depth=1
	s_or_b64 exec, exec, s[76:77]
	s_and_saveexec_b64 s[76:77], s[48:49]
	s_cbranch_execz .LBB52_72
.LBB52_104:                             ;   in Loop: Header=BB52_46 Depth=1
	v_mov_b32_e32 v12, s71
	ds_read_b32 v12, v12
	s_waitcnt lgkmcnt(0)
	v_add_u32_e32 v11, v12, v11
	s_or_b64 exec, exec, s[76:77]
	s_and_saveexec_b64 s[76:77], s[50:51]
	s_cbranch_execnz .LBB52_73
.LBB52_105:                             ;   in Loop: Header=BB52_46 Depth=1
	s_or_b64 exec, exec, s[76:77]
	s_and_saveexec_b64 s[76:77], s[52:53]
	s_cbranch_execz .LBB52_74
.LBB52_106:                             ;   in Loop: Header=BB52_46 Depth=1
	v_mov_b32_e32 v12, s68
	ds_read_b32 v12, v12
	s_waitcnt lgkmcnt(0)
	v_add_u32_e32 v11, v12, v11
	s_or_b64 exec, exec, s[76:77]
	s_and_saveexec_b64 s[76:77], s[54:55]
	s_cbranch_execnz .LBB52_75
.LBB52_107:                             ;   in Loop: Header=BB52_46 Depth=1
	s_or_b64 exec, exec, s[76:77]
	s_and_saveexec_b64 s[76:77], s[56:57]
	s_cbranch_execz .LBB52_76
.LBB52_108:                             ;   in Loop: Header=BB52_46 Depth=1
	v_mov_b32_e32 v12, s67
	ds_read_b32 v12, v12
	s_waitcnt lgkmcnt(0)
	v_add_u32_e32 v11, v12, v11
	s_or_b64 exec, exec, s[76:77]
	s_and_saveexec_b64 s[76:77], s[58:59]
	s_cbranch_execnz .LBB52_77
.LBB52_109:                             ;   in Loop: Header=BB52_46 Depth=1
	s_or_b64 exec, exec, s[76:77]
	s_and_saveexec_b64 s[76:77], s[64:65]
	s_cbranch_execz .LBB52_78
.LBB52_110:                             ;   in Loop: Header=BB52_46 Depth=1
	v_add3_u32 v12, v9, -1, v11
	v_add_u32_e32 v13, v9, v11
	v_lshl_add_u32 v12, v12, 2, 0
	v_lshl_add_u32 v13, v13, 3, 0
	v_add_u32_e32 v13, 0x7ff8, v13
	ds_write_b32 v12, v10
	ds_write2_b32 v13, v4, v5 offset1:1
	s_or_b64 exec, exec, s[76:77]
	s_and_saveexec_b64 s[64:65], vcc
	s_cbranch_execz .LBB52_45
.LBB52_111:                             ;   in Loop: Header=BB52_46 Depth=1
	v_mov_b32_e32 v4, s78
	ds_write_b32 v4, v11
	s_branch .LBB52_45
.LBB52_112:
	s_or_b64 exec, exec, s[74:75]
	v_readlane_b32 s0, v22, 4
	v_readlane_b32 s1, v22, 5
	s_ashr_i32 s1, s0, 31
	s_lshl_b64 s[0:1], s[0:1], 2
	v_readlane_b32 s2, v22, 0
	v_readlane_b32 s3, v22, 1
	s_add_u32 s2, s2, s0
	s_addc_u32 s3, s3, s1
	s_load_dwordx2 s[0:1], s[2:3], 0x0
	s_waitcnt lgkmcnt(0)
	s_sub_i32 s14, s1, s0
	v_cmp_gt_i32_e32 vcc, s14, v0
	s_and_saveexec_b64 s[2:3], vcc
	s_cbranch_execz .LBB52_126
; %bb.113:
	s_sub_i32 s8, s0, s66
	v_sub_co_u32_e64 v1, s[0:1], s14, 2
	s_nop 0
	v_readfirstlane_b32 s2, v1
	s_lshr_b32 s2, s2, 1
	s_add_i32 s2, s2, 1
	s_xor_b64 s[0:1], s[0:1], -1
	s_and_b32 s15, s14, -2
	s_and_b32 s3, s2, 7
	s_and_b32 s16, s2, -8
	s_cmp_lg_u32 s3, 0
	v_cmp_lt_u32_e32 vcc, 13, v1
	s_cselect_b64 s[4:5], -1, 0
	s_cmp_lg_u32 s14, s15
	v_cndmask_b32_e64 v1, 0, 1, vcc
	s_cselect_b64 s[10:11], -1, 0
	s_lshl_b32 s17, s3, 3
	v_cndmask_b32_e64 v2, 0, 1, s[0:1]
	v_cmp_ne_u32_e64 s[2:3], 1, v1
	v_cndmask_b32_e64 v1, 0, 1, s[4:5]
	s_mov_b32 s9, 0
	s_mov_b64 s[12:13], 0
	s_mov_b32 s18, 0x8000
	v_cmp_ne_u32_e64 s[0:1], 1, v2
	v_cmp_ne_u32_e64 s[4:5], 1, v1
	s_branch .LBB52_115
.LBB52_114:                             ;   in Loop: Header=BB52_115 Depth=1
	v_readlane_b32 s6, v22, 2
	v_add_u32_e32 v0, 0x400, v0
	v_ashrrev_i32_e32 v5, 31, v4
	v_readlane_b32 s7, v22, 3
	v_cmp_le_i32_e32 vcc, s14, v0
	s_or_b64 s[12:13], vcc, s[12:13]
	v_lshl_add_u64 v[4:5], v[4:5], 3, s[6:7]
	s_waitcnt lgkmcnt(0)
	global_store_dwordx2 v[4:5], v[2:3], off
	s_andn2_b64 exec, exec, s[12:13]
	s_cbranch_execz .LBB52_126
.LBB52_115:                             ; =>This Loop Header: Depth=1
                                        ;     Child Loop BB52_118 Depth 2
                                        ;     Child Loop BB52_121 Depth 2
	;; [unrolled: 1-line block ×3, first 2 shown]
	v_lshlrev_b32_e32 v1, 2, v0
	v_add_u32_e32 v2, 0, v1
	v_add3_u32 v3, v2, v1, s18
	ds_read_b32 v1, v2
	ds_read2_b32 v[2:3], v3 offset1:1
	s_and_b64 vcc, exec, s[0:1]
	v_mov_b32_e32 v4, s8
	s_mov_b32 s19, 0
	s_mov_b64 s[6:7], -1
	s_cbranch_vccnz .LBB52_123
; %bb.116:                              ;   in Loop: Header=BB52_115 Depth=1
	s_and_b64 vcc, exec, s[2:3]
	v_mov_b64_e32 v[4:5], s[8:9]
	s_cbranch_vccnz .LBB52_119
; %bb.117:                              ;   in Loop: Header=BB52_115 Depth=1
	s_mov_b32 s20, 0
	v_mov_b32_e32 v4, s8
	v_mov_b32_e32 v5, 0
	s_mov_b32 s21, s16
.LBB52_118:                             ;   Parent Loop BB52_115 Depth=1
                                        ; =>  This Inner Loop Header: Depth=2
	v_mov_b32_e32 v20, s20
	ds_read2_b32 v[6:7], v20 offset1:1
	ds_read2_b32 v[8:9], v20 offset0:2 offset1:3
	ds_read2_b32 v[10:11], v20 offset0:4 offset1:5
	ds_read2_b32 v[12:13], v20 offset0:6 offset1:7
	ds_read2_b32 v[14:15], v20 offset0:8 offset1:9
	ds_read2_b32 v[16:17], v20 offset0:10 offset1:11
	ds_read2_b32 v[18:19], v20 offset0:12 offset1:13
	ds_read2_b32 v[20:21], v20 offset0:14 offset1:15
	s_waitcnt lgkmcnt(7)
	v_cmp_gt_i32_e32 vcc, v1, v7
	s_waitcnt lgkmcnt(5)
	v_cmp_gt_i32_e64 s[6:7], v1, v10
	s_add_i32 s19, s19, 16
	v_cndmask_b32_e64 v7, 0, 1, vcc
	v_cmp_gt_i32_e32 vcc, v1, v6
	s_add_i32 s20, s20, 64
	s_add_i32 s21, s21, -8
	v_cndmask_b32_e64 v6, 0, 1, vcc
	v_cmp_gt_i32_e32 vcc, v1, v9
	v_cndmask_b32_e64 v9, 0, 1, s[6:7]
	v_cmp_gt_i32_e64 s[6:7], v1, v11
	v_addc_co_u32_e32 v5, vcc, v5, v7, vcc
	s_nop 0
	v_cndmask_b32_e64 v10, 0, 1, s[6:7]
	s_waitcnt lgkmcnt(3)
	v_cmp_gt_i32_e64 s[6:7], v1, v15
	v_cmp_gt_i32_e32 vcc, v1, v12
	s_cmp_lg_u32 s21, 0
	v_cndmask_b32_e64 v11, 0, 1, s[6:7]
	v_cmp_gt_i32_e64 s[6:7], v1, v14
	s_nop 1
	v_cndmask_b32_e64 v14, 0, 1, s[6:7]
	s_waitcnt lgkmcnt(1)
	v_cmp_gt_i32_e64 s[6:7], v1, v18
	s_nop 1
	v_cndmask_b32_e64 v15, 0, 1, s[6:7]
	v_cmp_gt_i32_e64 s[6:7], v1, v19
	s_nop 1
	v_cndmask_b32_e64 v18, 0, 1, s[6:7]
	v_cmp_gt_i32_e64 s[6:7], v1, v8
	s_nop 1
	v_addc_co_u32_e64 v4, s[6:7], v4, v6, s[6:7]
	v_cmp_gt_i32_e64 s[6:7], v1, v13
	v_addc_co_u32_e32 v4, vcc, v4, v9, vcc
	s_nop 0
	v_addc_co_u32_e64 v5, s[6:7], v5, v10, s[6:7]
	v_cmp_gt_i32_e32 vcc, v1, v17
	v_cmp_gt_i32_e64 s[6:7], v1, v16
	s_nop 0
	v_addc_co_u32_e32 v5, vcc, v5, v11, vcc
	v_addc_co_u32_e64 v4, s[6:7], v4, v14, s[6:7]
	s_waitcnt lgkmcnt(0)
	v_cmp_gt_i32_e32 vcc, v1, v20
	v_cmp_gt_i32_e64 s[6:7], v1, v21
	s_nop 0
	v_addc_co_u32_e32 v4, vcc, v4, v15, vcc
	v_addc_co_u32_e64 v5, s[6:7], v5, v18, s[6:7]
	s_cbranch_scc1 .LBB52_118
.LBB52_119:                             ;   in Loop: Header=BB52_115 Depth=1
	s_and_b64 vcc, exec, s[4:5]
	s_cbranch_vccnz .LBB52_122
; %bb.120:                              ;   in Loop: Header=BB52_115 Depth=1
	s_lshl_b32 s6, s19, 2
	s_add_i32 s6, s6, 0
	s_mov_b32 s7, s17
.LBB52_121:                             ;   Parent Loop BB52_115 Depth=1
                                        ; =>  This Inner Loop Header: Depth=2
	v_mov_b32_e32 v6, s6
	ds_read2_b32 v[6:7], v6 offset1:1
	s_add_i32 s6, s6, 8
	s_add_i32 s7, s7, -8
	s_cmp_lg_u32 s7, 0
	s_waitcnt lgkmcnt(0)
	v_cmp_gt_i32_e32 vcc, v1, v7
	s_nop 1
	v_addc_co_u32_e32 v5, vcc, 0, v5, vcc
	v_cmp_gt_i32_e32 vcc, v1, v6
	s_nop 1
	v_addc_co_u32_e32 v4, vcc, 0, v4, vcc
	s_cbranch_scc1 .LBB52_121
.LBB52_122:                             ;   in Loop: Header=BB52_115 Depth=1
	v_add_u32_e32 v4, v4, v5
	s_mov_b32 s19, s15
	s_mov_b64 s[6:7], s[10:11]
.LBB52_123:                             ;   in Loop: Header=BB52_115 Depth=1
	s_and_b64 vcc, exec, s[6:7]
	s_cbranch_vccz .LBB52_114
; %bb.124:                              ;   in Loop: Header=BB52_115 Depth=1
	s_lshl_b32 s6, s19, 2
	s_add_i32 s6, s6, 0
.LBB52_125:                             ;   Parent Loop BB52_115 Depth=1
                                        ; =>  This Inner Loop Header: Depth=2
	v_mov_b32_e32 v5, s6
	ds_read_b32 v5, v5
	s_add_i32 s19, s19, 1
	s_add_i32 s6, s6, 4
	s_cmp_ge_i32 s19, s14
	s_waitcnt lgkmcnt(0)
	v_cmp_gt_i32_e32 vcc, v1, v5
	s_nop 1
	v_addc_co_u32_e32 v4, vcc, 0, v4, vcc
	s_cbranch_scc0 .LBB52_125
	s_branch .LBB52_114
.LBB52_126:
	s_endpgm
	.section	.rodata,"a",@progbits
	.p2align	6, 0x0
	.amdhsa_kernel _ZN9rocsparseL41csrgemm_numeric_fill_block_per_row_kernelILj1024ELj64ELj8192ELj137ELj32Eii21rocsparse_complex_numIfEEEvT5_PKS3_S5_NS_24const_host_device_scalarIT6_EEPKT4_S5_PKS7_SB_S5_SD_S8_SB_S5_SD_SB_S5_PS7_21rocsparse_index_base_SF_SF_SF_bbb
		.amdhsa_group_segment_fixed_size 0
		.amdhsa_private_segment_fixed_size 0
		.amdhsa_kernarg_size 156
		.amdhsa_user_sgpr_count 2
		.amdhsa_user_sgpr_dispatch_ptr 0
		.amdhsa_user_sgpr_queue_ptr 0
		.amdhsa_user_sgpr_kernarg_segment_ptr 1
		.amdhsa_user_sgpr_dispatch_id 0
		.amdhsa_user_sgpr_kernarg_preload_length 0
		.amdhsa_user_sgpr_kernarg_preload_offset 0
		.amdhsa_user_sgpr_private_segment_size 0
		.amdhsa_uses_dynamic_stack 0
		.amdhsa_enable_private_segment 0
		.amdhsa_system_sgpr_workgroup_id_x 1
		.amdhsa_system_sgpr_workgroup_id_y 0
		.amdhsa_system_sgpr_workgroup_id_z 0
		.amdhsa_system_sgpr_workgroup_info 0
		.amdhsa_system_vgpr_workitem_id 0
		.amdhsa_next_free_vgpr 23
		.amdhsa_next_free_sgpr 100
		.amdhsa_accum_offset 24
		.amdhsa_reserve_vcc 1
		.amdhsa_float_round_mode_32 0
		.amdhsa_float_round_mode_16_64 0
		.amdhsa_float_denorm_mode_32 3
		.amdhsa_float_denorm_mode_16_64 3
		.amdhsa_dx10_clamp 1
		.amdhsa_ieee_mode 1
		.amdhsa_fp16_overflow 0
		.amdhsa_tg_split 0
		.amdhsa_exception_fp_ieee_invalid_op 0
		.amdhsa_exception_fp_denorm_src 0
		.amdhsa_exception_fp_ieee_div_zero 0
		.amdhsa_exception_fp_ieee_overflow 0
		.amdhsa_exception_fp_ieee_underflow 0
		.amdhsa_exception_fp_ieee_inexact 0
		.amdhsa_exception_int_div_zero 0
	.end_amdhsa_kernel
	.section	.text._ZN9rocsparseL41csrgemm_numeric_fill_block_per_row_kernelILj1024ELj64ELj8192ELj137ELj32Eii21rocsparse_complex_numIfEEEvT5_PKS3_S5_NS_24const_host_device_scalarIT6_EEPKT4_S5_PKS7_SB_S5_SD_S8_SB_S5_SD_SB_S5_PS7_21rocsparse_index_base_SF_SF_SF_bbb,"axG",@progbits,_ZN9rocsparseL41csrgemm_numeric_fill_block_per_row_kernelILj1024ELj64ELj8192ELj137ELj32Eii21rocsparse_complex_numIfEEEvT5_PKS3_S5_NS_24const_host_device_scalarIT6_EEPKT4_S5_PKS7_SB_S5_SD_S8_SB_S5_SD_SB_S5_PS7_21rocsparse_index_base_SF_SF_SF_bbb,comdat
.Lfunc_end52:
	.size	_ZN9rocsparseL41csrgemm_numeric_fill_block_per_row_kernelILj1024ELj64ELj8192ELj137ELj32Eii21rocsparse_complex_numIfEEEvT5_PKS3_S5_NS_24const_host_device_scalarIT6_EEPKT4_S5_PKS7_SB_S5_SD_S8_SB_S5_SD_SB_S5_PS7_21rocsparse_index_base_SF_SF_SF_bbb, .Lfunc_end52-_ZN9rocsparseL41csrgemm_numeric_fill_block_per_row_kernelILj1024ELj64ELj8192ELj137ELj32Eii21rocsparse_complex_numIfEEEvT5_PKS3_S5_NS_24const_host_device_scalarIT6_EEPKT4_S5_PKS7_SB_S5_SD_S8_SB_S5_SD_SB_S5_PS7_21rocsparse_index_base_SF_SF_SF_bbb
                                        ; -- End function
	.set _ZN9rocsparseL41csrgemm_numeric_fill_block_per_row_kernelILj1024ELj64ELj8192ELj137ELj32Eii21rocsparse_complex_numIfEEEvT5_PKS3_S5_NS_24const_host_device_scalarIT6_EEPKT4_S5_PKS7_SB_S5_SD_S8_SB_S5_SD_SB_S5_PS7_21rocsparse_index_base_SF_SF_SF_bbb.num_vgpr, 23
	.set _ZN9rocsparseL41csrgemm_numeric_fill_block_per_row_kernelILj1024ELj64ELj8192ELj137ELj32Eii21rocsparse_complex_numIfEEEvT5_PKS3_S5_NS_24const_host_device_scalarIT6_EEPKT4_S5_PKS7_SB_S5_SD_S8_SB_S5_SD_SB_S5_PS7_21rocsparse_index_base_SF_SF_SF_bbb.num_agpr, 0
	.set _ZN9rocsparseL41csrgemm_numeric_fill_block_per_row_kernelILj1024ELj64ELj8192ELj137ELj32Eii21rocsparse_complex_numIfEEEvT5_PKS3_S5_NS_24const_host_device_scalarIT6_EEPKT4_S5_PKS7_SB_S5_SD_S8_SB_S5_SD_SB_S5_PS7_21rocsparse_index_base_SF_SF_SF_bbb.numbered_sgpr, 100
	.set _ZN9rocsparseL41csrgemm_numeric_fill_block_per_row_kernelILj1024ELj64ELj8192ELj137ELj32Eii21rocsparse_complex_numIfEEEvT5_PKS3_S5_NS_24const_host_device_scalarIT6_EEPKT4_S5_PKS7_SB_S5_SD_S8_SB_S5_SD_SB_S5_PS7_21rocsparse_index_base_SF_SF_SF_bbb.num_named_barrier, 0
	.set _ZN9rocsparseL41csrgemm_numeric_fill_block_per_row_kernelILj1024ELj64ELj8192ELj137ELj32Eii21rocsparse_complex_numIfEEEvT5_PKS3_S5_NS_24const_host_device_scalarIT6_EEPKT4_S5_PKS7_SB_S5_SD_S8_SB_S5_SD_SB_S5_PS7_21rocsparse_index_base_SF_SF_SF_bbb.private_seg_size, 0
	.set _ZN9rocsparseL41csrgemm_numeric_fill_block_per_row_kernelILj1024ELj64ELj8192ELj137ELj32Eii21rocsparse_complex_numIfEEEvT5_PKS3_S5_NS_24const_host_device_scalarIT6_EEPKT4_S5_PKS7_SB_S5_SD_S8_SB_S5_SD_SB_S5_PS7_21rocsparse_index_base_SF_SF_SF_bbb.uses_vcc, 1
	.set _ZN9rocsparseL41csrgemm_numeric_fill_block_per_row_kernelILj1024ELj64ELj8192ELj137ELj32Eii21rocsparse_complex_numIfEEEvT5_PKS3_S5_NS_24const_host_device_scalarIT6_EEPKT4_S5_PKS7_SB_S5_SD_S8_SB_S5_SD_SB_S5_PS7_21rocsparse_index_base_SF_SF_SF_bbb.uses_flat_scratch, 0
	.set _ZN9rocsparseL41csrgemm_numeric_fill_block_per_row_kernelILj1024ELj64ELj8192ELj137ELj32Eii21rocsparse_complex_numIfEEEvT5_PKS3_S5_NS_24const_host_device_scalarIT6_EEPKT4_S5_PKS7_SB_S5_SD_S8_SB_S5_SD_SB_S5_PS7_21rocsparse_index_base_SF_SF_SF_bbb.has_dyn_sized_stack, 0
	.set _ZN9rocsparseL41csrgemm_numeric_fill_block_per_row_kernelILj1024ELj64ELj8192ELj137ELj32Eii21rocsparse_complex_numIfEEEvT5_PKS3_S5_NS_24const_host_device_scalarIT6_EEPKT4_S5_PKS7_SB_S5_SD_S8_SB_S5_SD_SB_S5_PS7_21rocsparse_index_base_SF_SF_SF_bbb.has_recursion, 0
	.set _ZN9rocsparseL41csrgemm_numeric_fill_block_per_row_kernelILj1024ELj64ELj8192ELj137ELj32Eii21rocsparse_complex_numIfEEEvT5_PKS3_S5_NS_24const_host_device_scalarIT6_EEPKT4_S5_PKS7_SB_S5_SD_S8_SB_S5_SD_SB_S5_PS7_21rocsparse_index_base_SF_SF_SF_bbb.has_indirect_call, 0
	.section	.AMDGPU.csdata,"",@progbits
; Kernel info:
; codeLenInByte = 4908
; TotalNumSgprs: 106
; NumVgprs: 23
; NumAgprs: 0
; TotalNumVgprs: 23
; ScratchSize: 0
; MemoryBound: 0
; FloatMode: 240
; IeeeMode: 1
; LDSByteSize: 0 bytes/workgroup (compile time only)
; SGPRBlocks: 13
; VGPRBlocks: 2
; NumSGPRsForWavesPerEU: 106
; NumVGPRsForWavesPerEU: 23
; AccumOffset: 24
; Occupancy: 7
; WaveLimiterHint : 1
; COMPUTE_PGM_RSRC2:SCRATCH_EN: 0
; COMPUTE_PGM_RSRC2:USER_SGPR: 2
; COMPUTE_PGM_RSRC2:TRAP_HANDLER: 0
; COMPUTE_PGM_RSRC2:TGID_X_EN: 1
; COMPUTE_PGM_RSRC2:TGID_Y_EN: 0
; COMPUTE_PGM_RSRC2:TGID_Z_EN: 0
; COMPUTE_PGM_RSRC2:TIDIG_COMP_CNT: 0
; COMPUTE_PGM_RSRC3_GFX90A:ACCUM_OFFSET: 5
; COMPUTE_PGM_RSRC3_GFX90A:TG_SPLIT: 0
	.section	.text._ZN9rocsparseL41csrgemm_numeric_fill_block_per_row_kernelILj1024ELj64ELj8192ELj137ELj64Eii21rocsparse_complex_numIfEEEvT5_PKS3_S5_NS_24const_host_device_scalarIT6_EEPKT4_S5_PKS7_SB_S5_SD_S8_SB_S5_SD_SB_S5_PS7_21rocsparse_index_base_SF_SF_SF_bbb,"axG",@progbits,_ZN9rocsparseL41csrgemm_numeric_fill_block_per_row_kernelILj1024ELj64ELj8192ELj137ELj64Eii21rocsparse_complex_numIfEEEvT5_PKS3_S5_NS_24const_host_device_scalarIT6_EEPKT4_S5_PKS7_SB_S5_SD_S8_SB_S5_SD_SB_S5_PS7_21rocsparse_index_base_SF_SF_SF_bbb,comdat
	.globl	_ZN9rocsparseL41csrgemm_numeric_fill_block_per_row_kernelILj1024ELj64ELj8192ELj137ELj64Eii21rocsparse_complex_numIfEEEvT5_PKS3_S5_NS_24const_host_device_scalarIT6_EEPKT4_S5_PKS7_SB_S5_SD_S8_SB_S5_SD_SB_S5_PS7_21rocsparse_index_base_SF_SF_SF_bbb ; -- Begin function _ZN9rocsparseL41csrgemm_numeric_fill_block_per_row_kernelILj1024ELj64ELj8192ELj137ELj64Eii21rocsparse_complex_numIfEEEvT5_PKS3_S5_NS_24const_host_device_scalarIT6_EEPKT4_S5_PKS7_SB_S5_SD_S8_SB_S5_SD_SB_S5_PS7_21rocsparse_index_base_SF_SF_SF_bbb
	.p2align	8
	.type	_ZN9rocsparseL41csrgemm_numeric_fill_block_per_row_kernelILj1024ELj64ELj8192ELj137ELj64Eii21rocsparse_complex_numIfEEEvT5_PKS3_S5_NS_24const_host_device_scalarIT6_EEPKT4_S5_PKS7_SB_S5_SD_S8_SB_S5_SD_SB_S5_PS7_21rocsparse_index_base_SF_SF_SF_bbb,@function
_ZN9rocsparseL41csrgemm_numeric_fill_block_per_row_kernelILj1024ELj64ELj8192ELj137ELj64Eii21rocsparse_complex_numIfEEEvT5_PKS3_S5_NS_24const_host_device_scalarIT6_EEPKT4_S5_PKS7_SB_S5_SD_S8_SB_S5_SD_SB_S5_PS7_21rocsparse_index_base_SF_SF_SF_bbb: ; @_ZN9rocsparseL41csrgemm_numeric_fill_block_per_row_kernelILj1024ELj64ELj8192ELj137ELj64Eii21rocsparse_complex_numIfEEEvT5_PKS3_S5_NS_24const_host_device_scalarIT6_EEPKT4_S5_PKS7_SB_S5_SD_S8_SB_S5_SD_SB_S5_PS7_21rocsparse_index_base_SF_SF_SF_bbb
; %bb.0:
	s_load_dwordx2 s[40:41], s[0:1], 0x70
	s_load_dwordx4 s[24:27], s[0:1], 0x60
	s_load_dwordx8 s[8:15], s[0:1], 0x40
	s_load_dword s3, s[0:1], 0x98
	s_load_dwordx4 s[28:31], s[0:1], 0x8
	s_load_dwordx8 s[16:23], s[0:1], 0x20
	s_load_dwordx2 s[34:35], s[0:1], 0x80
	s_load_dwordx4 s[36:39], s[0:1], 0x88
	s_waitcnt lgkmcnt(0)
	s_bitcmp1_b32 s3, 0
	s_cselect_b64 s[46:47], -1, 0
	s_bitcmp1_b32 s3, 16
	s_cselect_b64 s[4:5], -1, 0
	s_xor_b64 s[4:5], s[4:5], -1
	v_cndmask_b32_e64 v1, 0, 1, s[4:5]
	s_mov_b32 s7, 0
	s_bitcmp0_b32 s3, 0
	v_cmp_ne_u32_e64 s[4:5], 1, v1
	s_mov_b32 s52, 0
	s_cbranch_scc1 .LBB53_5
; %bb.1:
	s_load_dwordx2 s[6:7], s[0:1], 0x18
	s_and_b64 vcc, exec, s[4:5]
	s_waitcnt lgkmcnt(0)
	s_mov_b32 s52, s6
	s_cbranch_vccnz .LBB53_3
; %bb.2:
	s_load_dword s52, s[6:7], 0x0
.LBB53_3:
	s_and_b64 vcc, exec, s[4:5]
	s_cbranch_vccnz .LBB53_5
; %bb.4:
	s_load_dword s7, s[6:7], 0x4
.LBB53_5:
	s_bitcmp1_b32 s3, 8
	s_cselect_b64 s[44:45], -1, 0
	s_bfe_u32 s3, s3, 0x10008
	s_mov_b32 s50, 0
	s_cmp_eq_u32 s3, 0
	s_mov_b32 s51, 0
	s_cbranch_scc1 .LBB53_11
; %bb.6:
	s_and_b64 vcc, exec, s[4:5]
	s_mov_b32 s50, s12
	s_cbranch_vccnz .LBB53_8
; %bb.7:
	s_load_dword s50, s[12:13], 0x0
.LBB53_8:
	s_and_b64 vcc, exec, s[4:5]
	s_cbranch_vccnz .LBB53_10
; %bb.9:
	s_load_dword s13, s[12:13], 0x4
.LBB53_10:
	s_waitcnt lgkmcnt(0)
	s_mov_b32 s51, s13
.LBB53_11:
	s_load_dword s33, s[0:1], 0x0
	v_lshlrev_b32_e32 v2, 2, v0
	v_add_u32_e32 v1, 0, v2
	v_add_u32_e32 v2, v1, v2
	;; [unrolled: 1-line block ×3, first 2 shown]
	v_mov_b32_e32 v5, 0
	s_waitcnt lgkmcnt(0)
	v_mov_b32_e32 v4, s33
	ds_write2_b32 v3, v5, v5 offset1:1
	v_mov_b32_e32 v3, s33
	ds_write2st64_b32 v1, v4, v3 offset1:16
	v_add_u32_e32 v3, 0xa000, v2
	v_add_u32_e32 v4, 0xc000, v2
	ds_write2_b32 v3, v5, v5 offset1:1
	v_mov_b32_e32 v3, s33
	ds_write2_b32 v4, v5, v5 offset1:1
	v_mov_b32_e32 v4, s33
	v_add_u32_e32 v2, 0xe000, v2
	ds_write2st64_b32 v1, v3, v4 offset0:32 offset1:48
	ds_write2_b32 v2, v5, v5 offset1:1
	v_mov_b32_e32 v2, s33
	s_add_i32 s0, 0, 0x8000
	ds_write_b32 v1, v2 offset:16384
	v_lshl_add_u32 v2, v0, 3, s0
	v_add_u32_e32 v3, 0x8000, v2
	ds_write2_b32 v3, v5, v5 offset1:1
	v_mov_b32_e32 v3, s33
	ds_write_b32 v1, v3 offset:20480
	v_add_u32_e32 v3, 0xa000, v2
	ds_write2_b32 v3, v5, v5 offset1:1
	v_mov_b32_e32 v3, s33
	ds_write_b32 v1, v3 offset:24576
	v_add_u32_e32 v3, 0xc000, v2
	ds_write2_b32 v3, v5, v5 offset1:1
	v_mov_b32_e32 v3, s33
	v_add_u32_e32 v2, 0xe000, v2
	ds_write_b32 v1, v3 offset:28672
	ds_write2_b32 v2, v5, v5 offset1:1
	s_waitcnt lgkmcnt(0)
	s_barrier
	s_load_dword s0, s[28:29], 0x0
	s_mov_b32 s1, 0
	v_lshrrev_b32_e32 v8, 6, v0
	s_waitcnt lgkmcnt(0)
	s_add_i32 s0, s0, s2
	s_lshl_b64 s[0:1], s[0:1], 2
	s_add_u32 s0, s30, s0
	s_addc_u32 s1, s31, s1
	s_load_dword s42, s[0:1], 0x0
	s_andn2_b64 vcc, exec, s[46:47]
	s_cbranch_vccnz .LBB53_29
; %bb.12:
	s_waitcnt lgkmcnt(0)
	s_ashr_i32 s43, s42, 31
	s_lshl_b64 s[0:1], s[42:43], 2
	s_add_u32 s0, s16, s0
	s_addc_u32 s1, s17, s1
	s_load_dwordx2 s[2:3], s[0:1], 0x0
	v_subrev_u32_e32 v2, s36, v8
	s_waitcnt lgkmcnt(0)
	s_sub_i32 s6, s3, s36
	v_add_u32_e32 v2, s2, v2
	v_cmp_gt_i32_e32 vcc, s6, v2
	s_and_saveexec_b64 s[0:1], vcc
	s_cbranch_execz .LBB53_28
; %bb.13:
	v_and_b32_e32 v3, 63, v0
	v_subrev_u32_e32 v9, s37, v3
	s_mov_b64 s[2:3], 0
	s_movk_i32 s43, 0x89
	s_branch .LBB53_15
.LBB53_14:                              ;   in Loop: Header=BB53_15 Depth=1
	s_or_b64 exec, exec, s[4:5]
	v_add_u32_e32 v2, 16, v2
	v_cmp_le_i32_e32 vcc, s6, v2
	s_or_b64 s[2:3], vcc, s[2:3]
	s_andn2_b64 exec, exec, s[2:3]
	s_cbranch_execz .LBB53_28
.LBB53_15:                              ; =>This Loop Header: Depth=1
                                        ;     Child Loop BB53_19 Depth 2
                                        ;       Child Loop BB53_22 Depth 3
	v_ashrrev_i32_e32 v3, 31, v2
	v_lshl_add_u64 v[4:5], v[2:3], 2, s[18:19]
	global_load_dword v4, v[4:5], off
	s_waitcnt vmcnt(0)
	v_subrev_u32_e32 v4, s36, v4
	v_ashrrev_i32_e32 v5, 31, v4
	v_lshl_add_u64 v[4:5], v[4:5], 2, s[22:23]
	global_load_dwordx2 v[4:5], v[4:5], off
	s_waitcnt vmcnt(0)
	v_subrev_u32_e32 v10, s37, v5
	v_add_u32_e32 v4, v4, v9
	v_cmp_lt_i32_e32 vcc, v4, v10
	s_and_saveexec_b64 s[4:5], vcc
	s_cbranch_execz .LBB53_14
; %bb.16:                               ;   in Loop: Header=BB53_15 Depth=1
	v_lshl_add_u64 v[6:7], v[2:3], 3, s[20:21]
	global_load_dwordx2 v[6:7], v[6:7], off
	s_mov_b64 s[12:13], 0
	s_waitcnt vmcnt(0)
	v_mul_f32_e64 v3, v7, -s7
	v_mul_f32_e32 v11, s52, v7
	v_fmac_f32_e32 v3, s52, v6
	v_fmac_f32_e32 v11, s7, v6
	s_branch .LBB53_19
.LBB53_17:                              ;   in Loop: Header=BB53_19 Depth=2
	s_or_b64 exec, exec, s[28:29]
.LBB53_18:                              ;   in Loop: Header=BB53_19 Depth=2
	s_or_b64 exec, exec, s[16:17]
	s_waitcnt vmcnt(0)
	v_mul_f32_e64 v12, v7, -v11
	v_fmac_f32_e32 v12, v3, v6
	v_mul_f32_e32 v7, v3, v7
	v_lshl_add_u32 v5, v5, 3, 0
	v_fmac_f32_e32 v7, v11, v6
	ds_add_f32 v5, v12 offset:32768
	ds_add_f32 v5, v7 offset:32772
	v_add_u32_e32 v4, 64, v4
	v_cmp_ge_i32_e32 vcc, v4, v10
	s_or_b64 s[12:13], vcc, s[12:13]
	s_andn2_b64 exec, exec, s[12:13]
	s_cbranch_execz .LBB53_14
.LBB53_19:                              ;   Parent Loop BB53_15 Depth=1
                                        ; =>  This Loop Header: Depth=2
                                        ;       Child Loop BB53_22 Depth 3
	v_ashrrev_i32_e32 v5, 31, v4
	v_lshl_add_u64 v[6:7], v[4:5], 2, s[8:9]
	global_load_dword v12, v[6:7], off
	v_lshl_add_u64 v[6:7], v[4:5], 3, s[10:11]
	global_load_dwordx2 v[6:7], v[6:7], off
	s_waitcnt vmcnt(1)
	v_subrev_u32_e32 v12, s37, v12
	v_mul_lo_u32 v5, v12, s43
	v_and_b32_e32 v5, 0x1fff, v5
	v_lshl_add_u32 v13, v5, 2, 0
	ds_read_b32 v14, v13
	s_waitcnt lgkmcnt(0)
	v_cmp_ne_u32_e32 vcc, v14, v12
	s_and_saveexec_b64 s[16:17], vcc
	s_cbranch_execz .LBB53_18
; %bb.20:                               ;   in Loop: Header=BB53_19 Depth=2
	s_mov_b64 s[28:29], 0
	s_branch .LBB53_22
.LBB53_21:                              ;   in Loop: Header=BB53_22 Depth=3
	s_or_b64 exec, exec, s[48:49]
	s_and_b64 s[30:31], exec, s[46:47]
	s_or_b64 s[28:29], s[30:31], s[28:29]
	s_andn2_b64 exec, exec, s[28:29]
	s_cbranch_execz .LBB53_17
.LBB53_22:                              ;   Parent Loop BB53_15 Depth=1
                                        ;     Parent Loop BB53_19 Depth=2
                                        ; =>    This Inner Loop Header: Depth=3
	v_cmp_ne_u32_e32 vcc, s33, v14
	s_mov_b64 s[30:31], 0
	s_and_saveexec_b64 s[46:47], vcc
	s_xor_b64 s[46:47], exec, s[46:47]
	s_cbranch_execz .LBB53_24
; %bb.23:                               ;   in Loop: Header=BB53_22 Depth=3
	v_add_u32_e32 v5, 1, v5
	s_mov_b64 s[30:31], exec
	v_and_b32_e32 v5, 0x1fff, v5
                                        ; implicit-def: $vgpr13
	s_andn2_saveexec_b64 s[46:47], s[46:47]
	s_cbranch_execz .LBB53_26
	s_branch .LBB53_25
.LBB53_24:                              ;   in Loop: Header=BB53_22 Depth=3
	s_andn2_saveexec_b64 s[46:47], s[46:47]
	s_cbranch_execz .LBB53_26
.LBB53_25:                              ;   in Loop: Header=BB53_22 Depth=3
	v_mov_b32_e32 v14, s33
	ds_cmpst_rtn_b32 v13, v13, v14, v12
	s_andn2_b64 s[30:31], s[30:31], exec
	s_waitcnt lgkmcnt(0)
	v_cmp_ne_u32_e32 vcc, s33, v13
	s_and_b64 s[48:49], vcc, exec
	s_or_b64 s[30:31], s[30:31], s[48:49]
.LBB53_26:                              ;   in Loop: Header=BB53_22 Depth=3
	s_or_b64 exec, exec, s[46:47]
	s_mov_b64 s[46:47], -1
                                        ; implicit-def: $vgpr13
                                        ; implicit-def: $vgpr14
	s_and_saveexec_b64 s[48:49], s[30:31]
	s_cbranch_execz .LBB53_21
; %bb.27:                               ;   in Loop: Header=BB53_22 Depth=3
	v_lshl_add_u32 v13, v5, 2, 0
	ds_read_b32 v14, v13
	s_waitcnt lgkmcnt(0)
	v_cmp_eq_u32_e32 vcc, v14, v12
	s_orn2_b64 s[46:47], vcc, exec
	s_branch .LBB53_21
.LBB53_28:
	s_or_b64 exec, exec, s[0:1]
.LBB53_29:
	s_andn2_b64 vcc, exec, s[44:45]
	s_cbranch_vccnz .LBB53_44
; %bb.30:
	s_waitcnt lgkmcnt(0)
	s_ashr_i32 s43, s42, 31
	s_lshl_b64 s[0:1], s[42:43], 2
	s_add_u32 s0, s14, s0
	s_addc_u32 s1, s15, s1
	s_load_dwordx2 s[2:3], s[0:1], 0x0
	v_subrev_u32_e32 v2, s39, v0
	s_waitcnt lgkmcnt(0)
	s_sub_i32 s14, s3, s39
	v_add_u32_e32 v2, s2, v2
	v_cmp_gt_i32_e32 vcc, s14, v2
	s_and_saveexec_b64 s[0:1], vcc
	s_cbranch_execz .LBB53_43
; %bb.31:
	s_mov_b64 s[2:3], 0
	s_movk_i32 s15, 0x89
	s_branch .LBB53_34
.LBB53_32:                              ;   in Loop: Header=BB53_34 Depth=1
	s_or_b64 exec, exec, s[6:7]
.LBB53_33:                              ;   in Loop: Header=BB53_34 Depth=1
	s_or_b64 exec, exec, s[4:5]
	s_waitcnt vmcnt(0)
	v_mul_f32_e64 v6, v5, -s51
	v_fmac_f32_e32 v6, s50, v4
	v_mul_f32_e32 v5, s50, v5
	v_lshl_add_u32 v3, v3, 3, 0
	v_fmac_f32_e32 v5, s51, v4
	ds_add_f32 v3, v6 offset:32768
	ds_add_f32 v3, v5 offset:32772
	v_add_u32_e32 v2, 0x400, v2
	v_cmp_le_i32_e32 vcc, s14, v2
	s_or_b64 s[2:3], vcc, s[2:3]
	s_andn2_b64 exec, exec, s[2:3]
	s_cbranch_execz .LBB53_43
.LBB53_34:                              ; =>This Loop Header: Depth=1
                                        ;     Child Loop BB53_37 Depth 2
	v_ashrrev_i32_e32 v3, 31, v2
	v_lshl_add_u64 v[4:5], v[2:3], 2, s[24:25]
	global_load_dword v6, v[4:5], off
	v_lshl_add_u64 v[4:5], v[2:3], 3, s[26:27]
	global_load_dwordx2 v[4:5], v[4:5], off
	s_waitcnt vmcnt(1)
	v_subrev_u32_e32 v6, s39, v6
	v_mul_lo_u32 v3, v6, s15
	v_and_b32_e32 v3, 0x1fff, v3
	v_lshl_add_u32 v7, v3, 2, 0
	ds_read_b32 v9, v7
	s_waitcnt lgkmcnt(0)
	v_cmp_ne_u32_e32 vcc, v9, v6
	s_and_saveexec_b64 s[4:5], vcc
	s_cbranch_execz .LBB53_33
; %bb.35:                               ;   in Loop: Header=BB53_34 Depth=1
	s_mov_b64 s[6:7], 0
	s_branch .LBB53_37
.LBB53_36:                              ;   in Loop: Header=BB53_37 Depth=2
	s_or_b64 exec, exec, s[12:13]
	s_and_b64 s[8:9], exec, s[10:11]
	s_or_b64 s[6:7], s[8:9], s[6:7]
	s_andn2_b64 exec, exec, s[6:7]
	s_cbranch_execz .LBB53_32
.LBB53_37:                              ;   Parent Loop BB53_34 Depth=1
                                        ; =>  This Inner Loop Header: Depth=2
	v_cmp_ne_u32_e32 vcc, s33, v9
	s_mov_b64 s[8:9], 0
	s_and_saveexec_b64 s[10:11], vcc
	s_xor_b64 s[10:11], exec, s[10:11]
	s_cbranch_execz .LBB53_39
; %bb.38:                               ;   in Loop: Header=BB53_37 Depth=2
	v_add_u32_e32 v3, 1, v3
	s_mov_b64 s[8:9], exec
	v_and_b32_e32 v3, 0x1fff, v3
                                        ; implicit-def: $vgpr7
	s_andn2_saveexec_b64 s[10:11], s[10:11]
	s_cbranch_execz .LBB53_41
	s_branch .LBB53_40
.LBB53_39:                              ;   in Loop: Header=BB53_37 Depth=2
	s_andn2_saveexec_b64 s[10:11], s[10:11]
	s_cbranch_execz .LBB53_41
.LBB53_40:                              ;   in Loop: Header=BB53_37 Depth=2
	v_mov_b32_e32 v9, s33
	ds_cmpst_rtn_b32 v7, v7, v9, v6
	s_andn2_b64 s[8:9], s[8:9], exec
	s_waitcnt lgkmcnt(0)
	v_cmp_ne_u32_e32 vcc, s33, v7
	s_and_b64 s[12:13], vcc, exec
	s_or_b64 s[8:9], s[8:9], s[12:13]
.LBB53_41:                              ;   in Loop: Header=BB53_37 Depth=2
	s_or_b64 exec, exec, s[10:11]
	s_mov_b64 s[10:11], -1
                                        ; implicit-def: $vgpr7
                                        ; implicit-def: $vgpr9
	s_and_saveexec_b64 s[12:13], s[8:9]
	s_cbranch_execz .LBB53_36
; %bb.42:                               ;   in Loop: Header=BB53_37 Depth=2
	v_lshl_add_u32 v7, v3, 2, 0
	ds_read_b32 v9, v7
	s_waitcnt lgkmcnt(0)
	v_cmp_eq_u32_e32 vcc, v9, v6
	s_orn2_b64 s[10:11], vcc, exec
	s_branch .LBB53_36
.LBB53_43:
	s_or_b64 exec, exec, s[0:1]
.LBB53_44:
	v_mbcnt_lo_u32_b32 v2, -1, 0
	v_mbcnt_hi_u32_b32 v2, -1, v2
	v_sub_u32_e32 v2, 63, v2
	s_add_i32 s39, 0, 0x18000
	s_movk_i32 s0, 0x3ff
	s_movk_i32 s2, 0x7f
	;; [unrolled: 1-line block ×15, first 2 shown]
	v_lshl_add_u32 v4, v0, 3, 0
	s_add_i32 s59, 0, 0x1803c
	v_lshrrev_b64 v[2:3], v2, -1
	v_lshl_add_u32 v6, v8, 2, s39
	v_cmp_eq_u32_e32 vcc, s0, v0
	v_cmp_lt_u32_e64 s[0:1], 63, v0
	v_cmp_lt_u32_e64 s[2:3], s2, v0
	;; [unrolled: 1-line block ×15, first 2 shown]
	v_add_u32_e32 v7, 0x8000, v4
	v_or_b32_e32 v8, 0xfffffc00, v0
	s_mov_b64 s[36:37], 0
	v_mov_b32_e32 v9, 0
	s_add_i32 s43, 0, 0x18004
	s_add_i32 s46, 0, 0x18008
	;; [unrolled: 1-line block ×14, first 2 shown]
	v_mov_b32_e32 v10, s59
	s_movk_i32 s60, 0x1bff
	s_waitcnt lgkmcnt(0)
	s_barrier
	s_branch .LBB53_46
.LBB53_45:                              ;   in Loop: Header=BB53_46 Depth=1
	s_or_b64 exec, exec, s[30:31]
	s_waitcnt lgkmcnt(0)
	s_barrier
	ds_read_b32 v4, v10
	v_add_u32_e32 v8, 0x400, v8
	v_cmp_lt_u32_e64 s[30:31], s60, v8
	v_add_u32_e32 v7, 0x2000, v7
	s_or_b64 s[36:37], s[30:31], s[36:37]
	s_waitcnt lgkmcnt(0)
	v_add_u32_e32 v9, v4, v9
	v_add_u32_e32 v1, 0x1000, v1
	s_andn2_b64 exec, exec, s[36:37]
	s_cbranch_execz .LBB53_80
.LBB53_46:                              ; =>This Inner Loop Header: Depth=1
	ds_read_b32 v11, v1
	ds_read2_b32 v[4:5], v7 offset1:1
	s_waitcnt lgkmcnt(0)
	s_barrier
	v_cmp_gt_i32_e64 s[30:31], s33, v11
	s_bcnt1_i32_b64 s44, s[30:31]
	s_nop 0
	v_and_b32_e32 v13, s30, v2
	v_and_b32_e32 v12, s31, v3
	v_bcnt_u32_b32 v13, v13, 0
	v_bcnt_u32_b32 v12, v12, v13
	v_mov_b32_e32 v13, s44
	ds_write_b32 v6, v13
	s_waitcnt lgkmcnt(0)
	s_barrier
	s_and_saveexec_b64 s[44:45], s[0:1]
	s_cbranch_execz .LBB53_63
; %bb.47:                               ;   in Loop: Header=BB53_46 Depth=1
	v_mov_b32_e32 v13, s39
	ds_read_b32 v13, v13
	s_waitcnt lgkmcnt(0)
	v_add_u32_e32 v12, v13, v12
	s_or_b64 exec, exec, s[44:45]
	s_and_saveexec_b64 s[44:45], s[2:3]
	s_cbranch_execnz .LBB53_64
.LBB53_48:                              ;   in Loop: Header=BB53_46 Depth=1
	s_or_b64 exec, exec, s[44:45]
	s_and_saveexec_b64 s[44:45], s[4:5]
	s_cbranch_execz .LBB53_65
.LBB53_49:                              ;   in Loop: Header=BB53_46 Depth=1
	v_mov_b32_e32 v13, s46
	ds_read_b32 v13, v13
	s_waitcnt lgkmcnt(0)
	v_add_u32_e32 v12, v13, v12
	s_or_b64 exec, exec, s[44:45]
	s_and_saveexec_b64 s[44:45], s[6:7]
	s_cbranch_execnz .LBB53_66
.LBB53_50:                              ;   in Loop: Header=BB53_46 Depth=1
	s_or_b64 exec, exec, s[44:45]
	s_and_saveexec_b64 s[44:45], s[8:9]
	s_cbranch_execz .LBB53_67
.LBB53_51:                              ;   in Loop: Header=BB53_46 Depth=1
	v_mov_b32_e32 v13, s48
	ds_read_b32 v13, v13
	s_waitcnt lgkmcnt(0)
	v_add_u32_e32 v12, v13, v12
	s_or_b64 exec, exec, s[44:45]
	s_and_saveexec_b64 s[44:45], s[10:11]
	s_cbranch_execnz .LBB53_68
.LBB53_52:                              ;   in Loop: Header=BB53_46 Depth=1
	s_or_b64 exec, exec, s[44:45]
	s_and_saveexec_b64 s[44:45], s[12:13]
	s_cbranch_execz .LBB53_69
.LBB53_53:                              ;   in Loop: Header=BB53_46 Depth=1
	v_mov_b32_e32 v13, s50
	ds_read_b32 v13, v13
	s_waitcnt lgkmcnt(0)
	v_add_u32_e32 v12, v13, v12
	s_or_b64 exec, exec, s[44:45]
	s_and_saveexec_b64 s[44:45], s[14:15]
	s_cbranch_execnz .LBB53_70
.LBB53_54:                              ;   in Loop: Header=BB53_46 Depth=1
	s_or_b64 exec, exec, s[44:45]
	s_and_saveexec_b64 s[44:45], s[16:17]
	s_cbranch_execz .LBB53_71
.LBB53_55:                              ;   in Loop: Header=BB53_46 Depth=1
	v_mov_b32_e32 v13, s52
	ds_read_b32 v13, v13
	s_waitcnt lgkmcnt(0)
	v_add_u32_e32 v12, v13, v12
	s_or_b64 exec, exec, s[44:45]
	s_and_saveexec_b64 s[44:45], s[18:19]
	s_cbranch_execnz .LBB53_72
.LBB53_56:                              ;   in Loop: Header=BB53_46 Depth=1
	s_or_b64 exec, exec, s[44:45]
	s_and_saveexec_b64 s[44:45], s[20:21]
	s_cbranch_execz .LBB53_73
.LBB53_57:                              ;   in Loop: Header=BB53_46 Depth=1
	v_mov_b32_e32 v13, s54
	ds_read_b32 v13, v13
	s_waitcnt lgkmcnt(0)
	v_add_u32_e32 v12, v13, v12
	s_or_b64 exec, exec, s[44:45]
	s_and_saveexec_b64 s[44:45], s[22:23]
	s_cbranch_execnz .LBB53_74
.LBB53_58:                              ;   in Loop: Header=BB53_46 Depth=1
	s_or_b64 exec, exec, s[44:45]
	s_and_saveexec_b64 s[44:45], s[24:25]
	s_cbranch_execz .LBB53_75
.LBB53_59:                              ;   in Loop: Header=BB53_46 Depth=1
	v_mov_b32_e32 v13, s56
	ds_read_b32 v13, v13
	s_waitcnt lgkmcnt(0)
	v_add_u32_e32 v12, v13, v12
	s_or_b64 exec, exec, s[44:45]
	s_and_saveexec_b64 s[44:45], s[26:27]
	s_cbranch_execnz .LBB53_76
.LBB53_60:                              ;   in Loop: Header=BB53_46 Depth=1
	s_or_b64 exec, exec, s[44:45]
	s_and_saveexec_b64 s[44:45], s[28:29]
	s_cbranch_execz .LBB53_77
.LBB53_61:                              ;   in Loop: Header=BB53_46 Depth=1
	v_mov_b32_e32 v13, s58
	ds_read_b32 v13, v13
	s_waitcnt lgkmcnt(0)
	v_add_u32_e32 v12, v13, v12
	s_or_b64 exec, exec, s[44:45]
	s_and_saveexec_b64 s[44:45], s[30:31]
	s_cbranch_execnz .LBB53_78
.LBB53_62:                              ;   in Loop: Header=BB53_46 Depth=1
	s_or_b64 exec, exec, s[44:45]
	s_and_saveexec_b64 s[30:31], vcc
	s_cbranch_execz .LBB53_45
	s_branch .LBB53_79
.LBB53_63:                              ;   in Loop: Header=BB53_46 Depth=1
	s_or_b64 exec, exec, s[44:45]
	s_and_saveexec_b64 s[44:45], s[2:3]
	s_cbranch_execz .LBB53_48
.LBB53_64:                              ;   in Loop: Header=BB53_46 Depth=1
	v_mov_b32_e32 v13, s43
	ds_read_b32 v13, v13
	s_waitcnt lgkmcnt(0)
	v_add_u32_e32 v12, v13, v12
	s_or_b64 exec, exec, s[44:45]
	s_and_saveexec_b64 s[44:45], s[4:5]
	s_cbranch_execnz .LBB53_49
.LBB53_65:                              ;   in Loop: Header=BB53_46 Depth=1
	s_or_b64 exec, exec, s[44:45]
	s_and_saveexec_b64 s[44:45], s[6:7]
	s_cbranch_execz .LBB53_50
.LBB53_66:                              ;   in Loop: Header=BB53_46 Depth=1
	v_mov_b32_e32 v13, s47
	ds_read_b32 v13, v13
	s_waitcnt lgkmcnt(0)
	v_add_u32_e32 v12, v13, v12
	s_or_b64 exec, exec, s[44:45]
	s_and_saveexec_b64 s[44:45], s[8:9]
	s_cbranch_execnz .LBB53_51
.LBB53_67:                              ;   in Loop: Header=BB53_46 Depth=1
	s_or_b64 exec, exec, s[44:45]
	s_and_saveexec_b64 s[44:45], s[10:11]
	s_cbranch_execz .LBB53_52
.LBB53_68:                              ;   in Loop: Header=BB53_46 Depth=1
	v_mov_b32_e32 v13, s49
	ds_read_b32 v13, v13
	s_waitcnt lgkmcnt(0)
	v_add_u32_e32 v12, v13, v12
	s_or_b64 exec, exec, s[44:45]
	s_and_saveexec_b64 s[44:45], s[12:13]
	s_cbranch_execnz .LBB53_53
.LBB53_69:                              ;   in Loop: Header=BB53_46 Depth=1
	s_or_b64 exec, exec, s[44:45]
	s_and_saveexec_b64 s[44:45], s[14:15]
	s_cbranch_execz .LBB53_54
.LBB53_70:                              ;   in Loop: Header=BB53_46 Depth=1
	v_mov_b32_e32 v13, s51
	ds_read_b32 v13, v13
	s_waitcnt lgkmcnt(0)
	v_add_u32_e32 v12, v13, v12
	s_or_b64 exec, exec, s[44:45]
	s_and_saveexec_b64 s[44:45], s[16:17]
	s_cbranch_execnz .LBB53_55
.LBB53_71:                              ;   in Loop: Header=BB53_46 Depth=1
	s_or_b64 exec, exec, s[44:45]
	s_and_saveexec_b64 s[44:45], s[18:19]
	s_cbranch_execz .LBB53_56
.LBB53_72:                              ;   in Loop: Header=BB53_46 Depth=1
	v_mov_b32_e32 v13, s53
	ds_read_b32 v13, v13
	s_waitcnt lgkmcnt(0)
	v_add_u32_e32 v12, v13, v12
	s_or_b64 exec, exec, s[44:45]
	s_and_saveexec_b64 s[44:45], s[20:21]
	s_cbranch_execnz .LBB53_57
.LBB53_73:                              ;   in Loop: Header=BB53_46 Depth=1
	s_or_b64 exec, exec, s[44:45]
	s_and_saveexec_b64 s[44:45], s[22:23]
	s_cbranch_execz .LBB53_58
.LBB53_74:                              ;   in Loop: Header=BB53_46 Depth=1
	v_mov_b32_e32 v13, s55
	ds_read_b32 v13, v13
	s_waitcnt lgkmcnt(0)
	v_add_u32_e32 v12, v13, v12
	s_or_b64 exec, exec, s[44:45]
	s_and_saveexec_b64 s[44:45], s[24:25]
	s_cbranch_execnz .LBB53_59
.LBB53_75:                              ;   in Loop: Header=BB53_46 Depth=1
	s_or_b64 exec, exec, s[44:45]
	s_and_saveexec_b64 s[44:45], s[26:27]
	s_cbranch_execz .LBB53_60
.LBB53_76:                              ;   in Loop: Header=BB53_46 Depth=1
	v_mov_b32_e32 v13, s57
	ds_read_b32 v13, v13
	s_waitcnt lgkmcnt(0)
	v_add_u32_e32 v12, v13, v12
	s_or_b64 exec, exec, s[44:45]
	s_and_saveexec_b64 s[44:45], s[28:29]
	s_cbranch_execnz .LBB53_61
.LBB53_77:                              ;   in Loop: Header=BB53_46 Depth=1
	s_or_b64 exec, exec, s[44:45]
	s_and_saveexec_b64 s[44:45], s[30:31]
	s_cbranch_execz .LBB53_62
.LBB53_78:                              ;   in Loop: Header=BB53_46 Depth=1
	v_add3_u32 v13, v9, -1, v12
	v_add_u32_e32 v14, v9, v12
	v_lshl_add_u32 v13, v13, 2, 0
	v_lshl_add_u32 v14, v14, 3, 0
	v_add_u32_e32 v14, 0x7ff8, v14
	ds_write_b32 v13, v11
	ds_write2_b32 v14, v4, v5 offset1:1
	s_or_b64 exec, exec, s[44:45]
	s_and_saveexec_b64 s[30:31], vcc
	s_cbranch_execz .LBB53_45
.LBB53_79:                              ;   in Loop: Header=BB53_46 Depth=1
	v_mov_b32_e32 v4, s59
	ds_write_b32 v4, v12
	s_branch .LBB53_45
.LBB53_80:
	s_or_b64 exec, exec, s[36:37]
	s_ashr_i32 s43, s42, 31
	s_lshl_b64 s[0:1], s[42:43], 2
	s_add_u32 s2, s40, s0
	s_addc_u32 s3, s41, s1
	s_load_dwordx2 s[0:1], s[2:3], 0x0
	s_waitcnt lgkmcnt(0)
	s_sub_i32 s14, s1, s0
	v_cmp_gt_i32_e32 vcc, s14, v0
	s_and_saveexec_b64 s[2:3], vcc
	s_cbranch_execz .LBB53_94
; %bb.81:
	s_sub_i32 s8, s0, s38
	v_sub_co_u32_e64 v1, s[0:1], s14, 2
	s_nop 0
	v_readfirstlane_b32 s2, v1
	s_lshr_b32 s2, s2, 1
	s_add_i32 s2, s2, 1
	s_xor_b64 s[0:1], s[0:1], -1
	s_and_b32 s15, s14, -2
	s_and_b32 s3, s2, 7
	s_and_b32 s16, s2, -8
	s_cmp_lg_u32 s3, 0
	v_cmp_lt_u32_e32 vcc, 13, v1
	s_cselect_b64 s[4:5], -1, 0
	s_cmp_lg_u32 s14, s15
	v_cndmask_b32_e64 v1, 0, 1, vcc
	s_cselect_b64 s[10:11], -1, 0
	s_lshl_b32 s17, s3, 3
	v_cndmask_b32_e64 v2, 0, 1, s[0:1]
	v_cmp_ne_u32_e64 s[2:3], 1, v1
	v_cndmask_b32_e64 v1, 0, 1, s[4:5]
	s_mov_b32 s9, 0
	s_mov_b64 s[12:13], 0
	s_mov_b32 s18, 0x8000
	v_cmp_ne_u32_e64 s[0:1], 1, v2
	v_cmp_ne_u32_e64 s[4:5], 1, v1
	s_branch .LBB53_83
.LBB53_82:                              ;   in Loop: Header=BB53_83 Depth=1
	v_add_u32_e32 v0, 0x400, v0
	v_ashrrev_i32_e32 v5, 31, v4
	v_cmp_le_i32_e32 vcc, s14, v0
	v_lshl_add_u64 v[4:5], v[4:5], 3, s[34:35]
	s_or_b64 s[12:13], vcc, s[12:13]
	s_waitcnt lgkmcnt(0)
	global_store_dwordx2 v[4:5], v[2:3], off
	s_andn2_b64 exec, exec, s[12:13]
	s_cbranch_execz .LBB53_94
.LBB53_83:                              ; =>This Loop Header: Depth=1
                                        ;     Child Loop BB53_86 Depth 2
                                        ;     Child Loop BB53_89 Depth 2
	;; [unrolled: 1-line block ×3, first 2 shown]
	v_lshlrev_b32_e32 v1, 2, v0
	v_add_u32_e32 v2, 0, v1
	v_add3_u32 v3, v2, v1, s18
	ds_read_b32 v1, v2
	ds_read2_b32 v[2:3], v3 offset1:1
	s_and_b64 vcc, exec, s[0:1]
	v_mov_b32_e32 v4, s8
	s_mov_b32 s19, 0
	s_mov_b64 s[6:7], -1
	s_cbranch_vccnz .LBB53_91
; %bb.84:                               ;   in Loop: Header=BB53_83 Depth=1
	s_and_b64 vcc, exec, s[2:3]
	v_mov_b64_e32 v[4:5], s[8:9]
	s_cbranch_vccnz .LBB53_87
; %bb.85:                               ;   in Loop: Header=BB53_83 Depth=1
	s_mov_b32 s20, 0
	v_mov_b32_e32 v4, s8
	v_mov_b32_e32 v5, 0
	s_mov_b32 s21, s16
.LBB53_86:                              ;   Parent Loop BB53_83 Depth=1
                                        ; =>  This Inner Loop Header: Depth=2
	v_mov_b32_e32 v20, s20
	ds_read2_b32 v[6:7], v20 offset1:1
	ds_read2_b32 v[8:9], v20 offset0:2 offset1:3
	ds_read2_b32 v[10:11], v20 offset0:4 offset1:5
	;; [unrolled: 1-line block ×7, first 2 shown]
	s_waitcnt lgkmcnt(7)
	v_cmp_gt_i32_e32 vcc, v1, v7
	s_waitcnt lgkmcnt(5)
	v_cmp_gt_i32_e64 s[6:7], v1, v10
	s_add_i32 s19, s19, 16
	v_cndmask_b32_e64 v7, 0, 1, vcc
	v_cmp_gt_i32_e32 vcc, v1, v6
	s_add_i32 s20, s20, 64
	s_add_i32 s21, s21, -8
	v_cndmask_b32_e64 v6, 0, 1, vcc
	v_cmp_gt_i32_e32 vcc, v1, v9
	v_cndmask_b32_e64 v9, 0, 1, s[6:7]
	v_cmp_gt_i32_e64 s[6:7], v1, v11
	v_addc_co_u32_e32 v5, vcc, v5, v7, vcc
	s_nop 0
	v_cndmask_b32_e64 v10, 0, 1, s[6:7]
	s_waitcnt lgkmcnt(3)
	v_cmp_gt_i32_e64 s[6:7], v1, v15
	v_cmp_gt_i32_e32 vcc, v1, v12
	s_cmp_lg_u32 s21, 0
	v_cndmask_b32_e64 v11, 0, 1, s[6:7]
	v_cmp_gt_i32_e64 s[6:7], v1, v14
	s_nop 1
	v_cndmask_b32_e64 v14, 0, 1, s[6:7]
	s_waitcnt lgkmcnt(1)
	v_cmp_gt_i32_e64 s[6:7], v1, v18
	s_nop 1
	v_cndmask_b32_e64 v15, 0, 1, s[6:7]
	v_cmp_gt_i32_e64 s[6:7], v1, v19
	s_nop 1
	v_cndmask_b32_e64 v18, 0, 1, s[6:7]
	v_cmp_gt_i32_e64 s[6:7], v1, v8
	s_nop 1
	v_addc_co_u32_e64 v4, s[6:7], v4, v6, s[6:7]
	v_cmp_gt_i32_e64 s[6:7], v1, v13
	v_addc_co_u32_e32 v4, vcc, v4, v9, vcc
	s_nop 0
	v_addc_co_u32_e64 v5, s[6:7], v5, v10, s[6:7]
	v_cmp_gt_i32_e32 vcc, v1, v17
	v_cmp_gt_i32_e64 s[6:7], v1, v16
	s_nop 0
	v_addc_co_u32_e32 v5, vcc, v5, v11, vcc
	v_addc_co_u32_e64 v4, s[6:7], v4, v14, s[6:7]
	s_waitcnt lgkmcnt(0)
	v_cmp_gt_i32_e32 vcc, v1, v20
	v_cmp_gt_i32_e64 s[6:7], v1, v21
	s_nop 0
	v_addc_co_u32_e32 v4, vcc, v4, v15, vcc
	v_addc_co_u32_e64 v5, s[6:7], v5, v18, s[6:7]
	s_cbranch_scc1 .LBB53_86
.LBB53_87:                              ;   in Loop: Header=BB53_83 Depth=1
	s_and_b64 vcc, exec, s[4:5]
	s_cbranch_vccnz .LBB53_90
; %bb.88:                               ;   in Loop: Header=BB53_83 Depth=1
	s_lshl_b32 s6, s19, 2
	s_add_i32 s6, s6, 0
	s_mov_b32 s7, s17
.LBB53_89:                              ;   Parent Loop BB53_83 Depth=1
                                        ; =>  This Inner Loop Header: Depth=2
	v_mov_b32_e32 v6, s6
	ds_read2_b32 v[6:7], v6 offset1:1
	s_add_i32 s6, s6, 8
	s_add_i32 s7, s7, -8
	s_cmp_lg_u32 s7, 0
	s_waitcnt lgkmcnt(0)
	v_cmp_gt_i32_e32 vcc, v1, v7
	s_nop 1
	v_addc_co_u32_e32 v5, vcc, 0, v5, vcc
	v_cmp_gt_i32_e32 vcc, v1, v6
	s_nop 1
	v_addc_co_u32_e32 v4, vcc, 0, v4, vcc
	s_cbranch_scc1 .LBB53_89
.LBB53_90:                              ;   in Loop: Header=BB53_83 Depth=1
	v_add_u32_e32 v4, v4, v5
	s_mov_b32 s19, s15
	s_mov_b64 s[6:7], s[10:11]
.LBB53_91:                              ;   in Loop: Header=BB53_83 Depth=1
	s_and_b64 vcc, exec, s[6:7]
	s_cbranch_vccz .LBB53_82
; %bb.92:                               ;   in Loop: Header=BB53_83 Depth=1
	s_lshl_b32 s6, s19, 2
	s_add_i32 s6, s6, 0
.LBB53_93:                              ;   Parent Loop BB53_83 Depth=1
                                        ; =>  This Inner Loop Header: Depth=2
	v_mov_b32_e32 v5, s6
	ds_read_b32 v5, v5
	s_add_i32 s19, s19, 1
	s_add_i32 s6, s6, 4
	s_cmp_ge_i32 s19, s14
	s_waitcnt lgkmcnt(0)
	v_cmp_gt_i32_e32 vcc, v1, v5
	s_nop 1
	v_addc_co_u32_e32 v4, vcc, 0, v4, vcc
	s_cbranch_scc0 .LBB53_93
	s_branch .LBB53_82
.LBB53_94:
	s_endpgm
	.section	.rodata,"a",@progbits
	.p2align	6, 0x0
	.amdhsa_kernel _ZN9rocsparseL41csrgemm_numeric_fill_block_per_row_kernelILj1024ELj64ELj8192ELj137ELj64Eii21rocsparse_complex_numIfEEEvT5_PKS3_S5_NS_24const_host_device_scalarIT6_EEPKT4_S5_PKS7_SB_S5_SD_S8_SB_S5_SD_SB_S5_PS7_21rocsparse_index_base_SF_SF_SF_bbb
		.amdhsa_group_segment_fixed_size 0
		.amdhsa_private_segment_fixed_size 0
		.amdhsa_kernarg_size 156
		.amdhsa_user_sgpr_count 2
		.amdhsa_user_sgpr_dispatch_ptr 0
		.amdhsa_user_sgpr_queue_ptr 0
		.amdhsa_user_sgpr_kernarg_segment_ptr 1
		.amdhsa_user_sgpr_dispatch_id 0
		.amdhsa_user_sgpr_kernarg_preload_length 0
		.amdhsa_user_sgpr_kernarg_preload_offset 0
		.amdhsa_user_sgpr_private_segment_size 0
		.amdhsa_uses_dynamic_stack 0
		.amdhsa_enable_private_segment 0
		.amdhsa_system_sgpr_workgroup_id_x 1
		.amdhsa_system_sgpr_workgroup_id_y 0
		.amdhsa_system_sgpr_workgroup_id_z 0
		.amdhsa_system_sgpr_workgroup_info 0
		.amdhsa_system_vgpr_workitem_id 0
		.amdhsa_next_free_vgpr 22
		.amdhsa_next_free_sgpr 61
		.amdhsa_accum_offset 24
		.amdhsa_reserve_vcc 1
		.amdhsa_float_round_mode_32 0
		.amdhsa_float_round_mode_16_64 0
		.amdhsa_float_denorm_mode_32 3
		.amdhsa_float_denorm_mode_16_64 3
		.amdhsa_dx10_clamp 1
		.amdhsa_ieee_mode 1
		.amdhsa_fp16_overflow 0
		.amdhsa_tg_split 0
		.amdhsa_exception_fp_ieee_invalid_op 0
		.amdhsa_exception_fp_denorm_src 0
		.amdhsa_exception_fp_ieee_div_zero 0
		.amdhsa_exception_fp_ieee_overflow 0
		.amdhsa_exception_fp_ieee_underflow 0
		.amdhsa_exception_fp_ieee_inexact 0
		.amdhsa_exception_int_div_zero 0
	.end_amdhsa_kernel
	.section	.text._ZN9rocsparseL41csrgemm_numeric_fill_block_per_row_kernelILj1024ELj64ELj8192ELj137ELj64Eii21rocsparse_complex_numIfEEEvT5_PKS3_S5_NS_24const_host_device_scalarIT6_EEPKT4_S5_PKS7_SB_S5_SD_S8_SB_S5_SD_SB_S5_PS7_21rocsparse_index_base_SF_SF_SF_bbb,"axG",@progbits,_ZN9rocsparseL41csrgemm_numeric_fill_block_per_row_kernelILj1024ELj64ELj8192ELj137ELj64Eii21rocsparse_complex_numIfEEEvT5_PKS3_S5_NS_24const_host_device_scalarIT6_EEPKT4_S5_PKS7_SB_S5_SD_S8_SB_S5_SD_SB_S5_PS7_21rocsparse_index_base_SF_SF_SF_bbb,comdat
.Lfunc_end53:
	.size	_ZN9rocsparseL41csrgemm_numeric_fill_block_per_row_kernelILj1024ELj64ELj8192ELj137ELj64Eii21rocsparse_complex_numIfEEEvT5_PKS3_S5_NS_24const_host_device_scalarIT6_EEPKT4_S5_PKS7_SB_S5_SD_S8_SB_S5_SD_SB_S5_PS7_21rocsparse_index_base_SF_SF_SF_bbb, .Lfunc_end53-_ZN9rocsparseL41csrgemm_numeric_fill_block_per_row_kernelILj1024ELj64ELj8192ELj137ELj64Eii21rocsparse_complex_numIfEEEvT5_PKS3_S5_NS_24const_host_device_scalarIT6_EEPKT4_S5_PKS7_SB_S5_SD_S8_SB_S5_SD_SB_S5_PS7_21rocsparse_index_base_SF_SF_SF_bbb
                                        ; -- End function
	.set _ZN9rocsparseL41csrgemm_numeric_fill_block_per_row_kernelILj1024ELj64ELj8192ELj137ELj64Eii21rocsparse_complex_numIfEEEvT5_PKS3_S5_NS_24const_host_device_scalarIT6_EEPKT4_S5_PKS7_SB_S5_SD_S8_SB_S5_SD_SB_S5_PS7_21rocsparse_index_base_SF_SF_SF_bbb.num_vgpr, 22
	.set _ZN9rocsparseL41csrgemm_numeric_fill_block_per_row_kernelILj1024ELj64ELj8192ELj137ELj64Eii21rocsparse_complex_numIfEEEvT5_PKS3_S5_NS_24const_host_device_scalarIT6_EEPKT4_S5_PKS7_SB_S5_SD_S8_SB_S5_SD_SB_S5_PS7_21rocsparse_index_base_SF_SF_SF_bbb.num_agpr, 0
	.set _ZN9rocsparseL41csrgemm_numeric_fill_block_per_row_kernelILj1024ELj64ELj8192ELj137ELj64Eii21rocsparse_complex_numIfEEEvT5_PKS3_S5_NS_24const_host_device_scalarIT6_EEPKT4_S5_PKS7_SB_S5_SD_S8_SB_S5_SD_SB_S5_PS7_21rocsparse_index_base_SF_SF_SF_bbb.numbered_sgpr, 61
	.set _ZN9rocsparseL41csrgemm_numeric_fill_block_per_row_kernelILj1024ELj64ELj8192ELj137ELj64Eii21rocsparse_complex_numIfEEEvT5_PKS3_S5_NS_24const_host_device_scalarIT6_EEPKT4_S5_PKS7_SB_S5_SD_S8_SB_S5_SD_SB_S5_PS7_21rocsparse_index_base_SF_SF_SF_bbb.num_named_barrier, 0
	.set _ZN9rocsparseL41csrgemm_numeric_fill_block_per_row_kernelILj1024ELj64ELj8192ELj137ELj64Eii21rocsparse_complex_numIfEEEvT5_PKS3_S5_NS_24const_host_device_scalarIT6_EEPKT4_S5_PKS7_SB_S5_SD_S8_SB_S5_SD_SB_S5_PS7_21rocsparse_index_base_SF_SF_SF_bbb.private_seg_size, 0
	.set _ZN9rocsparseL41csrgemm_numeric_fill_block_per_row_kernelILj1024ELj64ELj8192ELj137ELj64Eii21rocsparse_complex_numIfEEEvT5_PKS3_S5_NS_24const_host_device_scalarIT6_EEPKT4_S5_PKS7_SB_S5_SD_S8_SB_S5_SD_SB_S5_PS7_21rocsparse_index_base_SF_SF_SF_bbb.uses_vcc, 1
	.set _ZN9rocsparseL41csrgemm_numeric_fill_block_per_row_kernelILj1024ELj64ELj8192ELj137ELj64Eii21rocsparse_complex_numIfEEEvT5_PKS3_S5_NS_24const_host_device_scalarIT6_EEPKT4_S5_PKS7_SB_S5_SD_S8_SB_S5_SD_SB_S5_PS7_21rocsparse_index_base_SF_SF_SF_bbb.uses_flat_scratch, 0
	.set _ZN9rocsparseL41csrgemm_numeric_fill_block_per_row_kernelILj1024ELj64ELj8192ELj137ELj64Eii21rocsparse_complex_numIfEEEvT5_PKS3_S5_NS_24const_host_device_scalarIT6_EEPKT4_S5_PKS7_SB_S5_SD_S8_SB_S5_SD_SB_S5_PS7_21rocsparse_index_base_SF_SF_SF_bbb.has_dyn_sized_stack, 0
	.set _ZN9rocsparseL41csrgemm_numeric_fill_block_per_row_kernelILj1024ELj64ELj8192ELj137ELj64Eii21rocsparse_complex_numIfEEEvT5_PKS3_S5_NS_24const_host_device_scalarIT6_EEPKT4_S5_PKS7_SB_S5_SD_S8_SB_S5_SD_SB_S5_PS7_21rocsparse_index_base_SF_SF_SF_bbb.has_recursion, 0
	.set _ZN9rocsparseL41csrgemm_numeric_fill_block_per_row_kernelILj1024ELj64ELj8192ELj137ELj64Eii21rocsparse_complex_numIfEEEvT5_PKS3_S5_NS_24const_host_device_scalarIT6_EEPKT4_S5_PKS7_SB_S5_SD_S8_SB_S5_SD_SB_S5_PS7_21rocsparse_index_base_SF_SF_SF_bbb.has_indirect_call, 0
	.section	.AMDGPU.csdata,"",@progbits
; Kernel info:
; codeLenInByte = 3672
; TotalNumSgprs: 67
; NumVgprs: 22
; NumAgprs: 0
; TotalNumVgprs: 22
; ScratchSize: 0
; MemoryBound: 0
; FloatMode: 240
; IeeeMode: 1
; LDSByteSize: 0 bytes/workgroup (compile time only)
; SGPRBlocks: 8
; VGPRBlocks: 2
; NumSGPRsForWavesPerEU: 67
; NumVGPRsForWavesPerEU: 22
; AccumOffset: 24
; Occupancy: 8
; WaveLimiterHint : 1
; COMPUTE_PGM_RSRC2:SCRATCH_EN: 0
; COMPUTE_PGM_RSRC2:USER_SGPR: 2
; COMPUTE_PGM_RSRC2:TRAP_HANDLER: 0
; COMPUTE_PGM_RSRC2:TGID_X_EN: 1
; COMPUTE_PGM_RSRC2:TGID_Y_EN: 0
; COMPUTE_PGM_RSRC2:TGID_Z_EN: 0
; COMPUTE_PGM_RSRC2:TIDIG_COMP_CNT: 0
; COMPUTE_PGM_RSRC3_GFX90A:ACCUM_OFFSET: 5
; COMPUTE_PGM_RSRC3_GFX90A:TG_SPLIT: 0
	.section	.text._ZN9rocsparseL41csrgemm_numeric_fill_block_per_row_kernelILj1024ELj64ELj16384ELj137ELj32Eii21rocsparse_complex_numIfEEEvT5_PKS3_S5_NS_24const_host_device_scalarIT6_EEPKT4_S5_PKS7_SB_S5_SD_S8_SB_S5_SD_SB_S5_PS7_21rocsparse_index_base_SF_SF_SF_bbb,"axG",@progbits,_ZN9rocsparseL41csrgemm_numeric_fill_block_per_row_kernelILj1024ELj64ELj16384ELj137ELj32Eii21rocsparse_complex_numIfEEEvT5_PKS3_S5_NS_24const_host_device_scalarIT6_EEPKT4_S5_PKS7_SB_S5_SD_S8_SB_S5_SD_SB_S5_PS7_21rocsparse_index_base_SF_SF_SF_bbb,comdat
	.globl	_ZN9rocsparseL41csrgemm_numeric_fill_block_per_row_kernelILj1024ELj64ELj16384ELj137ELj32Eii21rocsparse_complex_numIfEEEvT5_PKS3_S5_NS_24const_host_device_scalarIT6_EEPKT4_S5_PKS7_SB_S5_SD_S8_SB_S5_SD_SB_S5_PS7_21rocsparse_index_base_SF_SF_SF_bbb ; -- Begin function _ZN9rocsparseL41csrgemm_numeric_fill_block_per_row_kernelILj1024ELj64ELj16384ELj137ELj32Eii21rocsparse_complex_numIfEEEvT5_PKS3_S5_NS_24const_host_device_scalarIT6_EEPKT4_S5_PKS7_SB_S5_SD_S8_SB_S5_SD_SB_S5_PS7_21rocsparse_index_base_SF_SF_SF_bbb
	.p2align	8
	.type	_ZN9rocsparseL41csrgemm_numeric_fill_block_per_row_kernelILj1024ELj64ELj16384ELj137ELj32Eii21rocsparse_complex_numIfEEEvT5_PKS3_S5_NS_24const_host_device_scalarIT6_EEPKT4_S5_PKS7_SB_S5_SD_S8_SB_S5_SD_SB_S5_PS7_21rocsparse_index_base_SF_SF_SF_bbb,@function
_ZN9rocsparseL41csrgemm_numeric_fill_block_per_row_kernelILj1024ELj64ELj16384ELj137ELj32Eii21rocsparse_complex_numIfEEEvT5_PKS3_S5_NS_24const_host_device_scalarIT6_EEPKT4_S5_PKS7_SB_S5_SD_S8_SB_S5_SD_SB_S5_PS7_21rocsparse_index_base_SF_SF_SF_bbb: ; @_ZN9rocsparseL41csrgemm_numeric_fill_block_per_row_kernelILj1024ELj64ELj16384ELj137ELj32Eii21rocsparse_complex_numIfEEEvT5_PKS3_S5_NS_24const_host_device_scalarIT6_EEPKT4_S5_PKS7_SB_S5_SD_S8_SB_S5_SD_SB_S5_PS7_21rocsparse_index_base_SF_SF_SF_bbb
; %bb.0:
	s_load_dwordx2 s[4:5], s[0:1], 0x70
	s_load_dwordx4 s[64:67], s[0:1], 0x88
                                        ; implicit-def: $vgpr22 : SGPR spill to VGPR lane
	s_mov_b32 s7, 0
	s_mov_b32 s42, 0
	s_waitcnt lgkmcnt(0)
	v_writelane_b32 v22, s4, 0
	s_nop 1
	v_writelane_b32 v22, s5, 1
	s_load_dwordx4 s[24:27], s[0:1], 0x60
	s_load_dwordx8 s[8:15], s[0:1], 0x40
	s_load_dword s3, s[0:1], 0x98
	s_load_dwordx4 s[28:31], s[0:1], 0x8
	s_load_dwordx8 s[16:23], s[0:1], 0x20
	s_load_dwordx2 s[4:5], s[0:1], 0x80
	s_waitcnt lgkmcnt(0)
	s_bitcmp1_b32 s3, 0
	s_cselect_b64 s[36:37], -1, 0
	s_bitcmp1_b32 s3, 16
	v_writelane_b32 v22, s4, 2
	s_nop 1
	v_writelane_b32 v22, s5, 3
	s_cselect_b64 s[4:5], -1, 0
	s_xor_b64 s[4:5], s[4:5], -1
	v_cndmask_b32_e64 v1, 0, 1, s[4:5]
	s_bitcmp0_b32 s3, 0
	v_cmp_ne_u32_e64 s[4:5], 1, v1
	s_cbranch_scc1 .LBB54_5
; %bb.1:
	s_load_dwordx2 s[6:7], s[0:1], 0x18
	s_and_b64 vcc, exec, s[4:5]
	s_waitcnt lgkmcnt(0)
	s_mov_b32 s42, s6
	s_cbranch_vccnz .LBB54_3
; %bb.2:
	s_load_dword s42, s[6:7], 0x0
.LBB54_3:
	s_and_b64 vcc, exec, s[4:5]
	s_cbranch_vccnz .LBB54_5
; %bb.4:
	s_load_dword s7, s[6:7], 0x4
.LBB54_5:
	s_bitcmp1_b32 s3, 8
	s_cselect_b64 s[34:35], -1, 0
	s_bfe_u32 s3, s3, 0x10008
	s_mov_b32 s40, 0
	s_cmp_eq_u32 s3, 0
	s_mov_b32 s41, 0
	s_cbranch_scc1 .LBB54_11
; %bb.6:
	s_and_b64 vcc, exec, s[4:5]
	s_mov_b32 s40, s12
	s_cbranch_vccnz .LBB54_8
; %bb.7:
	s_load_dword s40, s[12:13], 0x0
.LBB54_8:
	s_and_b64 vcc, exec, s[4:5]
	s_cbranch_vccnz .LBB54_10
; %bb.9:
	s_load_dword s13, s[12:13], 0x4
.LBB54_10:
	s_waitcnt lgkmcnt(0)
	s_mov_b32 s41, s13
.LBB54_11:
	s_load_dword s33, s[0:1], 0x0
	v_lshl_add_u32 v2, v0, 3, 0
	v_or_b32_e32 v1, 0xfffffc00, v0
	v_add_u32_e32 v8, 0x10000, v2
	v_lshl_add_u32 v9, v0, 2, 0
	s_mov_b64 s[0:1], 0
	s_waitcnt lgkmcnt(0)
	v_mov_b32_e32 v6, s33
	v_mov_b32_e32 v2, 0
	s_movk_i32 s3, 0x3bff
	v_mov_b32_e32 v3, v9
	v_mov_b32_e32 v4, v8
	;; [unrolled: 1-line block ×3, first 2 shown]
.LBB54_12:                              ; =>This Inner Loop Header: Depth=1
	v_add_u32_e32 v5, 0x400, v5
	v_cmp_lt_u32_e32 vcc, s3, v5
	ds_write_b32 v3, v6
	ds_write2_b32 v4, v2, v2 offset1:1
	v_add_u32_e32 v4, 0x2000, v4
	s_or_b64 s[0:1], vcc, s[0:1]
	v_add_u32_e32 v3, 0x1000, v3
	s_andn2_b64 exec, exec, s[0:1]
	s_cbranch_execnz .LBB54_12
; %bb.13:
	s_or_b64 exec, exec, s[0:1]
	s_waitcnt lgkmcnt(0)
	s_barrier
	s_load_dword s0, s[28:29], 0x0
	s_mov_b32 s1, 0
	s_waitcnt lgkmcnt(0)
	s_add_i32 s0, s0, s2
	s_lshl_b64 s[0:1], s[0:1], 2
	s_add_u32 s0, s30, s0
	s_addc_u32 s1, s31, s1
	s_load_dword s44, s[0:1], 0x0
	s_and_b64 vcc, exec, s[36:37]
	s_cbranch_vccz .LBB54_31
; %bb.14:
	s_waitcnt lgkmcnt(0)
	s_ashr_i32 s45, s44, 31
	s_lshl_b64 s[0:1], s[44:45], 2
	s_add_u32 s0, s16, s0
	s_addc_u32 s1, s17, s1
	s_load_dwordx2 s[2:3], s[0:1], 0x0
	v_lshrrev_b32_e32 v2, 6, v0
	v_subrev_u32_e32 v2, s64, v2
	s_waitcnt lgkmcnt(0)
	s_sub_i32 s6, s3, s64
	v_add_u32_e32 v2, s2, v2
	v_cmp_gt_i32_e32 vcc, s6, v2
	s_and_saveexec_b64 s[0:1], vcc
	s_cbranch_execz .LBB54_30
; %bb.15:
	v_and_b32_e32 v3, 63, v0
	v_subrev_u32_e32 v10, s65, v3
	s_mov_b64 s[2:3], 0
	s_movk_i32 s43, 0x89
	s_branch .LBB54_17
.LBB54_16:                              ;   in Loop: Header=BB54_17 Depth=1
	s_or_b64 exec, exec, s[4:5]
	v_add_u32_e32 v2, 16, v2
	v_cmp_le_i32_e32 vcc, s6, v2
	s_or_b64 s[2:3], vcc, s[2:3]
	s_andn2_b64 exec, exec, s[2:3]
	s_cbranch_execz .LBB54_30
.LBB54_17:                              ; =>This Loop Header: Depth=1
                                        ;     Child Loop BB54_21 Depth 2
                                        ;       Child Loop BB54_24 Depth 3
	v_ashrrev_i32_e32 v3, 31, v2
	v_lshl_add_u64 v[4:5], v[2:3], 2, s[18:19]
	global_load_dword v4, v[4:5], off
	s_waitcnt vmcnt(0)
	v_subrev_u32_e32 v4, s64, v4
	v_ashrrev_i32_e32 v5, 31, v4
	v_lshl_add_u64 v[4:5], v[4:5], 2, s[22:23]
	global_load_dwordx2 v[4:5], v[4:5], off
	s_waitcnt vmcnt(0)
	v_subrev_u32_e32 v11, s65, v5
	v_add_u32_e32 v4, v4, v10
	v_cmp_lt_i32_e32 vcc, v4, v11
	s_and_saveexec_b64 s[4:5], vcc
	s_cbranch_execz .LBB54_16
; %bb.18:                               ;   in Loop: Header=BB54_17 Depth=1
	v_lshl_add_u64 v[6:7], v[2:3], 3, s[20:21]
	global_load_dwordx2 v[6:7], v[6:7], off
	s_mov_b64 s[12:13], 0
	s_waitcnt vmcnt(0)
	v_mul_f32_e64 v3, v7, -s7
	v_mul_f32_e32 v12, s42, v7
	v_fmac_f32_e32 v3, s42, v6
	v_fmac_f32_e32 v12, s7, v6
	s_branch .LBB54_21
.LBB54_19:                              ;   in Loop: Header=BB54_21 Depth=2
	s_or_b64 exec, exec, s[28:29]
.LBB54_20:                              ;   in Loop: Header=BB54_21 Depth=2
	s_or_b64 exec, exec, s[16:17]
	s_waitcnt vmcnt(0)
	v_mul_f32_e64 v13, v7, -v12
	v_lshl_add_u32 v5, v5, 3, 0
	v_fmac_f32_e32 v13, v3, v6
	v_mul_f32_e32 v7, v3, v7
	v_add_u32_e32 v5, 0x10000, v5
	v_fmac_f32_e32 v7, v12, v6
	ds_add_f32 v5, v13
	ds_add_f32 v5, v7 offset:4
	v_add_u32_e32 v4, 64, v4
	v_cmp_ge_i32_e32 vcc, v4, v11
	s_or_b64 s[12:13], vcc, s[12:13]
	s_andn2_b64 exec, exec, s[12:13]
	s_cbranch_execz .LBB54_16
.LBB54_21:                              ;   Parent Loop BB54_17 Depth=1
                                        ; =>  This Loop Header: Depth=2
                                        ;       Child Loop BB54_24 Depth 3
	v_ashrrev_i32_e32 v5, 31, v4
	v_lshl_add_u64 v[6:7], v[4:5], 2, s[8:9]
	global_load_dword v13, v[6:7], off
	v_lshl_add_u64 v[6:7], v[4:5], 3, s[10:11]
	global_load_dwordx2 v[6:7], v[6:7], off
	s_waitcnt vmcnt(1)
	v_subrev_u32_e32 v13, s65, v13
	v_mul_lo_u32 v5, v13, s43
	v_and_b32_e32 v5, 0x3fff, v5
	v_lshl_add_u32 v14, v5, 2, 0
	ds_read_b32 v15, v14
	s_waitcnt lgkmcnt(0)
	v_cmp_ne_u32_e32 vcc, v15, v13
	s_and_saveexec_b64 s[16:17], vcc
	s_cbranch_execz .LBB54_20
; %bb.22:                               ;   in Loop: Header=BB54_21 Depth=2
	s_mov_b64 s[28:29], 0
	s_branch .LBB54_24
.LBB54_23:                              ;   in Loop: Header=BB54_24 Depth=3
	s_or_b64 exec, exec, s[38:39]
	s_and_b64 s[30:31], exec, s[36:37]
	s_or_b64 s[28:29], s[30:31], s[28:29]
	s_andn2_b64 exec, exec, s[28:29]
	s_cbranch_execz .LBB54_19
.LBB54_24:                              ;   Parent Loop BB54_17 Depth=1
                                        ;     Parent Loop BB54_21 Depth=2
                                        ; =>    This Inner Loop Header: Depth=3
	v_cmp_ne_u32_e32 vcc, s33, v15
	s_mov_b64 s[30:31], 0
	s_and_saveexec_b64 s[36:37], vcc
	s_xor_b64 s[36:37], exec, s[36:37]
	s_cbranch_execz .LBB54_26
; %bb.25:                               ;   in Loop: Header=BB54_24 Depth=3
	v_add_u32_e32 v5, 1, v5
	s_mov_b64 s[30:31], exec
	v_and_b32_e32 v5, 0x3fff, v5
                                        ; implicit-def: $vgpr14
	s_andn2_saveexec_b64 s[36:37], s[36:37]
	s_cbranch_execz .LBB54_28
	s_branch .LBB54_27
.LBB54_26:                              ;   in Loop: Header=BB54_24 Depth=3
	s_andn2_saveexec_b64 s[36:37], s[36:37]
	s_cbranch_execz .LBB54_28
.LBB54_27:                              ;   in Loop: Header=BB54_24 Depth=3
	v_mov_b32_e32 v15, s33
	ds_cmpst_rtn_b32 v14, v14, v15, v13
	s_andn2_b64 s[30:31], s[30:31], exec
	s_waitcnt lgkmcnt(0)
	v_cmp_ne_u32_e32 vcc, s33, v14
	s_and_b64 s[38:39], vcc, exec
	s_or_b64 s[30:31], s[30:31], s[38:39]
.LBB54_28:                              ;   in Loop: Header=BB54_24 Depth=3
	s_or_b64 exec, exec, s[36:37]
	s_mov_b64 s[36:37], -1
                                        ; implicit-def: $vgpr14
                                        ; implicit-def: $vgpr15
	s_and_saveexec_b64 s[38:39], s[30:31]
	s_cbranch_execz .LBB54_23
; %bb.29:                               ;   in Loop: Header=BB54_24 Depth=3
	v_lshl_add_u32 v14, v5, 2, 0
	ds_read_b32 v15, v14
	s_waitcnt lgkmcnt(0)
	v_cmp_eq_u32_e32 vcc, v15, v13
	s_orn2_b64 s[36:37], vcc, exec
	s_branch .LBB54_23
.LBB54_30:
	s_or_b64 exec, exec, s[0:1]
.LBB54_31:
	s_andn2_b64 vcc, exec, s[34:35]
	s_cbranch_vccnz .LBB54_46
; %bb.32:
	s_waitcnt lgkmcnt(0)
	s_ashr_i32 s45, s44, 31
	s_lshl_b64 s[0:1], s[44:45], 2
	s_add_u32 s0, s14, s0
	s_addc_u32 s1, s15, s1
	s_load_dwordx2 s[2:3], s[0:1], 0x0
	v_subrev_u32_e32 v2, s67, v0
	s_waitcnt lgkmcnt(0)
	s_sub_i32 s14, s3, s67
	v_add_u32_e32 v2, s2, v2
	v_cmp_gt_i32_e32 vcc, s14, v2
	s_and_saveexec_b64 s[0:1], vcc
	s_cbranch_execz .LBB54_45
; %bb.33:
	s_mov_b64 s[2:3], 0
	s_movk_i32 s15, 0x89
	s_branch .LBB54_36
.LBB54_34:                              ;   in Loop: Header=BB54_36 Depth=1
	s_or_b64 exec, exec, s[6:7]
.LBB54_35:                              ;   in Loop: Header=BB54_36 Depth=1
	s_or_b64 exec, exec, s[4:5]
	s_waitcnt vmcnt(0)
	v_mul_f32_e64 v6, v5, -s41
	v_lshl_add_u32 v3, v3, 3, 0
	v_fmac_f32_e32 v6, s40, v4
	v_mul_f32_e32 v5, s40, v5
	v_add_u32_e32 v3, 0x10000, v3
	v_fmac_f32_e32 v5, s41, v4
	ds_add_f32 v3, v6
	ds_add_f32 v3, v5 offset:4
	v_add_u32_e32 v2, 0x400, v2
	v_cmp_le_i32_e32 vcc, s14, v2
	s_or_b64 s[2:3], vcc, s[2:3]
	s_andn2_b64 exec, exec, s[2:3]
	s_cbranch_execz .LBB54_45
.LBB54_36:                              ; =>This Loop Header: Depth=1
                                        ;     Child Loop BB54_39 Depth 2
	v_ashrrev_i32_e32 v3, 31, v2
	v_lshl_add_u64 v[4:5], v[2:3], 2, s[24:25]
	global_load_dword v6, v[4:5], off
	v_lshl_add_u64 v[4:5], v[2:3], 3, s[26:27]
	global_load_dwordx2 v[4:5], v[4:5], off
	s_waitcnt vmcnt(1)
	v_subrev_u32_e32 v6, s67, v6
	v_mul_lo_u32 v3, v6, s15
	v_and_b32_e32 v3, 0x3fff, v3
	v_lshl_add_u32 v7, v3, 2, 0
	ds_read_b32 v10, v7
	s_waitcnt lgkmcnt(0)
	v_cmp_ne_u32_e32 vcc, v10, v6
	s_and_saveexec_b64 s[4:5], vcc
	s_cbranch_execz .LBB54_35
; %bb.37:                               ;   in Loop: Header=BB54_36 Depth=1
	s_mov_b64 s[6:7], 0
	s_branch .LBB54_39
.LBB54_38:                              ;   in Loop: Header=BB54_39 Depth=2
	s_or_b64 exec, exec, s[12:13]
	s_and_b64 s[8:9], exec, s[10:11]
	s_or_b64 s[6:7], s[8:9], s[6:7]
	s_andn2_b64 exec, exec, s[6:7]
	s_cbranch_execz .LBB54_34
.LBB54_39:                              ;   Parent Loop BB54_36 Depth=1
                                        ; =>  This Inner Loop Header: Depth=2
	v_cmp_ne_u32_e32 vcc, s33, v10
	s_mov_b64 s[8:9], 0
	s_and_saveexec_b64 s[10:11], vcc
	s_xor_b64 s[10:11], exec, s[10:11]
	s_cbranch_execz .LBB54_41
; %bb.40:                               ;   in Loop: Header=BB54_39 Depth=2
	v_add_u32_e32 v3, 1, v3
	s_mov_b64 s[8:9], exec
	v_and_b32_e32 v3, 0x3fff, v3
                                        ; implicit-def: $vgpr7
	s_andn2_saveexec_b64 s[10:11], s[10:11]
	s_cbranch_execz .LBB54_43
	s_branch .LBB54_42
.LBB54_41:                              ;   in Loop: Header=BB54_39 Depth=2
	s_andn2_saveexec_b64 s[10:11], s[10:11]
	s_cbranch_execz .LBB54_43
.LBB54_42:                              ;   in Loop: Header=BB54_39 Depth=2
	v_mov_b32_e32 v10, s33
	ds_cmpst_rtn_b32 v7, v7, v10, v6
	s_andn2_b64 s[8:9], s[8:9], exec
	s_waitcnt lgkmcnt(0)
	v_cmp_ne_u32_e32 vcc, s33, v7
	s_and_b64 s[12:13], vcc, exec
	s_or_b64 s[8:9], s[8:9], s[12:13]
.LBB54_43:                              ;   in Loop: Header=BB54_39 Depth=2
	s_or_b64 exec, exec, s[10:11]
	s_mov_b64 s[10:11], -1
                                        ; implicit-def: $vgpr7
                                        ; implicit-def: $vgpr10
	s_and_saveexec_b64 s[12:13], s[8:9]
	s_cbranch_execz .LBB54_38
; %bb.44:                               ;   in Loop: Header=BB54_39 Depth=2
	v_lshl_add_u32 v7, v3, 2, 0
	ds_read_b32 v10, v7
	s_waitcnt lgkmcnt(0)
	v_cmp_eq_u32_e32 vcc, v10, v6
	s_orn2_b64 s[10:11], vcc, exec
	s_branch .LBB54_38
.LBB54_45:
	s_or_b64 exec, exec, s[0:1]
.LBB54_46:
	s_waitcnt lgkmcnt(0)
	v_writelane_b32 v22, s44, 4
	s_add_i32 s0, 0, 0x30000
	v_lshrrev_b32_e32 v4, 3, v0
	v_writelane_b32 v22, s45, 5
	v_writelane_b32 v22, s0, 6
	s_add_i32 s60, 0, 0x30004
	v_mbcnt_lo_u32_b32 v2, -1, 0
	v_and_b32_e32 v4, 0x7c, v4
	v_writelane_b32 v22, s60, 7
	s_add_i32 s60, 0, 0x30008
	v_mbcnt_hi_u32_b32 v2, -1, v2
	v_add_u32_e32 v6, s0, v4
	s_movk_i32 s0, 0x3ff
	v_writelane_b32 v22, s60, 8
	s_add_i32 s60, 0, 0x3000c
	v_sub_u32_e32 v2, 63, v2
	v_cmp_eq_u32_e32 vcc, s0, v0
	s_movk_i32 s0, 0x5f
	s_movk_i32 s2, 0x7f
	;; [unrolled: 1-line block ×29, first 2 shown]
	v_writelane_b32 v22, s60, 9
	s_add_i32 s60, 0, 0x30014
	v_lshrrev_b64 v[2:3], v2, -1
	v_cmp_lt_u32_e64 s[0:1], s0, v0
	v_cmp_lt_u32_e64 s[2:3], s2, v0
	;; [unrolled: 1-line block ×29, first 2 shown]
	v_mov_b32_e32 v7, 0
	s_add_i32 s79, 0, 0x30010
	v_writelane_b32 v22, s60, 10
	s_add_i32 s82, 0, 0x30018
	s_add_i32 s83, 0, 0x3001c
	;; [unrolled: 1-line block ×26, first 2 shown]
	v_cmp_lt_u32_e64 s[60:61], 31, v0
	v_cmp_lt_u32_e64 s[62:63], 63, v0
	s_mov_b64 s[74:75], 0
	s_barrier
	s_branch .LBB54_48
.LBB54_47:                              ;   in Loop: Header=BB54_48 Depth=1
	s_or_b64 exec, exec, s[64:65]
	v_mov_b32_e32 v4, s78
	s_waitcnt lgkmcnt(0)
	s_barrier
	ds_read_b32 v4, v4
	v_add_u32_e32 v1, 0x400, v1
	s_movk_i32 s64, 0x3bff
	v_cmp_lt_u32_e64 s[64:65], s64, v1
	v_add_u32_e32 v8, 0x2000, v8
	s_waitcnt lgkmcnt(0)
	v_add_u32_e32 v7, v4, v7
	s_or_b64 s[74:75], s[64:65], s[74:75]
	v_add_u32_e32 v9, 0x1000, v9
	s_andn2_b64 exec, exec, s[74:75]
	s_cbranch_execz .LBB54_114
.LBB54_48:                              ; =>This Inner Loop Header: Depth=1
	ds_read_b32 v10, v9
	ds_read2_b32 v[4:5], v8 offset1:1
	s_waitcnt lgkmcnt(0)
	s_barrier
	v_cmp_gt_i32_e64 s[64:65], s33, v10
	s_bcnt1_i32_b64 s76, s[64:65]
	s_nop 0
	v_and_b32_e32 v12, s64, v2
	v_and_b32_e32 v11, s65, v3
	v_bcnt_u32_b32 v12, v12, 0
	v_bcnt_u32_b32 v11, v11, v12
	v_mov_b32_e32 v12, s76
	ds_write_b32 v6, v12
	s_waitcnt lgkmcnt(0)
	s_barrier
	s_and_saveexec_b64 s[76:77], s[60:61]
	s_cbranch_execz .LBB54_81
; %bb.49:                               ;   in Loop: Header=BB54_48 Depth=1
	v_readlane_b32 s80, v22, 6
	s_nop 1
	v_mov_b32_e32 v12, s80
	ds_read_b32 v12, v12
	s_waitcnt lgkmcnt(0)
	v_add_u32_e32 v11, v12, v11
	s_or_b64 exec, exec, s[76:77]
	s_and_saveexec_b64 s[76:77], s[62:63]
	s_cbranch_execnz .LBB54_82
.LBB54_50:                              ;   in Loop: Header=BB54_48 Depth=1
	s_or_b64 exec, exec, s[76:77]
	s_and_saveexec_b64 s[76:77], s[0:1]
	s_cbranch_execz .LBB54_83
.LBB54_51:                              ;   in Loop: Header=BB54_48 Depth=1
	v_readlane_b32 s80, v22, 8
	s_nop 1
	v_mov_b32_e32 v12, s80
	ds_read_b32 v12, v12
	s_waitcnt lgkmcnt(0)
	v_add_u32_e32 v11, v12, v11
	s_or_b64 exec, exec, s[76:77]
	s_and_saveexec_b64 s[76:77], s[2:3]
	s_cbranch_execnz .LBB54_84
.LBB54_52:                              ;   in Loop: Header=BB54_48 Depth=1
	s_or_b64 exec, exec, s[76:77]
	s_and_saveexec_b64 s[76:77], s[4:5]
	s_cbranch_execz .LBB54_85
.LBB54_53:                              ;   in Loop: Header=BB54_48 Depth=1
	v_mov_b32_e32 v12, s79
	ds_read_b32 v12, v12
	s_waitcnt lgkmcnt(0)
	v_add_u32_e32 v11, v12, v11
	s_or_b64 exec, exec, s[76:77]
	s_and_saveexec_b64 s[76:77], s[6:7]
	s_cbranch_execnz .LBB54_86
.LBB54_54:                              ;   in Loop: Header=BB54_48 Depth=1
	s_or_b64 exec, exec, s[76:77]
	s_and_saveexec_b64 s[76:77], s[8:9]
	s_cbranch_execz .LBB54_87
.LBB54_55:                              ;   in Loop: Header=BB54_48 Depth=1
	v_mov_b32_e32 v12, s82
	ds_read_b32 v12, v12
	s_waitcnt lgkmcnt(0)
	v_add_u32_e32 v11, v12, v11
	s_or_b64 exec, exec, s[76:77]
	s_and_saveexec_b64 s[76:77], s[10:11]
	s_cbranch_execnz .LBB54_88
.LBB54_56:                              ;   in Loop: Header=BB54_48 Depth=1
	s_or_b64 exec, exec, s[76:77]
	s_and_saveexec_b64 s[76:77], s[12:13]
	s_cbranch_execz .LBB54_89
.LBB54_57:                              ;   in Loop: Header=BB54_48 Depth=1
	v_mov_b32_e32 v12, s84
	ds_read_b32 v12, v12
	s_waitcnt lgkmcnt(0)
	v_add_u32_e32 v11, v12, v11
	s_or_b64 exec, exec, s[76:77]
	s_and_saveexec_b64 s[76:77], s[14:15]
	s_cbranch_execnz .LBB54_90
.LBB54_58:                              ;   in Loop: Header=BB54_48 Depth=1
	s_or_b64 exec, exec, s[76:77]
	s_and_saveexec_b64 s[76:77], s[16:17]
	s_cbranch_execz .LBB54_91
.LBB54_59:                              ;   in Loop: Header=BB54_48 Depth=1
	v_mov_b32_e32 v12, s86
	ds_read_b32 v12, v12
	s_waitcnt lgkmcnt(0)
	v_add_u32_e32 v11, v12, v11
	s_or_b64 exec, exec, s[76:77]
	s_and_saveexec_b64 s[76:77], s[18:19]
	s_cbranch_execnz .LBB54_92
.LBB54_60:                              ;   in Loop: Header=BB54_48 Depth=1
	s_or_b64 exec, exec, s[76:77]
	s_and_saveexec_b64 s[76:77], s[20:21]
	s_cbranch_execz .LBB54_93
.LBB54_61:                              ;   in Loop: Header=BB54_48 Depth=1
	v_mov_b32_e32 v12, s88
	ds_read_b32 v12, v12
	s_waitcnt lgkmcnt(0)
	v_add_u32_e32 v11, v12, v11
	s_or_b64 exec, exec, s[76:77]
	s_and_saveexec_b64 s[76:77], s[22:23]
	s_cbranch_execnz .LBB54_94
.LBB54_62:                              ;   in Loop: Header=BB54_48 Depth=1
	s_or_b64 exec, exec, s[76:77]
	s_and_saveexec_b64 s[76:77], s[24:25]
	s_cbranch_execz .LBB54_95
.LBB54_63:                              ;   in Loop: Header=BB54_48 Depth=1
	v_mov_b32_e32 v12, s90
	ds_read_b32 v12, v12
	s_waitcnt lgkmcnt(0)
	v_add_u32_e32 v11, v12, v11
	s_or_b64 exec, exec, s[76:77]
	s_and_saveexec_b64 s[76:77], s[26:27]
	s_cbranch_execnz .LBB54_96
.LBB54_64:                              ;   in Loop: Header=BB54_48 Depth=1
	s_or_b64 exec, exec, s[76:77]
	s_and_saveexec_b64 s[76:77], s[28:29]
	s_cbranch_execz .LBB54_97
.LBB54_65:                              ;   in Loop: Header=BB54_48 Depth=1
	v_mov_b32_e32 v12, s92
	ds_read_b32 v12, v12
	s_waitcnt lgkmcnt(0)
	v_add_u32_e32 v11, v12, v11
	s_or_b64 exec, exec, s[76:77]
	s_and_saveexec_b64 s[76:77], s[30:31]
	s_cbranch_execnz .LBB54_98
.LBB54_66:                              ;   in Loop: Header=BB54_48 Depth=1
	s_or_b64 exec, exec, s[76:77]
	s_and_saveexec_b64 s[76:77], s[34:35]
	s_cbranch_execz .LBB54_99
.LBB54_67:                              ;   in Loop: Header=BB54_48 Depth=1
	v_mov_b32_e32 v12, s94
	ds_read_b32 v12, v12
	s_waitcnt lgkmcnt(0)
	v_add_u32_e32 v11, v12, v11
	s_or_b64 exec, exec, s[76:77]
	s_and_saveexec_b64 s[76:77], s[36:37]
	s_cbranch_execnz .LBB54_100
.LBB54_68:                              ;   in Loop: Header=BB54_48 Depth=1
	s_or_b64 exec, exec, s[76:77]
	s_and_saveexec_b64 s[76:77], s[38:39]
	s_cbranch_execz .LBB54_101
.LBB54_69:                              ;   in Loop: Header=BB54_48 Depth=1
	v_mov_b32_e32 v12, s96
	ds_read_b32 v12, v12
	s_waitcnt lgkmcnt(0)
	v_add_u32_e32 v11, v12, v11
	s_or_b64 exec, exec, s[76:77]
	s_and_saveexec_b64 s[76:77], s[40:41]
	s_cbranch_execnz .LBB54_102
.LBB54_70:                              ;   in Loop: Header=BB54_48 Depth=1
	s_or_b64 exec, exec, s[76:77]
	s_and_saveexec_b64 s[76:77], s[42:43]
	s_cbranch_execz .LBB54_103
.LBB54_71:                              ;   in Loop: Header=BB54_48 Depth=1
	v_mov_b32_e32 v12, s98
	ds_read_b32 v12, v12
	s_waitcnt lgkmcnt(0)
	v_add_u32_e32 v11, v12, v11
	s_or_b64 exec, exec, s[76:77]
	s_and_saveexec_b64 s[76:77], s[44:45]
	s_cbranch_execnz .LBB54_104
.LBB54_72:                              ;   in Loop: Header=BB54_48 Depth=1
	s_or_b64 exec, exec, s[76:77]
	s_and_saveexec_b64 s[76:77], s[46:47]
	s_cbranch_execz .LBB54_105
.LBB54_73:                              ;   in Loop: Header=BB54_48 Depth=1
	v_mov_b32_e32 v12, s70
	ds_read_b32 v12, v12
	s_waitcnt lgkmcnt(0)
	v_add_u32_e32 v11, v12, v11
	s_or_b64 exec, exec, s[76:77]
	s_and_saveexec_b64 s[76:77], s[48:49]
	s_cbranch_execnz .LBB54_106
.LBB54_74:                              ;   in Loop: Header=BB54_48 Depth=1
	s_or_b64 exec, exec, s[76:77]
	s_and_saveexec_b64 s[76:77], s[50:51]
	s_cbranch_execz .LBB54_107
.LBB54_75:                              ;   in Loop: Header=BB54_48 Depth=1
	v_mov_b32_e32 v12, s72
	ds_read_b32 v12, v12
	s_waitcnt lgkmcnt(0)
	v_add_u32_e32 v11, v12, v11
	s_or_b64 exec, exec, s[76:77]
	s_and_saveexec_b64 s[76:77], s[52:53]
	s_cbranch_execnz .LBB54_108
.LBB54_76:                              ;   in Loop: Header=BB54_48 Depth=1
	s_or_b64 exec, exec, s[76:77]
	s_and_saveexec_b64 s[76:77], s[54:55]
	s_cbranch_execz .LBB54_109
.LBB54_77:                              ;   in Loop: Header=BB54_48 Depth=1
	v_mov_b32_e32 v12, s69
	ds_read_b32 v12, v12
	s_waitcnt lgkmcnt(0)
	v_add_u32_e32 v11, v12, v11
	s_or_b64 exec, exec, s[76:77]
	s_and_saveexec_b64 s[76:77], s[56:57]
	s_cbranch_execnz .LBB54_110
.LBB54_78:                              ;   in Loop: Header=BB54_48 Depth=1
	s_or_b64 exec, exec, s[76:77]
	s_and_saveexec_b64 s[76:77], s[58:59]
	s_cbranch_execz .LBB54_111
.LBB54_79:                              ;   in Loop: Header=BB54_48 Depth=1
	v_mov_b32_e32 v12, s73
	ds_read_b32 v12, v12
	s_waitcnt lgkmcnt(0)
	v_add_u32_e32 v11, v12, v11
	s_or_b64 exec, exec, s[76:77]
	s_and_saveexec_b64 s[76:77], s[64:65]
	s_cbranch_execnz .LBB54_112
.LBB54_80:                              ;   in Loop: Header=BB54_48 Depth=1
	s_or_b64 exec, exec, s[76:77]
	s_and_saveexec_b64 s[64:65], vcc
	s_cbranch_execz .LBB54_47
	s_branch .LBB54_113
.LBB54_81:                              ;   in Loop: Header=BB54_48 Depth=1
	s_or_b64 exec, exec, s[76:77]
	s_and_saveexec_b64 s[76:77], s[62:63]
	s_cbranch_execz .LBB54_50
.LBB54_82:                              ;   in Loop: Header=BB54_48 Depth=1
	v_readlane_b32 s80, v22, 7
	s_nop 1
	v_mov_b32_e32 v12, s80
	ds_read_b32 v12, v12
	s_waitcnt lgkmcnt(0)
	v_add_u32_e32 v11, v12, v11
	s_or_b64 exec, exec, s[76:77]
	s_and_saveexec_b64 s[76:77], s[0:1]
	s_cbranch_execnz .LBB54_51
.LBB54_83:                              ;   in Loop: Header=BB54_48 Depth=1
	s_or_b64 exec, exec, s[76:77]
	s_and_saveexec_b64 s[76:77], s[2:3]
	s_cbranch_execz .LBB54_52
.LBB54_84:                              ;   in Loop: Header=BB54_48 Depth=1
	v_readlane_b32 s80, v22, 9
	s_nop 1
	v_mov_b32_e32 v12, s80
	ds_read_b32 v12, v12
	s_waitcnt lgkmcnt(0)
	v_add_u32_e32 v11, v12, v11
	s_or_b64 exec, exec, s[76:77]
	s_and_saveexec_b64 s[76:77], s[4:5]
	s_cbranch_execnz .LBB54_53
.LBB54_85:                              ;   in Loop: Header=BB54_48 Depth=1
	s_or_b64 exec, exec, s[76:77]
	s_and_saveexec_b64 s[76:77], s[6:7]
	s_cbranch_execz .LBB54_54
.LBB54_86:                              ;   in Loop: Header=BB54_48 Depth=1
	v_readlane_b32 s80, v22, 10
	s_nop 1
	v_mov_b32_e32 v12, s80
	ds_read_b32 v12, v12
	s_waitcnt lgkmcnt(0)
	v_add_u32_e32 v11, v12, v11
	s_or_b64 exec, exec, s[76:77]
	s_and_saveexec_b64 s[76:77], s[8:9]
	s_cbranch_execnz .LBB54_55
.LBB54_87:                              ;   in Loop: Header=BB54_48 Depth=1
	s_or_b64 exec, exec, s[76:77]
	s_and_saveexec_b64 s[76:77], s[10:11]
	s_cbranch_execz .LBB54_56
.LBB54_88:                              ;   in Loop: Header=BB54_48 Depth=1
	v_mov_b32_e32 v12, s83
	ds_read_b32 v12, v12
	s_waitcnt lgkmcnt(0)
	v_add_u32_e32 v11, v12, v11
	s_or_b64 exec, exec, s[76:77]
	s_and_saveexec_b64 s[76:77], s[12:13]
	s_cbranch_execnz .LBB54_57
.LBB54_89:                              ;   in Loop: Header=BB54_48 Depth=1
	s_or_b64 exec, exec, s[76:77]
	s_and_saveexec_b64 s[76:77], s[14:15]
	s_cbranch_execz .LBB54_58
.LBB54_90:                              ;   in Loop: Header=BB54_48 Depth=1
	v_mov_b32_e32 v12, s85
	ds_read_b32 v12, v12
	s_waitcnt lgkmcnt(0)
	v_add_u32_e32 v11, v12, v11
	s_or_b64 exec, exec, s[76:77]
	s_and_saveexec_b64 s[76:77], s[16:17]
	s_cbranch_execnz .LBB54_59
.LBB54_91:                              ;   in Loop: Header=BB54_48 Depth=1
	s_or_b64 exec, exec, s[76:77]
	s_and_saveexec_b64 s[76:77], s[18:19]
	s_cbranch_execz .LBB54_60
.LBB54_92:                              ;   in Loop: Header=BB54_48 Depth=1
	v_mov_b32_e32 v12, s87
	ds_read_b32 v12, v12
	s_waitcnt lgkmcnt(0)
	v_add_u32_e32 v11, v12, v11
	s_or_b64 exec, exec, s[76:77]
	s_and_saveexec_b64 s[76:77], s[20:21]
	s_cbranch_execnz .LBB54_61
.LBB54_93:                              ;   in Loop: Header=BB54_48 Depth=1
	s_or_b64 exec, exec, s[76:77]
	s_and_saveexec_b64 s[76:77], s[22:23]
	s_cbranch_execz .LBB54_62
.LBB54_94:                              ;   in Loop: Header=BB54_48 Depth=1
	v_mov_b32_e32 v12, s89
	ds_read_b32 v12, v12
	s_waitcnt lgkmcnt(0)
	v_add_u32_e32 v11, v12, v11
	s_or_b64 exec, exec, s[76:77]
	s_and_saveexec_b64 s[76:77], s[24:25]
	s_cbranch_execnz .LBB54_63
.LBB54_95:                              ;   in Loop: Header=BB54_48 Depth=1
	s_or_b64 exec, exec, s[76:77]
	s_and_saveexec_b64 s[76:77], s[26:27]
	s_cbranch_execz .LBB54_64
.LBB54_96:                              ;   in Loop: Header=BB54_48 Depth=1
	v_mov_b32_e32 v12, s91
	ds_read_b32 v12, v12
	s_waitcnt lgkmcnt(0)
	v_add_u32_e32 v11, v12, v11
	s_or_b64 exec, exec, s[76:77]
	s_and_saveexec_b64 s[76:77], s[28:29]
	s_cbranch_execnz .LBB54_65
.LBB54_97:                              ;   in Loop: Header=BB54_48 Depth=1
	s_or_b64 exec, exec, s[76:77]
	s_and_saveexec_b64 s[76:77], s[30:31]
	s_cbranch_execz .LBB54_66
.LBB54_98:                              ;   in Loop: Header=BB54_48 Depth=1
	v_mov_b32_e32 v12, s93
	ds_read_b32 v12, v12
	s_waitcnt lgkmcnt(0)
	v_add_u32_e32 v11, v12, v11
	s_or_b64 exec, exec, s[76:77]
	s_and_saveexec_b64 s[76:77], s[34:35]
	s_cbranch_execnz .LBB54_67
.LBB54_99:                              ;   in Loop: Header=BB54_48 Depth=1
	s_or_b64 exec, exec, s[76:77]
	s_and_saveexec_b64 s[76:77], s[36:37]
	s_cbranch_execz .LBB54_68
.LBB54_100:                             ;   in Loop: Header=BB54_48 Depth=1
	v_mov_b32_e32 v12, s95
	ds_read_b32 v12, v12
	s_waitcnt lgkmcnt(0)
	v_add_u32_e32 v11, v12, v11
	s_or_b64 exec, exec, s[76:77]
	s_and_saveexec_b64 s[76:77], s[38:39]
	s_cbranch_execnz .LBB54_69
.LBB54_101:                             ;   in Loop: Header=BB54_48 Depth=1
	s_or_b64 exec, exec, s[76:77]
	s_and_saveexec_b64 s[76:77], s[40:41]
	s_cbranch_execz .LBB54_70
.LBB54_102:                             ;   in Loop: Header=BB54_48 Depth=1
	v_mov_b32_e32 v12, s97
	ds_read_b32 v12, v12
	s_waitcnt lgkmcnt(0)
	v_add_u32_e32 v11, v12, v11
	s_or_b64 exec, exec, s[76:77]
	s_and_saveexec_b64 s[76:77], s[42:43]
	s_cbranch_execnz .LBB54_71
.LBB54_103:                             ;   in Loop: Header=BB54_48 Depth=1
	s_or_b64 exec, exec, s[76:77]
	s_and_saveexec_b64 s[76:77], s[44:45]
	s_cbranch_execz .LBB54_72
.LBB54_104:                             ;   in Loop: Header=BB54_48 Depth=1
	v_mov_b32_e32 v12, s99
	ds_read_b32 v12, v12
	s_waitcnt lgkmcnt(0)
	v_add_u32_e32 v11, v12, v11
	s_or_b64 exec, exec, s[76:77]
	s_and_saveexec_b64 s[76:77], s[46:47]
	s_cbranch_execnz .LBB54_73
.LBB54_105:                             ;   in Loop: Header=BB54_48 Depth=1
	s_or_b64 exec, exec, s[76:77]
	s_and_saveexec_b64 s[76:77], s[48:49]
	s_cbranch_execz .LBB54_74
.LBB54_106:                             ;   in Loop: Header=BB54_48 Depth=1
	v_mov_b32_e32 v12, s71
	ds_read_b32 v12, v12
	s_waitcnt lgkmcnt(0)
	v_add_u32_e32 v11, v12, v11
	s_or_b64 exec, exec, s[76:77]
	s_and_saveexec_b64 s[76:77], s[50:51]
	s_cbranch_execnz .LBB54_75
.LBB54_107:                             ;   in Loop: Header=BB54_48 Depth=1
	s_or_b64 exec, exec, s[76:77]
	s_and_saveexec_b64 s[76:77], s[52:53]
	s_cbranch_execz .LBB54_76
.LBB54_108:                             ;   in Loop: Header=BB54_48 Depth=1
	v_mov_b32_e32 v12, s68
	ds_read_b32 v12, v12
	s_waitcnt lgkmcnt(0)
	v_add_u32_e32 v11, v12, v11
	s_or_b64 exec, exec, s[76:77]
	s_and_saveexec_b64 s[76:77], s[54:55]
	s_cbranch_execnz .LBB54_77
.LBB54_109:                             ;   in Loop: Header=BB54_48 Depth=1
	s_or_b64 exec, exec, s[76:77]
	s_and_saveexec_b64 s[76:77], s[56:57]
	s_cbranch_execz .LBB54_78
.LBB54_110:                             ;   in Loop: Header=BB54_48 Depth=1
	v_mov_b32_e32 v12, s67
	ds_read_b32 v12, v12
	s_waitcnt lgkmcnt(0)
	v_add_u32_e32 v11, v12, v11
	s_or_b64 exec, exec, s[76:77]
	s_and_saveexec_b64 s[76:77], s[58:59]
	s_cbranch_execnz .LBB54_79
.LBB54_111:                             ;   in Loop: Header=BB54_48 Depth=1
	s_or_b64 exec, exec, s[76:77]
	s_and_saveexec_b64 s[76:77], s[64:65]
	s_cbranch_execz .LBB54_80
.LBB54_112:                             ;   in Loop: Header=BB54_48 Depth=1
	v_add3_u32 v12, v7, -1, v11
	v_add_u32_e32 v13, v7, v11
	v_lshl_add_u32 v12, v12, 2, 0
	v_lshl_add_u32 v13, v13, 3, 0
	v_add_u32_e32 v13, 0xfff8, v13
	ds_write_b32 v12, v10
	ds_write2_b32 v13, v4, v5 offset1:1
	s_or_b64 exec, exec, s[76:77]
	s_and_saveexec_b64 s[64:65], vcc
	s_cbranch_execz .LBB54_47
.LBB54_113:                             ;   in Loop: Header=BB54_48 Depth=1
	v_mov_b32_e32 v4, s78
	ds_write_b32 v4, v11
	s_branch .LBB54_47
.LBB54_114:
	s_or_b64 exec, exec, s[74:75]
	v_readlane_b32 s0, v22, 4
	v_readlane_b32 s1, v22, 5
	s_ashr_i32 s1, s0, 31
	s_lshl_b64 s[0:1], s[0:1], 2
	v_readlane_b32 s2, v22, 0
	v_readlane_b32 s3, v22, 1
	s_add_u32 s2, s2, s0
	s_addc_u32 s3, s3, s1
	s_load_dwordx2 s[0:1], s[2:3], 0x0
	s_waitcnt lgkmcnt(0)
	s_sub_i32 s14, s1, s0
	v_cmp_gt_i32_e32 vcc, s14, v0
	s_and_saveexec_b64 s[2:3], vcc
	s_cbranch_execz .LBB54_128
; %bb.115:
	s_sub_i32 s8, s0, s66
	v_sub_co_u32_e64 v1, s[0:1], s14, 2
	s_nop 0
	v_readfirstlane_b32 s2, v1
	s_lshr_b32 s2, s2, 1
	s_add_i32 s2, s2, 1
	s_xor_b64 s[0:1], s[0:1], -1
	s_and_b32 s15, s14, -2
	s_and_b32 s3, s2, 7
	s_and_b32 s16, s2, -8
	s_cmp_lg_u32 s3, 0
	v_cmp_lt_u32_e32 vcc, 13, v1
	s_cselect_b64 s[4:5], -1, 0
	s_cmp_lg_u32 s14, s15
	v_cndmask_b32_e64 v1, 0, 1, vcc
	s_cselect_b64 s[10:11], -1, 0
	s_lshl_b32 s17, s3, 3
	v_cndmask_b32_e64 v2, 0, 1, s[0:1]
	v_cmp_ne_u32_e64 s[2:3], 1, v1
	v_cndmask_b32_e64 v1, 0, 1, s[4:5]
	s_mov_b32 s9, 0
	s_mov_b64 s[12:13], 0
	v_cmp_ne_u32_e64 s[0:1], 1, v2
	v_cmp_ne_u32_e64 s[4:5], 1, v1
	s_branch .LBB54_117
.LBB54_116:                             ;   in Loop: Header=BB54_117 Depth=1
	v_readlane_b32 s6, v22, 2
	v_add_u32_e32 v0, 0x400, v0
	v_ashrrev_i32_e32 v5, 31, v4
	v_readlane_b32 s7, v22, 3
	v_cmp_le_i32_e32 vcc, s14, v0
	s_or_b64 s[12:13], vcc, s[12:13]
	v_lshl_add_u64 v[4:5], v[4:5], 3, s[6:7]
	s_waitcnt lgkmcnt(0)
	global_store_dwordx2 v[4:5], v[2:3], off
	s_andn2_b64 exec, exec, s[12:13]
	s_cbranch_execz .LBB54_128
.LBB54_117:                             ; =>This Loop Header: Depth=1
                                        ;     Child Loop BB54_120 Depth 2
                                        ;     Child Loop BB54_123 Depth 2
	;; [unrolled: 1-line block ×3, first 2 shown]
	v_lshl_add_u32 v2, v0, 3, 0
	v_lshl_add_u32 v1, v0, 2, 0
	v_add_u32_e32 v2, 0x10000, v2
	ds_read_b32 v1, v1
	ds_read2_b32 v[2:3], v2 offset1:1
	s_and_b64 vcc, exec, s[0:1]
	v_mov_b32_e32 v4, s8
	s_mov_b32 s18, 0
	s_mov_b64 s[6:7], -1
	s_cbranch_vccnz .LBB54_125
; %bb.118:                              ;   in Loop: Header=BB54_117 Depth=1
	s_and_b64 vcc, exec, s[2:3]
	v_mov_b64_e32 v[4:5], s[8:9]
	s_cbranch_vccnz .LBB54_121
; %bb.119:                              ;   in Loop: Header=BB54_117 Depth=1
	s_mov_b32 s19, 0
	v_mov_b32_e32 v4, s8
	v_mov_b32_e32 v5, 0
	s_mov_b32 s20, s16
.LBB54_120:                             ;   Parent Loop BB54_117 Depth=1
                                        ; =>  This Inner Loop Header: Depth=2
	v_mov_b32_e32 v20, s19
	ds_read2_b32 v[6:7], v20 offset1:1
	ds_read2_b32 v[8:9], v20 offset0:2 offset1:3
	ds_read2_b32 v[10:11], v20 offset0:4 offset1:5
	ds_read2_b32 v[12:13], v20 offset0:6 offset1:7
	ds_read2_b32 v[14:15], v20 offset0:8 offset1:9
	ds_read2_b32 v[16:17], v20 offset0:10 offset1:11
	ds_read2_b32 v[18:19], v20 offset0:12 offset1:13
	ds_read2_b32 v[20:21], v20 offset0:14 offset1:15
	s_waitcnt lgkmcnt(7)
	v_cmp_gt_i32_e32 vcc, v1, v7
	s_waitcnt lgkmcnt(5)
	v_cmp_gt_i32_e64 s[6:7], v1, v10
	s_add_i32 s18, s18, 16
	v_cndmask_b32_e64 v7, 0, 1, vcc
	v_cmp_gt_i32_e32 vcc, v1, v6
	s_add_i32 s19, s19, 64
	s_add_i32 s20, s20, -8
	v_cndmask_b32_e64 v6, 0, 1, vcc
	v_cmp_gt_i32_e32 vcc, v1, v9
	v_cndmask_b32_e64 v9, 0, 1, s[6:7]
	v_cmp_gt_i32_e64 s[6:7], v1, v11
	v_addc_co_u32_e32 v5, vcc, v5, v7, vcc
	s_nop 0
	v_cndmask_b32_e64 v10, 0, 1, s[6:7]
	s_waitcnt lgkmcnt(3)
	v_cmp_gt_i32_e64 s[6:7], v1, v15
	v_cmp_gt_i32_e32 vcc, v1, v12
	s_cmp_lg_u32 s20, 0
	v_cndmask_b32_e64 v11, 0, 1, s[6:7]
	v_cmp_gt_i32_e64 s[6:7], v1, v14
	s_nop 1
	v_cndmask_b32_e64 v14, 0, 1, s[6:7]
	s_waitcnt lgkmcnt(1)
	v_cmp_gt_i32_e64 s[6:7], v1, v18
	s_nop 1
	v_cndmask_b32_e64 v15, 0, 1, s[6:7]
	v_cmp_gt_i32_e64 s[6:7], v1, v19
	s_nop 1
	v_cndmask_b32_e64 v18, 0, 1, s[6:7]
	v_cmp_gt_i32_e64 s[6:7], v1, v8
	s_nop 1
	v_addc_co_u32_e64 v4, s[6:7], v4, v6, s[6:7]
	v_cmp_gt_i32_e64 s[6:7], v1, v13
	v_addc_co_u32_e32 v4, vcc, v4, v9, vcc
	s_nop 0
	v_addc_co_u32_e64 v5, s[6:7], v5, v10, s[6:7]
	v_cmp_gt_i32_e32 vcc, v1, v17
	v_cmp_gt_i32_e64 s[6:7], v1, v16
	s_nop 0
	v_addc_co_u32_e32 v5, vcc, v5, v11, vcc
	v_addc_co_u32_e64 v4, s[6:7], v4, v14, s[6:7]
	s_waitcnt lgkmcnt(0)
	v_cmp_gt_i32_e32 vcc, v1, v20
	v_cmp_gt_i32_e64 s[6:7], v1, v21
	s_nop 0
	v_addc_co_u32_e32 v4, vcc, v4, v15, vcc
	v_addc_co_u32_e64 v5, s[6:7], v5, v18, s[6:7]
	s_cbranch_scc1 .LBB54_120
.LBB54_121:                             ;   in Loop: Header=BB54_117 Depth=1
	s_and_b64 vcc, exec, s[4:5]
	s_cbranch_vccnz .LBB54_124
; %bb.122:                              ;   in Loop: Header=BB54_117 Depth=1
	s_lshl_b32 s6, s18, 2
	s_add_i32 s6, s6, 0
	s_mov_b32 s7, s17
.LBB54_123:                             ;   Parent Loop BB54_117 Depth=1
                                        ; =>  This Inner Loop Header: Depth=2
	v_mov_b32_e32 v6, s6
	ds_read2_b32 v[6:7], v6 offset1:1
	s_add_i32 s6, s6, 8
	s_add_i32 s7, s7, -8
	s_cmp_lg_u32 s7, 0
	s_waitcnt lgkmcnt(0)
	v_cmp_gt_i32_e32 vcc, v1, v7
	s_nop 1
	v_addc_co_u32_e32 v5, vcc, 0, v5, vcc
	v_cmp_gt_i32_e32 vcc, v1, v6
	s_nop 1
	v_addc_co_u32_e32 v4, vcc, 0, v4, vcc
	s_cbranch_scc1 .LBB54_123
.LBB54_124:                             ;   in Loop: Header=BB54_117 Depth=1
	v_add_u32_e32 v4, v4, v5
	s_mov_b32 s18, s15
	s_mov_b64 s[6:7], s[10:11]
.LBB54_125:                             ;   in Loop: Header=BB54_117 Depth=1
	s_and_b64 vcc, exec, s[6:7]
	s_cbranch_vccz .LBB54_116
; %bb.126:                              ;   in Loop: Header=BB54_117 Depth=1
	s_lshl_b32 s6, s18, 2
	s_add_i32 s6, s6, 0
.LBB54_127:                             ;   Parent Loop BB54_117 Depth=1
                                        ; =>  This Inner Loop Header: Depth=2
	v_mov_b32_e32 v5, s6
	ds_read_b32 v5, v5
	s_add_i32 s18, s18, 1
	s_add_i32 s6, s6, 4
	s_cmp_ge_i32 s18, s14
	s_waitcnt lgkmcnt(0)
	v_cmp_gt_i32_e32 vcc, v1, v5
	s_nop 1
	v_addc_co_u32_e32 v4, vcc, 0, v4, vcc
	s_cbranch_scc0 .LBB54_127
	s_branch .LBB54_116
.LBB54_128:
	s_endpgm
	.section	.rodata,"a",@progbits
	.p2align	6, 0x0
	.amdhsa_kernel _ZN9rocsparseL41csrgemm_numeric_fill_block_per_row_kernelILj1024ELj64ELj16384ELj137ELj32Eii21rocsparse_complex_numIfEEEvT5_PKS3_S5_NS_24const_host_device_scalarIT6_EEPKT4_S5_PKS7_SB_S5_SD_S8_SB_S5_SD_SB_S5_PS7_21rocsparse_index_base_SF_SF_SF_bbb
		.amdhsa_group_segment_fixed_size 0
		.amdhsa_private_segment_fixed_size 0
		.amdhsa_kernarg_size 156
		.amdhsa_user_sgpr_count 2
		.amdhsa_user_sgpr_dispatch_ptr 0
		.amdhsa_user_sgpr_queue_ptr 0
		.amdhsa_user_sgpr_kernarg_segment_ptr 1
		.amdhsa_user_sgpr_dispatch_id 0
		.amdhsa_user_sgpr_kernarg_preload_length 0
		.amdhsa_user_sgpr_kernarg_preload_offset 0
		.amdhsa_user_sgpr_private_segment_size 0
		.amdhsa_uses_dynamic_stack 0
		.amdhsa_enable_private_segment 0
		.amdhsa_system_sgpr_workgroup_id_x 1
		.amdhsa_system_sgpr_workgroup_id_y 0
		.amdhsa_system_sgpr_workgroup_id_z 0
		.amdhsa_system_sgpr_workgroup_info 0
		.amdhsa_system_vgpr_workitem_id 0
		.amdhsa_next_free_vgpr 23
		.amdhsa_next_free_sgpr 100
		.amdhsa_accum_offset 24
		.amdhsa_reserve_vcc 1
		.amdhsa_float_round_mode_32 0
		.amdhsa_float_round_mode_16_64 0
		.amdhsa_float_denorm_mode_32 3
		.amdhsa_float_denorm_mode_16_64 3
		.amdhsa_dx10_clamp 1
		.amdhsa_ieee_mode 1
		.amdhsa_fp16_overflow 0
		.amdhsa_tg_split 0
		.amdhsa_exception_fp_ieee_invalid_op 0
		.amdhsa_exception_fp_denorm_src 0
		.amdhsa_exception_fp_ieee_div_zero 0
		.amdhsa_exception_fp_ieee_overflow 0
		.amdhsa_exception_fp_ieee_underflow 0
		.amdhsa_exception_fp_ieee_inexact 0
		.amdhsa_exception_int_div_zero 0
	.end_amdhsa_kernel
	.section	.text._ZN9rocsparseL41csrgemm_numeric_fill_block_per_row_kernelILj1024ELj64ELj16384ELj137ELj32Eii21rocsparse_complex_numIfEEEvT5_PKS3_S5_NS_24const_host_device_scalarIT6_EEPKT4_S5_PKS7_SB_S5_SD_S8_SB_S5_SD_SB_S5_PS7_21rocsparse_index_base_SF_SF_SF_bbb,"axG",@progbits,_ZN9rocsparseL41csrgemm_numeric_fill_block_per_row_kernelILj1024ELj64ELj16384ELj137ELj32Eii21rocsparse_complex_numIfEEEvT5_PKS3_S5_NS_24const_host_device_scalarIT6_EEPKT4_S5_PKS7_SB_S5_SD_S8_SB_S5_SD_SB_S5_PS7_21rocsparse_index_base_SF_SF_SF_bbb,comdat
.Lfunc_end54:
	.size	_ZN9rocsparseL41csrgemm_numeric_fill_block_per_row_kernelILj1024ELj64ELj16384ELj137ELj32Eii21rocsparse_complex_numIfEEEvT5_PKS3_S5_NS_24const_host_device_scalarIT6_EEPKT4_S5_PKS7_SB_S5_SD_S8_SB_S5_SD_SB_S5_PS7_21rocsparse_index_base_SF_SF_SF_bbb, .Lfunc_end54-_ZN9rocsparseL41csrgemm_numeric_fill_block_per_row_kernelILj1024ELj64ELj16384ELj137ELj32Eii21rocsparse_complex_numIfEEEvT5_PKS3_S5_NS_24const_host_device_scalarIT6_EEPKT4_S5_PKS7_SB_S5_SD_S8_SB_S5_SD_SB_S5_PS7_21rocsparse_index_base_SF_SF_SF_bbb
                                        ; -- End function
	.set _ZN9rocsparseL41csrgemm_numeric_fill_block_per_row_kernelILj1024ELj64ELj16384ELj137ELj32Eii21rocsparse_complex_numIfEEEvT5_PKS3_S5_NS_24const_host_device_scalarIT6_EEPKT4_S5_PKS7_SB_S5_SD_S8_SB_S5_SD_SB_S5_PS7_21rocsparse_index_base_SF_SF_SF_bbb.num_vgpr, 23
	.set _ZN9rocsparseL41csrgemm_numeric_fill_block_per_row_kernelILj1024ELj64ELj16384ELj137ELj32Eii21rocsparse_complex_numIfEEEvT5_PKS3_S5_NS_24const_host_device_scalarIT6_EEPKT4_S5_PKS7_SB_S5_SD_S8_SB_S5_SD_SB_S5_PS7_21rocsparse_index_base_SF_SF_SF_bbb.num_agpr, 0
	.set _ZN9rocsparseL41csrgemm_numeric_fill_block_per_row_kernelILj1024ELj64ELj16384ELj137ELj32Eii21rocsparse_complex_numIfEEEvT5_PKS3_S5_NS_24const_host_device_scalarIT6_EEPKT4_S5_PKS7_SB_S5_SD_S8_SB_S5_SD_SB_S5_PS7_21rocsparse_index_base_SF_SF_SF_bbb.numbered_sgpr, 100
	.set _ZN9rocsparseL41csrgemm_numeric_fill_block_per_row_kernelILj1024ELj64ELj16384ELj137ELj32Eii21rocsparse_complex_numIfEEEvT5_PKS3_S5_NS_24const_host_device_scalarIT6_EEPKT4_S5_PKS7_SB_S5_SD_S8_SB_S5_SD_SB_S5_PS7_21rocsparse_index_base_SF_SF_SF_bbb.num_named_barrier, 0
	.set _ZN9rocsparseL41csrgemm_numeric_fill_block_per_row_kernelILj1024ELj64ELj16384ELj137ELj32Eii21rocsparse_complex_numIfEEEvT5_PKS3_S5_NS_24const_host_device_scalarIT6_EEPKT4_S5_PKS7_SB_S5_SD_S8_SB_S5_SD_SB_S5_PS7_21rocsparse_index_base_SF_SF_SF_bbb.private_seg_size, 0
	.set _ZN9rocsparseL41csrgemm_numeric_fill_block_per_row_kernelILj1024ELj64ELj16384ELj137ELj32Eii21rocsparse_complex_numIfEEEvT5_PKS3_S5_NS_24const_host_device_scalarIT6_EEPKT4_S5_PKS7_SB_S5_SD_S8_SB_S5_SD_SB_S5_PS7_21rocsparse_index_base_SF_SF_SF_bbb.uses_vcc, 1
	.set _ZN9rocsparseL41csrgemm_numeric_fill_block_per_row_kernelILj1024ELj64ELj16384ELj137ELj32Eii21rocsparse_complex_numIfEEEvT5_PKS3_S5_NS_24const_host_device_scalarIT6_EEPKT4_S5_PKS7_SB_S5_SD_S8_SB_S5_SD_SB_S5_PS7_21rocsparse_index_base_SF_SF_SF_bbb.uses_flat_scratch, 0
	.set _ZN9rocsparseL41csrgemm_numeric_fill_block_per_row_kernelILj1024ELj64ELj16384ELj137ELj32Eii21rocsparse_complex_numIfEEEvT5_PKS3_S5_NS_24const_host_device_scalarIT6_EEPKT4_S5_PKS7_SB_S5_SD_S8_SB_S5_SD_SB_S5_PS7_21rocsparse_index_base_SF_SF_SF_bbb.has_dyn_sized_stack, 0
	.set _ZN9rocsparseL41csrgemm_numeric_fill_block_per_row_kernelILj1024ELj64ELj16384ELj137ELj32Eii21rocsparse_complex_numIfEEEvT5_PKS3_S5_NS_24const_host_device_scalarIT6_EEPKT4_S5_PKS7_SB_S5_SD_S8_SB_S5_SD_SB_S5_PS7_21rocsparse_index_base_SF_SF_SF_bbb.has_recursion, 0
	.set _ZN9rocsparseL41csrgemm_numeric_fill_block_per_row_kernelILj1024ELj64ELj16384ELj137ELj32Eii21rocsparse_complex_numIfEEEvT5_PKS3_S5_NS_24const_host_device_scalarIT6_EEPKT4_S5_PKS7_SB_S5_SD_S8_SB_S5_SD_SB_S5_PS7_21rocsparse_index_base_SF_SF_SF_bbb.has_indirect_call, 0
	.section	.AMDGPU.csdata,"",@progbits
; Kernel info:
; codeLenInByte = 4780
; TotalNumSgprs: 106
; NumVgprs: 23
; NumAgprs: 0
; TotalNumVgprs: 23
; ScratchSize: 0
; MemoryBound: 0
; FloatMode: 240
; IeeeMode: 1
; LDSByteSize: 0 bytes/workgroup (compile time only)
; SGPRBlocks: 13
; VGPRBlocks: 2
; NumSGPRsForWavesPerEU: 106
; NumVGPRsForWavesPerEU: 23
; AccumOffset: 24
; Occupancy: 7
; WaveLimiterHint : 1
; COMPUTE_PGM_RSRC2:SCRATCH_EN: 0
; COMPUTE_PGM_RSRC2:USER_SGPR: 2
; COMPUTE_PGM_RSRC2:TRAP_HANDLER: 0
; COMPUTE_PGM_RSRC2:TGID_X_EN: 1
; COMPUTE_PGM_RSRC2:TGID_Y_EN: 0
; COMPUTE_PGM_RSRC2:TGID_Z_EN: 0
; COMPUTE_PGM_RSRC2:TIDIG_COMP_CNT: 0
; COMPUTE_PGM_RSRC3_GFX90A:ACCUM_OFFSET: 5
; COMPUTE_PGM_RSRC3_GFX90A:TG_SPLIT: 0
	.section	.text._ZN9rocsparseL41csrgemm_numeric_fill_block_per_row_kernelILj1024ELj64ELj16384ELj137ELj64Eii21rocsparse_complex_numIfEEEvT5_PKS3_S5_NS_24const_host_device_scalarIT6_EEPKT4_S5_PKS7_SB_S5_SD_S8_SB_S5_SD_SB_S5_PS7_21rocsparse_index_base_SF_SF_SF_bbb,"axG",@progbits,_ZN9rocsparseL41csrgemm_numeric_fill_block_per_row_kernelILj1024ELj64ELj16384ELj137ELj64Eii21rocsparse_complex_numIfEEEvT5_PKS3_S5_NS_24const_host_device_scalarIT6_EEPKT4_S5_PKS7_SB_S5_SD_S8_SB_S5_SD_SB_S5_PS7_21rocsparse_index_base_SF_SF_SF_bbb,comdat
	.globl	_ZN9rocsparseL41csrgemm_numeric_fill_block_per_row_kernelILj1024ELj64ELj16384ELj137ELj64Eii21rocsparse_complex_numIfEEEvT5_PKS3_S5_NS_24const_host_device_scalarIT6_EEPKT4_S5_PKS7_SB_S5_SD_S8_SB_S5_SD_SB_S5_PS7_21rocsparse_index_base_SF_SF_SF_bbb ; -- Begin function _ZN9rocsparseL41csrgemm_numeric_fill_block_per_row_kernelILj1024ELj64ELj16384ELj137ELj64Eii21rocsparse_complex_numIfEEEvT5_PKS3_S5_NS_24const_host_device_scalarIT6_EEPKT4_S5_PKS7_SB_S5_SD_S8_SB_S5_SD_SB_S5_PS7_21rocsparse_index_base_SF_SF_SF_bbb
	.p2align	8
	.type	_ZN9rocsparseL41csrgemm_numeric_fill_block_per_row_kernelILj1024ELj64ELj16384ELj137ELj64Eii21rocsparse_complex_numIfEEEvT5_PKS3_S5_NS_24const_host_device_scalarIT6_EEPKT4_S5_PKS7_SB_S5_SD_S8_SB_S5_SD_SB_S5_PS7_21rocsparse_index_base_SF_SF_SF_bbb,@function
_ZN9rocsparseL41csrgemm_numeric_fill_block_per_row_kernelILj1024ELj64ELj16384ELj137ELj64Eii21rocsparse_complex_numIfEEEvT5_PKS3_S5_NS_24const_host_device_scalarIT6_EEPKT4_S5_PKS7_SB_S5_SD_S8_SB_S5_SD_SB_S5_PS7_21rocsparse_index_base_SF_SF_SF_bbb: ; @_ZN9rocsparseL41csrgemm_numeric_fill_block_per_row_kernelILj1024ELj64ELj16384ELj137ELj64Eii21rocsparse_complex_numIfEEEvT5_PKS3_S5_NS_24const_host_device_scalarIT6_EEPKT4_S5_PKS7_SB_S5_SD_S8_SB_S5_SD_SB_S5_PS7_21rocsparse_index_base_SF_SF_SF_bbb
; %bb.0:
	s_load_dwordx2 s[40:41], s[0:1], 0x70
	s_load_dwordx4 s[24:27], s[0:1], 0x60
	s_load_dwordx8 s[8:15], s[0:1], 0x40
	s_load_dword s3, s[0:1], 0x98
	s_load_dwordx4 s[28:31], s[0:1], 0x8
	s_load_dwordx8 s[16:23], s[0:1], 0x20
	s_load_dwordx2 s[34:35], s[0:1], 0x80
	s_load_dwordx4 s[36:39], s[0:1], 0x88
	s_waitcnt lgkmcnt(0)
	s_bitcmp1_b32 s3, 0
	s_cselect_b64 s[46:47], -1, 0
	s_bitcmp1_b32 s3, 16
	s_cselect_b64 s[4:5], -1, 0
	s_xor_b64 s[4:5], s[4:5], -1
	v_cndmask_b32_e64 v1, 0, 1, s[4:5]
	s_mov_b32 s7, 0
	s_bitcmp0_b32 s3, 0
	v_cmp_ne_u32_e64 s[4:5], 1, v1
	s_mov_b32 s52, 0
	s_cbranch_scc1 .LBB55_5
; %bb.1:
	s_load_dwordx2 s[6:7], s[0:1], 0x18
	s_and_b64 vcc, exec, s[4:5]
	s_waitcnt lgkmcnt(0)
	s_mov_b32 s52, s6
	s_cbranch_vccnz .LBB55_3
; %bb.2:
	s_load_dword s52, s[6:7], 0x0
.LBB55_3:
	s_and_b64 vcc, exec, s[4:5]
	s_cbranch_vccnz .LBB55_5
; %bb.4:
	s_load_dword s7, s[6:7], 0x4
.LBB55_5:
	s_bitcmp1_b32 s3, 8
	s_cselect_b64 s[44:45], -1, 0
	s_bfe_u32 s3, s3, 0x10008
	s_mov_b32 s50, 0
	s_cmp_eq_u32 s3, 0
	s_mov_b32 s51, 0
	s_cbranch_scc1 .LBB55_11
; %bb.6:
	s_and_b64 vcc, exec, s[4:5]
	s_mov_b32 s50, s12
	s_cbranch_vccnz .LBB55_8
; %bb.7:
	s_load_dword s50, s[12:13], 0x0
.LBB55_8:
	s_and_b64 vcc, exec, s[4:5]
	s_cbranch_vccnz .LBB55_10
; %bb.9:
	s_load_dword s13, s[12:13], 0x4
.LBB55_10:
	s_waitcnt lgkmcnt(0)
	s_mov_b32 s51, s13
.LBB55_11:
	s_load_dword s33, s[0:1], 0x0
	v_lshl_add_u32 v2, v0, 3, 0
	v_or_b32_e32 v1, 0xfffffc00, v0
	v_add_u32_e32 v8, 0x10000, v2
	v_lshl_add_u32 v9, v0, 2, 0
	s_mov_b64 s[0:1], 0
	s_waitcnt lgkmcnt(0)
	v_mov_b32_e32 v6, s33
	v_mov_b32_e32 v2, 0
	s_movk_i32 s3, 0x3bff
	v_mov_b32_e32 v3, v9
	v_mov_b32_e32 v4, v8
	;; [unrolled: 1-line block ×3, first 2 shown]
.LBB55_12:                              ; =>This Inner Loop Header: Depth=1
	v_add_u32_e32 v5, 0x400, v5
	v_cmp_lt_u32_e32 vcc, s3, v5
	ds_write_b32 v3, v6
	ds_write2_b32 v4, v2, v2 offset1:1
	v_add_u32_e32 v4, 0x2000, v4
	s_or_b64 s[0:1], vcc, s[0:1]
	v_add_u32_e32 v3, 0x1000, v3
	s_andn2_b64 exec, exec, s[0:1]
	s_cbranch_execnz .LBB55_12
; %bb.13:
	s_or_b64 exec, exec, s[0:1]
	s_waitcnt lgkmcnt(0)
	s_barrier
	s_load_dword s0, s[28:29], 0x0
	s_mov_b32 s1, 0
	v_lshrrev_b32_e32 v10, 6, v0
	s_waitcnt lgkmcnt(0)
	s_add_i32 s0, s0, s2
	s_lshl_b64 s[0:1], s[0:1], 2
	s_add_u32 s0, s30, s0
	s_addc_u32 s1, s31, s1
	s_load_dword s42, s[0:1], 0x0
	s_and_b64 vcc, exec, s[46:47]
	s_cbranch_vccz .LBB55_31
; %bb.14:
	s_waitcnt lgkmcnt(0)
	s_ashr_i32 s43, s42, 31
	s_lshl_b64 s[0:1], s[42:43], 2
	s_add_u32 s0, s16, s0
	s_addc_u32 s1, s17, s1
	s_load_dwordx2 s[2:3], s[0:1], 0x0
	v_subrev_u32_e32 v2, s36, v10
	s_waitcnt lgkmcnt(0)
	s_sub_i32 s6, s3, s36
	v_add_u32_e32 v2, s2, v2
	v_cmp_gt_i32_e32 vcc, s6, v2
	s_and_saveexec_b64 s[0:1], vcc
	s_cbranch_execz .LBB55_30
; %bb.15:
	v_and_b32_e32 v3, 63, v0
	v_subrev_u32_e32 v11, s37, v3
	s_mov_b64 s[2:3], 0
	s_movk_i32 s43, 0x89
	s_branch .LBB55_17
.LBB55_16:                              ;   in Loop: Header=BB55_17 Depth=1
	s_or_b64 exec, exec, s[4:5]
	v_add_u32_e32 v2, 16, v2
	v_cmp_le_i32_e32 vcc, s6, v2
	s_or_b64 s[2:3], vcc, s[2:3]
	s_andn2_b64 exec, exec, s[2:3]
	s_cbranch_execz .LBB55_30
.LBB55_17:                              ; =>This Loop Header: Depth=1
                                        ;     Child Loop BB55_21 Depth 2
                                        ;       Child Loop BB55_24 Depth 3
	v_ashrrev_i32_e32 v3, 31, v2
	v_lshl_add_u64 v[4:5], v[2:3], 2, s[18:19]
	global_load_dword v4, v[4:5], off
	s_waitcnt vmcnt(0)
	v_subrev_u32_e32 v4, s36, v4
	v_ashrrev_i32_e32 v5, 31, v4
	v_lshl_add_u64 v[4:5], v[4:5], 2, s[22:23]
	global_load_dwordx2 v[4:5], v[4:5], off
	s_waitcnt vmcnt(0)
	v_subrev_u32_e32 v12, s37, v5
	v_add_u32_e32 v4, v4, v11
	v_cmp_lt_i32_e32 vcc, v4, v12
	s_and_saveexec_b64 s[4:5], vcc
	s_cbranch_execz .LBB55_16
; %bb.18:                               ;   in Loop: Header=BB55_17 Depth=1
	v_lshl_add_u64 v[6:7], v[2:3], 3, s[20:21]
	global_load_dwordx2 v[6:7], v[6:7], off
	s_mov_b64 s[12:13], 0
	s_waitcnt vmcnt(0)
	v_mul_f32_e64 v3, v7, -s7
	v_mul_f32_e32 v13, s52, v7
	v_fmac_f32_e32 v3, s52, v6
	v_fmac_f32_e32 v13, s7, v6
	s_branch .LBB55_21
.LBB55_19:                              ;   in Loop: Header=BB55_21 Depth=2
	s_or_b64 exec, exec, s[28:29]
.LBB55_20:                              ;   in Loop: Header=BB55_21 Depth=2
	s_or_b64 exec, exec, s[16:17]
	s_waitcnt vmcnt(0)
	v_mul_f32_e64 v14, v7, -v13
	v_lshl_add_u32 v5, v5, 3, 0
	v_fmac_f32_e32 v14, v3, v6
	v_mul_f32_e32 v7, v3, v7
	v_add_u32_e32 v5, 0x10000, v5
	v_fmac_f32_e32 v7, v13, v6
	ds_add_f32 v5, v14
	ds_add_f32 v5, v7 offset:4
	v_add_u32_e32 v4, 64, v4
	v_cmp_ge_i32_e32 vcc, v4, v12
	s_or_b64 s[12:13], vcc, s[12:13]
	s_andn2_b64 exec, exec, s[12:13]
	s_cbranch_execz .LBB55_16
.LBB55_21:                              ;   Parent Loop BB55_17 Depth=1
                                        ; =>  This Loop Header: Depth=2
                                        ;       Child Loop BB55_24 Depth 3
	v_ashrrev_i32_e32 v5, 31, v4
	v_lshl_add_u64 v[6:7], v[4:5], 2, s[8:9]
	global_load_dword v14, v[6:7], off
	v_lshl_add_u64 v[6:7], v[4:5], 3, s[10:11]
	global_load_dwordx2 v[6:7], v[6:7], off
	s_waitcnt vmcnt(1)
	v_subrev_u32_e32 v14, s37, v14
	v_mul_lo_u32 v5, v14, s43
	v_and_b32_e32 v5, 0x3fff, v5
	v_lshl_add_u32 v15, v5, 2, 0
	ds_read_b32 v16, v15
	s_waitcnt lgkmcnt(0)
	v_cmp_ne_u32_e32 vcc, v16, v14
	s_and_saveexec_b64 s[16:17], vcc
	s_cbranch_execz .LBB55_20
; %bb.22:                               ;   in Loop: Header=BB55_21 Depth=2
	s_mov_b64 s[28:29], 0
	s_branch .LBB55_24
.LBB55_23:                              ;   in Loop: Header=BB55_24 Depth=3
	s_or_b64 exec, exec, s[48:49]
	s_and_b64 s[30:31], exec, s[46:47]
	s_or_b64 s[28:29], s[30:31], s[28:29]
	s_andn2_b64 exec, exec, s[28:29]
	s_cbranch_execz .LBB55_19
.LBB55_24:                              ;   Parent Loop BB55_17 Depth=1
                                        ;     Parent Loop BB55_21 Depth=2
                                        ; =>    This Inner Loop Header: Depth=3
	v_cmp_ne_u32_e32 vcc, s33, v16
	s_mov_b64 s[30:31], 0
	s_and_saveexec_b64 s[46:47], vcc
	s_xor_b64 s[46:47], exec, s[46:47]
	s_cbranch_execz .LBB55_26
; %bb.25:                               ;   in Loop: Header=BB55_24 Depth=3
	v_add_u32_e32 v5, 1, v5
	s_mov_b64 s[30:31], exec
	v_and_b32_e32 v5, 0x3fff, v5
                                        ; implicit-def: $vgpr15
	s_andn2_saveexec_b64 s[46:47], s[46:47]
	s_cbranch_execz .LBB55_28
	s_branch .LBB55_27
.LBB55_26:                              ;   in Loop: Header=BB55_24 Depth=3
	s_andn2_saveexec_b64 s[46:47], s[46:47]
	s_cbranch_execz .LBB55_28
.LBB55_27:                              ;   in Loop: Header=BB55_24 Depth=3
	v_mov_b32_e32 v16, s33
	ds_cmpst_rtn_b32 v15, v15, v16, v14
	s_andn2_b64 s[30:31], s[30:31], exec
	s_waitcnt lgkmcnt(0)
	v_cmp_ne_u32_e32 vcc, s33, v15
	s_and_b64 s[48:49], vcc, exec
	s_or_b64 s[30:31], s[30:31], s[48:49]
.LBB55_28:                              ;   in Loop: Header=BB55_24 Depth=3
	s_or_b64 exec, exec, s[46:47]
	s_mov_b64 s[46:47], -1
                                        ; implicit-def: $vgpr15
                                        ; implicit-def: $vgpr16
	s_and_saveexec_b64 s[48:49], s[30:31]
	s_cbranch_execz .LBB55_23
; %bb.29:                               ;   in Loop: Header=BB55_24 Depth=3
	v_lshl_add_u32 v15, v5, 2, 0
	ds_read_b32 v16, v15
	s_waitcnt lgkmcnt(0)
	v_cmp_eq_u32_e32 vcc, v16, v14
	s_orn2_b64 s[46:47], vcc, exec
	s_branch .LBB55_23
.LBB55_30:
	s_or_b64 exec, exec, s[0:1]
.LBB55_31:
	s_andn2_b64 vcc, exec, s[44:45]
	s_cbranch_vccnz .LBB55_46
; %bb.32:
	s_waitcnt lgkmcnt(0)
	s_ashr_i32 s43, s42, 31
	s_lshl_b64 s[0:1], s[42:43], 2
	s_add_u32 s0, s14, s0
	s_addc_u32 s1, s15, s1
	s_load_dwordx2 s[2:3], s[0:1], 0x0
	v_subrev_u32_e32 v2, s39, v0
	s_waitcnt lgkmcnt(0)
	s_sub_i32 s14, s3, s39
	v_add_u32_e32 v2, s2, v2
	v_cmp_gt_i32_e32 vcc, s14, v2
	s_and_saveexec_b64 s[0:1], vcc
	s_cbranch_execz .LBB55_45
; %bb.33:
	s_mov_b64 s[2:3], 0
	s_movk_i32 s15, 0x89
	s_branch .LBB55_36
.LBB55_34:                              ;   in Loop: Header=BB55_36 Depth=1
	s_or_b64 exec, exec, s[6:7]
.LBB55_35:                              ;   in Loop: Header=BB55_36 Depth=1
	s_or_b64 exec, exec, s[4:5]
	s_waitcnt vmcnt(0)
	v_mul_f32_e64 v6, v5, -s51
	v_lshl_add_u32 v3, v3, 3, 0
	v_fmac_f32_e32 v6, s50, v4
	v_mul_f32_e32 v5, s50, v5
	v_add_u32_e32 v3, 0x10000, v3
	v_fmac_f32_e32 v5, s51, v4
	ds_add_f32 v3, v6
	ds_add_f32 v3, v5 offset:4
	v_add_u32_e32 v2, 0x400, v2
	v_cmp_le_i32_e32 vcc, s14, v2
	s_or_b64 s[2:3], vcc, s[2:3]
	s_andn2_b64 exec, exec, s[2:3]
	s_cbranch_execz .LBB55_45
.LBB55_36:                              ; =>This Loop Header: Depth=1
                                        ;     Child Loop BB55_39 Depth 2
	v_ashrrev_i32_e32 v3, 31, v2
	v_lshl_add_u64 v[4:5], v[2:3], 2, s[24:25]
	global_load_dword v6, v[4:5], off
	v_lshl_add_u64 v[4:5], v[2:3], 3, s[26:27]
	global_load_dwordx2 v[4:5], v[4:5], off
	s_waitcnt vmcnt(1)
	v_subrev_u32_e32 v6, s39, v6
	v_mul_lo_u32 v3, v6, s15
	v_and_b32_e32 v3, 0x3fff, v3
	v_lshl_add_u32 v7, v3, 2, 0
	ds_read_b32 v11, v7
	s_waitcnt lgkmcnt(0)
	v_cmp_ne_u32_e32 vcc, v11, v6
	s_and_saveexec_b64 s[4:5], vcc
	s_cbranch_execz .LBB55_35
; %bb.37:                               ;   in Loop: Header=BB55_36 Depth=1
	s_mov_b64 s[6:7], 0
	s_branch .LBB55_39
.LBB55_38:                              ;   in Loop: Header=BB55_39 Depth=2
	s_or_b64 exec, exec, s[12:13]
	s_and_b64 s[8:9], exec, s[10:11]
	s_or_b64 s[6:7], s[8:9], s[6:7]
	s_andn2_b64 exec, exec, s[6:7]
	s_cbranch_execz .LBB55_34
.LBB55_39:                              ;   Parent Loop BB55_36 Depth=1
                                        ; =>  This Inner Loop Header: Depth=2
	v_cmp_ne_u32_e32 vcc, s33, v11
	s_mov_b64 s[8:9], 0
	s_and_saveexec_b64 s[10:11], vcc
	s_xor_b64 s[10:11], exec, s[10:11]
	s_cbranch_execz .LBB55_41
; %bb.40:                               ;   in Loop: Header=BB55_39 Depth=2
	v_add_u32_e32 v3, 1, v3
	s_mov_b64 s[8:9], exec
	v_and_b32_e32 v3, 0x3fff, v3
                                        ; implicit-def: $vgpr7
	s_andn2_saveexec_b64 s[10:11], s[10:11]
	s_cbranch_execz .LBB55_43
	s_branch .LBB55_42
.LBB55_41:                              ;   in Loop: Header=BB55_39 Depth=2
	s_andn2_saveexec_b64 s[10:11], s[10:11]
	s_cbranch_execz .LBB55_43
.LBB55_42:                              ;   in Loop: Header=BB55_39 Depth=2
	v_mov_b32_e32 v11, s33
	ds_cmpst_rtn_b32 v7, v7, v11, v6
	s_andn2_b64 s[8:9], s[8:9], exec
	s_waitcnt lgkmcnt(0)
	v_cmp_ne_u32_e32 vcc, s33, v7
	s_and_b64 s[12:13], vcc, exec
	s_or_b64 s[8:9], s[8:9], s[12:13]
.LBB55_43:                              ;   in Loop: Header=BB55_39 Depth=2
	s_or_b64 exec, exec, s[10:11]
	s_mov_b64 s[10:11], -1
                                        ; implicit-def: $vgpr7
                                        ; implicit-def: $vgpr11
	s_and_saveexec_b64 s[12:13], s[8:9]
	s_cbranch_execz .LBB55_38
; %bb.44:                               ;   in Loop: Header=BB55_39 Depth=2
	v_lshl_add_u32 v7, v3, 2, 0
	ds_read_b32 v11, v7
	s_waitcnt lgkmcnt(0)
	v_cmp_eq_u32_e32 vcc, v11, v6
	s_orn2_b64 s[10:11], vcc, exec
	s_branch .LBB55_38
.LBB55_45:
	s_or_b64 exec, exec, s[0:1]
.LBB55_46:
	v_mbcnt_lo_u32_b32 v2, -1, 0
	v_mbcnt_hi_u32_b32 v2, -1, v2
	v_sub_u32_e32 v2, 63, v2
	s_add_i32 s39, 0, 0x30000
	s_movk_i32 s0, 0x3ff
	s_movk_i32 s2, 0x7f
	;; [unrolled: 1-line block ×15, first 2 shown]
	s_add_i32 s59, 0, 0x3003c
	v_lshrrev_b64 v[2:3], v2, -1
	v_lshl_add_u32 v6, v10, 2, s39
	v_cmp_eq_u32_e32 vcc, s0, v0
	v_cmp_lt_u32_e64 s[0:1], 63, v0
	v_cmp_lt_u32_e64 s[2:3], s2, v0
	;; [unrolled: 1-line block ×15, first 2 shown]
	s_mov_b64 s[36:37], 0
	v_mov_b32_e32 v7, 0
	s_add_i32 s43, 0, 0x30004
	s_add_i32 s46, 0, 0x30008
	;; [unrolled: 1-line block ×14, first 2 shown]
	v_mov_b32_e32 v10, s59
	s_movk_i32 s60, 0x3bff
	s_waitcnt lgkmcnt(0)
	s_barrier
	s_branch .LBB55_48
.LBB55_47:                              ;   in Loop: Header=BB55_48 Depth=1
	s_or_b64 exec, exec, s[30:31]
	s_waitcnt lgkmcnt(0)
	s_barrier
	ds_read_b32 v4, v10
	v_add_u32_e32 v1, 0x400, v1
	v_cmp_lt_u32_e64 s[30:31], s60, v1
	v_add_u32_e32 v8, 0x2000, v8
	s_or_b64 s[36:37], s[30:31], s[36:37]
	s_waitcnt lgkmcnt(0)
	v_add_u32_e32 v7, v4, v7
	v_add_u32_e32 v9, 0x1000, v9
	s_andn2_b64 exec, exec, s[36:37]
	s_cbranch_execz .LBB55_82
.LBB55_48:                              ; =>This Inner Loop Header: Depth=1
	ds_read_b32 v11, v9
	ds_read2_b32 v[4:5], v8 offset1:1
	s_waitcnt lgkmcnt(0)
	s_barrier
	v_cmp_gt_i32_e64 s[30:31], s33, v11
	s_bcnt1_i32_b64 s44, s[30:31]
	s_nop 0
	v_and_b32_e32 v13, s30, v2
	v_and_b32_e32 v12, s31, v3
	v_bcnt_u32_b32 v13, v13, 0
	v_bcnt_u32_b32 v12, v12, v13
	v_mov_b32_e32 v13, s44
	ds_write_b32 v6, v13
	s_waitcnt lgkmcnt(0)
	s_barrier
	s_and_saveexec_b64 s[44:45], s[0:1]
	s_cbranch_execz .LBB55_65
; %bb.49:                               ;   in Loop: Header=BB55_48 Depth=1
	v_mov_b32_e32 v13, s39
	ds_read_b32 v13, v13
	s_waitcnt lgkmcnt(0)
	v_add_u32_e32 v12, v13, v12
	s_or_b64 exec, exec, s[44:45]
	s_and_saveexec_b64 s[44:45], s[2:3]
	s_cbranch_execnz .LBB55_66
.LBB55_50:                              ;   in Loop: Header=BB55_48 Depth=1
	s_or_b64 exec, exec, s[44:45]
	s_and_saveexec_b64 s[44:45], s[4:5]
	s_cbranch_execz .LBB55_67
.LBB55_51:                              ;   in Loop: Header=BB55_48 Depth=1
	v_mov_b32_e32 v13, s46
	ds_read_b32 v13, v13
	s_waitcnt lgkmcnt(0)
	v_add_u32_e32 v12, v13, v12
	s_or_b64 exec, exec, s[44:45]
	s_and_saveexec_b64 s[44:45], s[6:7]
	s_cbranch_execnz .LBB55_68
.LBB55_52:                              ;   in Loop: Header=BB55_48 Depth=1
	s_or_b64 exec, exec, s[44:45]
	s_and_saveexec_b64 s[44:45], s[8:9]
	s_cbranch_execz .LBB55_69
.LBB55_53:                              ;   in Loop: Header=BB55_48 Depth=1
	v_mov_b32_e32 v13, s48
	ds_read_b32 v13, v13
	s_waitcnt lgkmcnt(0)
	v_add_u32_e32 v12, v13, v12
	s_or_b64 exec, exec, s[44:45]
	s_and_saveexec_b64 s[44:45], s[10:11]
	s_cbranch_execnz .LBB55_70
.LBB55_54:                              ;   in Loop: Header=BB55_48 Depth=1
	s_or_b64 exec, exec, s[44:45]
	s_and_saveexec_b64 s[44:45], s[12:13]
	s_cbranch_execz .LBB55_71
.LBB55_55:                              ;   in Loop: Header=BB55_48 Depth=1
	v_mov_b32_e32 v13, s50
	ds_read_b32 v13, v13
	s_waitcnt lgkmcnt(0)
	v_add_u32_e32 v12, v13, v12
	s_or_b64 exec, exec, s[44:45]
	s_and_saveexec_b64 s[44:45], s[14:15]
	s_cbranch_execnz .LBB55_72
.LBB55_56:                              ;   in Loop: Header=BB55_48 Depth=1
	s_or_b64 exec, exec, s[44:45]
	s_and_saveexec_b64 s[44:45], s[16:17]
	s_cbranch_execz .LBB55_73
.LBB55_57:                              ;   in Loop: Header=BB55_48 Depth=1
	v_mov_b32_e32 v13, s52
	ds_read_b32 v13, v13
	s_waitcnt lgkmcnt(0)
	v_add_u32_e32 v12, v13, v12
	s_or_b64 exec, exec, s[44:45]
	s_and_saveexec_b64 s[44:45], s[18:19]
	s_cbranch_execnz .LBB55_74
.LBB55_58:                              ;   in Loop: Header=BB55_48 Depth=1
	s_or_b64 exec, exec, s[44:45]
	s_and_saveexec_b64 s[44:45], s[20:21]
	s_cbranch_execz .LBB55_75
.LBB55_59:                              ;   in Loop: Header=BB55_48 Depth=1
	v_mov_b32_e32 v13, s54
	ds_read_b32 v13, v13
	s_waitcnt lgkmcnt(0)
	v_add_u32_e32 v12, v13, v12
	s_or_b64 exec, exec, s[44:45]
	s_and_saveexec_b64 s[44:45], s[22:23]
	s_cbranch_execnz .LBB55_76
.LBB55_60:                              ;   in Loop: Header=BB55_48 Depth=1
	s_or_b64 exec, exec, s[44:45]
	s_and_saveexec_b64 s[44:45], s[24:25]
	s_cbranch_execz .LBB55_77
.LBB55_61:                              ;   in Loop: Header=BB55_48 Depth=1
	v_mov_b32_e32 v13, s56
	ds_read_b32 v13, v13
	s_waitcnt lgkmcnt(0)
	v_add_u32_e32 v12, v13, v12
	s_or_b64 exec, exec, s[44:45]
	s_and_saveexec_b64 s[44:45], s[26:27]
	s_cbranch_execnz .LBB55_78
.LBB55_62:                              ;   in Loop: Header=BB55_48 Depth=1
	s_or_b64 exec, exec, s[44:45]
	s_and_saveexec_b64 s[44:45], s[28:29]
	s_cbranch_execz .LBB55_79
.LBB55_63:                              ;   in Loop: Header=BB55_48 Depth=1
	v_mov_b32_e32 v13, s58
	ds_read_b32 v13, v13
	s_waitcnt lgkmcnt(0)
	v_add_u32_e32 v12, v13, v12
	s_or_b64 exec, exec, s[44:45]
	s_and_saveexec_b64 s[44:45], s[30:31]
	s_cbranch_execnz .LBB55_80
.LBB55_64:                              ;   in Loop: Header=BB55_48 Depth=1
	s_or_b64 exec, exec, s[44:45]
	s_and_saveexec_b64 s[30:31], vcc
	s_cbranch_execz .LBB55_47
	s_branch .LBB55_81
.LBB55_65:                              ;   in Loop: Header=BB55_48 Depth=1
	s_or_b64 exec, exec, s[44:45]
	s_and_saveexec_b64 s[44:45], s[2:3]
	s_cbranch_execz .LBB55_50
.LBB55_66:                              ;   in Loop: Header=BB55_48 Depth=1
	v_mov_b32_e32 v13, s43
	ds_read_b32 v13, v13
	s_waitcnt lgkmcnt(0)
	v_add_u32_e32 v12, v13, v12
	s_or_b64 exec, exec, s[44:45]
	s_and_saveexec_b64 s[44:45], s[4:5]
	s_cbranch_execnz .LBB55_51
.LBB55_67:                              ;   in Loop: Header=BB55_48 Depth=1
	s_or_b64 exec, exec, s[44:45]
	s_and_saveexec_b64 s[44:45], s[6:7]
	s_cbranch_execz .LBB55_52
.LBB55_68:                              ;   in Loop: Header=BB55_48 Depth=1
	v_mov_b32_e32 v13, s47
	ds_read_b32 v13, v13
	s_waitcnt lgkmcnt(0)
	v_add_u32_e32 v12, v13, v12
	s_or_b64 exec, exec, s[44:45]
	s_and_saveexec_b64 s[44:45], s[8:9]
	s_cbranch_execnz .LBB55_53
.LBB55_69:                              ;   in Loop: Header=BB55_48 Depth=1
	s_or_b64 exec, exec, s[44:45]
	s_and_saveexec_b64 s[44:45], s[10:11]
	s_cbranch_execz .LBB55_54
.LBB55_70:                              ;   in Loop: Header=BB55_48 Depth=1
	v_mov_b32_e32 v13, s49
	ds_read_b32 v13, v13
	s_waitcnt lgkmcnt(0)
	v_add_u32_e32 v12, v13, v12
	s_or_b64 exec, exec, s[44:45]
	s_and_saveexec_b64 s[44:45], s[12:13]
	s_cbranch_execnz .LBB55_55
.LBB55_71:                              ;   in Loop: Header=BB55_48 Depth=1
	s_or_b64 exec, exec, s[44:45]
	s_and_saveexec_b64 s[44:45], s[14:15]
	s_cbranch_execz .LBB55_56
.LBB55_72:                              ;   in Loop: Header=BB55_48 Depth=1
	v_mov_b32_e32 v13, s51
	ds_read_b32 v13, v13
	s_waitcnt lgkmcnt(0)
	v_add_u32_e32 v12, v13, v12
	s_or_b64 exec, exec, s[44:45]
	s_and_saveexec_b64 s[44:45], s[16:17]
	s_cbranch_execnz .LBB55_57
.LBB55_73:                              ;   in Loop: Header=BB55_48 Depth=1
	s_or_b64 exec, exec, s[44:45]
	s_and_saveexec_b64 s[44:45], s[18:19]
	s_cbranch_execz .LBB55_58
.LBB55_74:                              ;   in Loop: Header=BB55_48 Depth=1
	v_mov_b32_e32 v13, s53
	ds_read_b32 v13, v13
	s_waitcnt lgkmcnt(0)
	v_add_u32_e32 v12, v13, v12
	s_or_b64 exec, exec, s[44:45]
	s_and_saveexec_b64 s[44:45], s[20:21]
	s_cbranch_execnz .LBB55_59
.LBB55_75:                              ;   in Loop: Header=BB55_48 Depth=1
	s_or_b64 exec, exec, s[44:45]
	s_and_saveexec_b64 s[44:45], s[22:23]
	s_cbranch_execz .LBB55_60
.LBB55_76:                              ;   in Loop: Header=BB55_48 Depth=1
	v_mov_b32_e32 v13, s55
	ds_read_b32 v13, v13
	s_waitcnt lgkmcnt(0)
	v_add_u32_e32 v12, v13, v12
	s_or_b64 exec, exec, s[44:45]
	s_and_saveexec_b64 s[44:45], s[24:25]
	s_cbranch_execnz .LBB55_61
.LBB55_77:                              ;   in Loop: Header=BB55_48 Depth=1
	s_or_b64 exec, exec, s[44:45]
	s_and_saveexec_b64 s[44:45], s[26:27]
	s_cbranch_execz .LBB55_62
.LBB55_78:                              ;   in Loop: Header=BB55_48 Depth=1
	v_mov_b32_e32 v13, s57
	ds_read_b32 v13, v13
	s_waitcnt lgkmcnt(0)
	v_add_u32_e32 v12, v13, v12
	s_or_b64 exec, exec, s[44:45]
	s_and_saveexec_b64 s[44:45], s[28:29]
	s_cbranch_execnz .LBB55_63
.LBB55_79:                              ;   in Loop: Header=BB55_48 Depth=1
	s_or_b64 exec, exec, s[44:45]
	s_and_saveexec_b64 s[44:45], s[30:31]
	s_cbranch_execz .LBB55_64
.LBB55_80:                              ;   in Loop: Header=BB55_48 Depth=1
	v_add3_u32 v13, v7, -1, v12
	v_add_u32_e32 v14, v7, v12
	v_lshl_add_u32 v13, v13, 2, 0
	v_lshl_add_u32 v14, v14, 3, 0
	v_add_u32_e32 v14, 0xfff8, v14
	ds_write_b32 v13, v11
	ds_write2_b32 v14, v4, v5 offset1:1
	s_or_b64 exec, exec, s[44:45]
	s_and_saveexec_b64 s[30:31], vcc
	s_cbranch_execz .LBB55_47
.LBB55_81:                              ;   in Loop: Header=BB55_48 Depth=1
	v_mov_b32_e32 v4, s59
	ds_write_b32 v4, v12
	s_branch .LBB55_47
.LBB55_82:
	s_or_b64 exec, exec, s[36:37]
	s_ashr_i32 s43, s42, 31
	s_lshl_b64 s[0:1], s[42:43], 2
	s_add_u32 s2, s40, s0
	s_addc_u32 s3, s41, s1
	s_load_dwordx2 s[0:1], s[2:3], 0x0
	s_waitcnt lgkmcnt(0)
	s_sub_i32 s14, s1, s0
	v_cmp_gt_i32_e32 vcc, s14, v0
	s_and_saveexec_b64 s[2:3], vcc
	s_cbranch_execz .LBB55_96
; %bb.83:
	s_sub_i32 s8, s0, s38
	v_sub_co_u32_e64 v1, s[0:1], s14, 2
	s_nop 0
	v_readfirstlane_b32 s2, v1
	s_lshr_b32 s2, s2, 1
	s_add_i32 s2, s2, 1
	s_xor_b64 s[0:1], s[0:1], -1
	s_and_b32 s15, s14, -2
	s_and_b32 s3, s2, 7
	s_and_b32 s16, s2, -8
	s_cmp_lg_u32 s3, 0
	v_cmp_lt_u32_e32 vcc, 13, v1
	s_cselect_b64 s[4:5], -1, 0
	s_cmp_lg_u32 s14, s15
	v_cndmask_b32_e64 v1, 0, 1, vcc
	s_cselect_b64 s[10:11], -1, 0
	s_lshl_b32 s17, s3, 3
	v_cndmask_b32_e64 v2, 0, 1, s[0:1]
	v_cmp_ne_u32_e64 s[2:3], 1, v1
	v_cndmask_b32_e64 v1, 0, 1, s[4:5]
	s_mov_b32 s9, 0
	s_mov_b64 s[12:13], 0
	v_cmp_ne_u32_e64 s[0:1], 1, v2
	v_cmp_ne_u32_e64 s[4:5], 1, v1
	s_branch .LBB55_85
.LBB55_84:                              ;   in Loop: Header=BB55_85 Depth=1
	v_add_u32_e32 v0, 0x400, v0
	v_ashrrev_i32_e32 v5, 31, v4
	v_cmp_le_i32_e32 vcc, s14, v0
	v_lshl_add_u64 v[4:5], v[4:5], 3, s[34:35]
	s_or_b64 s[12:13], vcc, s[12:13]
	s_waitcnt lgkmcnt(0)
	global_store_dwordx2 v[4:5], v[2:3], off
	s_andn2_b64 exec, exec, s[12:13]
	s_cbranch_execz .LBB55_96
.LBB55_85:                              ; =>This Loop Header: Depth=1
                                        ;     Child Loop BB55_88 Depth 2
                                        ;     Child Loop BB55_91 Depth 2
	;; [unrolled: 1-line block ×3, first 2 shown]
	v_lshl_add_u32 v2, v0, 3, 0
	v_lshl_add_u32 v1, v0, 2, 0
	v_add_u32_e32 v2, 0x10000, v2
	ds_read_b32 v1, v1
	ds_read2_b32 v[2:3], v2 offset1:1
	s_and_b64 vcc, exec, s[0:1]
	v_mov_b32_e32 v4, s8
	s_mov_b32 s18, 0
	s_mov_b64 s[6:7], -1
	s_cbranch_vccnz .LBB55_93
; %bb.86:                               ;   in Loop: Header=BB55_85 Depth=1
	s_and_b64 vcc, exec, s[2:3]
	v_mov_b64_e32 v[4:5], s[8:9]
	s_cbranch_vccnz .LBB55_89
; %bb.87:                               ;   in Loop: Header=BB55_85 Depth=1
	s_mov_b32 s19, 0
	v_mov_b32_e32 v4, s8
	v_mov_b32_e32 v5, 0
	s_mov_b32 s20, s16
.LBB55_88:                              ;   Parent Loop BB55_85 Depth=1
                                        ; =>  This Inner Loop Header: Depth=2
	v_mov_b32_e32 v20, s19
	ds_read2_b32 v[6:7], v20 offset1:1
	ds_read2_b32 v[8:9], v20 offset0:2 offset1:3
	ds_read2_b32 v[10:11], v20 offset0:4 offset1:5
	;; [unrolled: 1-line block ×7, first 2 shown]
	s_waitcnt lgkmcnt(7)
	v_cmp_gt_i32_e32 vcc, v1, v7
	s_waitcnt lgkmcnt(5)
	v_cmp_gt_i32_e64 s[6:7], v1, v10
	s_add_i32 s18, s18, 16
	v_cndmask_b32_e64 v7, 0, 1, vcc
	v_cmp_gt_i32_e32 vcc, v1, v6
	s_add_i32 s19, s19, 64
	s_add_i32 s20, s20, -8
	v_cndmask_b32_e64 v6, 0, 1, vcc
	v_cmp_gt_i32_e32 vcc, v1, v9
	v_cndmask_b32_e64 v9, 0, 1, s[6:7]
	v_cmp_gt_i32_e64 s[6:7], v1, v11
	v_addc_co_u32_e32 v5, vcc, v5, v7, vcc
	s_nop 0
	v_cndmask_b32_e64 v10, 0, 1, s[6:7]
	s_waitcnt lgkmcnt(3)
	v_cmp_gt_i32_e64 s[6:7], v1, v15
	v_cmp_gt_i32_e32 vcc, v1, v12
	s_cmp_lg_u32 s20, 0
	v_cndmask_b32_e64 v11, 0, 1, s[6:7]
	v_cmp_gt_i32_e64 s[6:7], v1, v14
	s_nop 1
	v_cndmask_b32_e64 v14, 0, 1, s[6:7]
	s_waitcnt lgkmcnt(1)
	v_cmp_gt_i32_e64 s[6:7], v1, v18
	s_nop 1
	v_cndmask_b32_e64 v15, 0, 1, s[6:7]
	v_cmp_gt_i32_e64 s[6:7], v1, v19
	s_nop 1
	v_cndmask_b32_e64 v18, 0, 1, s[6:7]
	v_cmp_gt_i32_e64 s[6:7], v1, v8
	s_nop 1
	v_addc_co_u32_e64 v4, s[6:7], v4, v6, s[6:7]
	v_cmp_gt_i32_e64 s[6:7], v1, v13
	v_addc_co_u32_e32 v4, vcc, v4, v9, vcc
	s_nop 0
	v_addc_co_u32_e64 v5, s[6:7], v5, v10, s[6:7]
	v_cmp_gt_i32_e32 vcc, v1, v17
	v_cmp_gt_i32_e64 s[6:7], v1, v16
	s_nop 0
	v_addc_co_u32_e32 v5, vcc, v5, v11, vcc
	v_addc_co_u32_e64 v4, s[6:7], v4, v14, s[6:7]
	s_waitcnt lgkmcnt(0)
	v_cmp_gt_i32_e32 vcc, v1, v20
	v_cmp_gt_i32_e64 s[6:7], v1, v21
	s_nop 0
	v_addc_co_u32_e32 v4, vcc, v4, v15, vcc
	v_addc_co_u32_e64 v5, s[6:7], v5, v18, s[6:7]
	s_cbranch_scc1 .LBB55_88
.LBB55_89:                              ;   in Loop: Header=BB55_85 Depth=1
	s_and_b64 vcc, exec, s[4:5]
	s_cbranch_vccnz .LBB55_92
; %bb.90:                               ;   in Loop: Header=BB55_85 Depth=1
	s_lshl_b32 s6, s18, 2
	s_add_i32 s6, s6, 0
	s_mov_b32 s7, s17
.LBB55_91:                              ;   Parent Loop BB55_85 Depth=1
                                        ; =>  This Inner Loop Header: Depth=2
	v_mov_b32_e32 v6, s6
	ds_read2_b32 v[6:7], v6 offset1:1
	s_add_i32 s6, s6, 8
	s_add_i32 s7, s7, -8
	s_cmp_lg_u32 s7, 0
	s_waitcnt lgkmcnt(0)
	v_cmp_gt_i32_e32 vcc, v1, v7
	s_nop 1
	v_addc_co_u32_e32 v5, vcc, 0, v5, vcc
	v_cmp_gt_i32_e32 vcc, v1, v6
	s_nop 1
	v_addc_co_u32_e32 v4, vcc, 0, v4, vcc
	s_cbranch_scc1 .LBB55_91
.LBB55_92:                              ;   in Loop: Header=BB55_85 Depth=1
	v_add_u32_e32 v4, v4, v5
	s_mov_b32 s18, s15
	s_mov_b64 s[6:7], s[10:11]
.LBB55_93:                              ;   in Loop: Header=BB55_85 Depth=1
	s_and_b64 vcc, exec, s[6:7]
	s_cbranch_vccz .LBB55_84
; %bb.94:                               ;   in Loop: Header=BB55_85 Depth=1
	s_lshl_b32 s6, s18, 2
	s_add_i32 s6, s6, 0
.LBB55_95:                              ;   Parent Loop BB55_85 Depth=1
                                        ; =>  This Inner Loop Header: Depth=2
	v_mov_b32_e32 v5, s6
	ds_read_b32 v5, v5
	s_add_i32 s18, s18, 1
	s_add_i32 s6, s6, 4
	s_cmp_ge_i32 s18, s14
	s_waitcnt lgkmcnt(0)
	v_cmp_gt_i32_e32 vcc, v1, v5
	s_nop 1
	v_addc_co_u32_e32 v4, vcc, 0, v4, vcc
	s_cbranch_scc0 .LBB55_95
	s_branch .LBB55_84
.LBB55_96:
	s_endpgm
	.section	.rodata,"a",@progbits
	.p2align	6, 0x0
	.amdhsa_kernel _ZN9rocsparseL41csrgemm_numeric_fill_block_per_row_kernelILj1024ELj64ELj16384ELj137ELj64Eii21rocsparse_complex_numIfEEEvT5_PKS3_S5_NS_24const_host_device_scalarIT6_EEPKT4_S5_PKS7_SB_S5_SD_S8_SB_S5_SD_SB_S5_PS7_21rocsparse_index_base_SF_SF_SF_bbb
		.amdhsa_group_segment_fixed_size 0
		.amdhsa_private_segment_fixed_size 0
		.amdhsa_kernarg_size 156
		.amdhsa_user_sgpr_count 2
		.amdhsa_user_sgpr_dispatch_ptr 0
		.amdhsa_user_sgpr_queue_ptr 0
		.amdhsa_user_sgpr_kernarg_segment_ptr 1
		.amdhsa_user_sgpr_dispatch_id 0
		.amdhsa_user_sgpr_kernarg_preload_length 0
		.amdhsa_user_sgpr_kernarg_preload_offset 0
		.amdhsa_user_sgpr_private_segment_size 0
		.amdhsa_uses_dynamic_stack 0
		.amdhsa_enable_private_segment 0
		.amdhsa_system_sgpr_workgroup_id_x 1
		.amdhsa_system_sgpr_workgroup_id_y 0
		.amdhsa_system_sgpr_workgroup_id_z 0
		.amdhsa_system_sgpr_workgroup_info 0
		.amdhsa_system_vgpr_workitem_id 0
		.amdhsa_next_free_vgpr 22
		.amdhsa_next_free_sgpr 61
		.amdhsa_accum_offset 24
		.amdhsa_reserve_vcc 1
		.amdhsa_float_round_mode_32 0
		.amdhsa_float_round_mode_16_64 0
		.amdhsa_float_denorm_mode_32 3
		.amdhsa_float_denorm_mode_16_64 3
		.amdhsa_dx10_clamp 1
		.amdhsa_ieee_mode 1
		.amdhsa_fp16_overflow 0
		.amdhsa_tg_split 0
		.amdhsa_exception_fp_ieee_invalid_op 0
		.amdhsa_exception_fp_denorm_src 0
		.amdhsa_exception_fp_ieee_div_zero 0
		.amdhsa_exception_fp_ieee_overflow 0
		.amdhsa_exception_fp_ieee_underflow 0
		.amdhsa_exception_fp_ieee_inexact 0
		.amdhsa_exception_int_div_zero 0
	.end_amdhsa_kernel
	.section	.text._ZN9rocsparseL41csrgemm_numeric_fill_block_per_row_kernelILj1024ELj64ELj16384ELj137ELj64Eii21rocsparse_complex_numIfEEEvT5_PKS3_S5_NS_24const_host_device_scalarIT6_EEPKT4_S5_PKS7_SB_S5_SD_S8_SB_S5_SD_SB_S5_PS7_21rocsparse_index_base_SF_SF_SF_bbb,"axG",@progbits,_ZN9rocsparseL41csrgemm_numeric_fill_block_per_row_kernelILj1024ELj64ELj16384ELj137ELj64Eii21rocsparse_complex_numIfEEEvT5_PKS3_S5_NS_24const_host_device_scalarIT6_EEPKT4_S5_PKS7_SB_S5_SD_S8_SB_S5_SD_SB_S5_PS7_21rocsparse_index_base_SF_SF_SF_bbb,comdat
.Lfunc_end55:
	.size	_ZN9rocsparseL41csrgemm_numeric_fill_block_per_row_kernelILj1024ELj64ELj16384ELj137ELj64Eii21rocsparse_complex_numIfEEEvT5_PKS3_S5_NS_24const_host_device_scalarIT6_EEPKT4_S5_PKS7_SB_S5_SD_S8_SB_S5_SD_SB_S5_PS7_21rocsparse_index_base_SF_SF_SF_bbb, .Lfunc_end55-_ZN9rocsparseL41csrgemm_numeric_fill_block_per_row_kernelILj1024ELj64ELj16384ELj137ELj64Eii21rocsparse_complex_numIfEEEvT5_PKS3_S5_NS_24const_host_device_scalarIT6_EEPKT4_S5_PKS7_SB_S5_SD_S8_SB_S5_SD_SB_S5_PS7_21rocsparse_index_base_SF_SF_SF_bbb
                                        ; -- End function
	.set _ZN9rocsparseL41csrgemm_numeric_fill_block_per_row_kernelILj1024ELj64ELj16384ELj137ELj64Eii21rocsparse_complex_numIfEEEvT5_PKS3_S5_NS_24const_host_device_scalarIT6_EEPKT4_S5_PKS7_SB_S5_SD_S8_SB_S5_SD_SB_S5_PS7_21rocsparse_index_base_SF_SF_SF_bbb.num_vgpr, 22
	.set _ZN9rocsparseL41csrgemm_numeric_fill_block_per_row_kernelILj1024ELj64ELj16384ELj137ELj64Eii21rocsparse_complex_numIfEEEvT5_PKS3_S5_NS_24const_host_device_scalarIT6_EEPKT4_S5_PKS7_SB_S5_SD_S8_SB_S5_SD_SB_S5_PS7_21rocsparse_index_base_SF_SF_SF_bbb.num_agpr, 0
	.set _ZN9rocsparseL41csrgemm_numeric_fill_block_per_row_kernelILj1024ELj64ELj16384ELj137ELj64Eii21rocsparse_complex_numIfEEEvT5_PKS3_S5_NS_24const_host_device_scalarIT6_EEPKT4_S5_PKS7_SB_S5_SD_S8_SB_S5_SD_SB_S5_PS7_21rocsparse_index_base_SF_SF_SF_bbb.numbered_sgpr, 61
	.set _ZN9rocsparseL41csrgemm_numeric_fill_block_per_row_kernelILj1024ELj64ELj16384ELj137ELj64Eii21rocsparse_complex_numIfEEEvT5_PKS3_S5_NS_24const_host_device_scalarIT6_EEPKT4_S5_PKS7_SB_S5_SD_S8_SB_S5_SD_SB_S5_PS7_21rocsparse_index_base_SF_SF_SF_bbb.num_named_barrier, 0
	.set _ZN9rocsparseL41csrgemm_numeric_fill_block_per_row_kernelILj1024ELj64ELj16384ELj137ELj64Eii21rocsparse_complex_numIfEEEvT5_PKS3_S5_NS_24const_host_device_scalarIT6_EEPKT4_S5_PKS7_SB_S5_SD_S8_SB_S5_SD_SB_S5_PS7_21rocsparse_index_base_SF_SF_SF_bbb.private_seg_size, 0
	.set _ZN9rocsparseL41csrgemm_numeric_fill_block_per_row_kernelILj1024ELj64ELj16384ELj137ELj64Eii21rocsparse_complex_numIfEEEvT5_PKS3_S5_NS_24const_host_device_scalarIT6_EEPKT4_S5_PKS7_SB_S5_SD_S8_SB_S5_SD_SB_S5_PS7_21rocsparse_index_base_SF_SF_SF_bbb.uses_vcc, 1
	.set _ZN9rocsparseL41csrgemm_numeric_fill_block_per_row_kernelILj1024ELj64ELj16384ELj137ELj64Eii21rocsparse_complex_numIfEEEvT5_PKS3_S5_NS_24const_host_device_scalarIT6_EEPKT4_S5_PKS7_SB_S5_SD_S8_SB_S5_SD_SB_S5_PS7_21rocsparse_index_base_SF_SF_SF_bbb.uses_flat_scratch, 0
	.set _ZN9rocsparseL41csrgemm_numeric_fill_block_per_row_kernelILj1024ELj64ELj16384ELj137ELj64Eii21rocsparse_complex_numIfEEEvT5_PKS3_S5_NS_24const_host_device_scalarIT6_EEPKT4_S5_PKS7_SB_S5_SD_S8_SB_S5_SD_SB_S5_PS7_21rocsparse_index_base_SF_SF_SF_bbb.has_dyn_sized_stack, 0
	.set _ZN9rocsparseL41csrgemm_numeric_fill_block_per_row_kernelILj1024ELj64ELj16384ELj137ELj64Eii21rocsparse_complex_numIfEEEvT5_PKS3_S5_NS_24const_host_device_scalarIT6_EEPKT4_S5_PKS7_SB_S5_SD_S8_SB_S5_SD_SB_S5_PS7_21rocsparse_index_base_SF_SF_SF_bbb.has_recursion, 0
	.set _ZN9rocsparseL41csrgemm_numeric_fill_block_per_row_kernelILj1024ELj64ELj16384ELj137ELj64Eii21rocsparse_complex_numIfEEEvT5_PKS3_S5_NS_24const_host_device_scalarIT6_EEPKT4_S5_PKS7_SB_S5_SD_S8_SB_S5_SD_SB_S5_PS7_21rocsparse_index_base_SF_SF_SF_bbb.has_indirect_call, 0
	.section	.AMDGPU.csdata,"",@progbits
; Kernel info:
; codeLenInByte = 3544
; TotalNumSgprs: 67
; NumVgprs: 22
; NumAgprs: 0
; TotalNumVgprs: 22
; ScratchSize: 0
; MemoryBound: 0
; FloatMode: 240
; IeeeMode: 1
; LDSByteSize: 0 bytes/workgroup (compile time only)
; SGPRBlocks: 8
; VGPRBlocks: 2
; NumSGPRsForWavesPerEU: 67
; NumVGPRsForWavesPerEU: 22
; AccumOffset: 24
; Occupancy: 8
; WaveLimiterHint : 1
; COMPUTE_PGM_RSRC2:SCRATCH_EN: 0
; COMPUTE_PGM_RSRC2:USER_SGPR: 2
; COMPUTE_PGM_RSRC2:TRAP_HANDLER: 0
; COMPUTE_PGM_RSRC2:TGID_X_EN: 1
; COMPUTE_PGM_RSRC2:TGID_Y_EN: 0
; COMPUTE_PGM_RSRC2:TGID_Z_EN: 0
; COMPUTE_PGM_RSRC2:TIDIG_COMP_CNT: 0
; COMPUTE_PGM_RSRC3_GFX90A:ACCUM_OFFSET: 5
; COMPUTE_PGM_RSRC3_GFX90A:TG_SPLIT: 0
	.section	.text._ZN9rocsparseL41csrgemm_numeric_fill_block_per_row_kernelILj1024ELj64ELj32768ELj137ELj32Eii21rocsparse_complex_numIfEEEvT5_PKS3_S5_NS_24const_host_device_scalarIT6_EEPKT4_S5_PKS7_SB_S5_SD_S8_SB_S5_SD_SB_S5_PS7_21rocsparse_index_base_SF_SF_SF_bbb,"axG",@progbits,_ZN9rocsparseL41csrgemm_numeric_fill_block_per_row_kernelILj1024ELj64ELj32768ELj137ELj32Eii21rocsparse_complex_numIfEEEvT5_PKS3_S5_NS_24const_host_device_scalarIT6_EEPKT4_S5_PKS7_SB_S5_SD_S8_SB_S5_SD_SB_S5_PS7_21rocsparse_index_base_SF_SF_SF_bbb,comdat
	.globl	_ZN9rocsparseL41csrgemm_numeric_fill_block_per_row_kernelILj1024ELj64ELj32768ELj137ELj32Eii21rocsparse_complex_numIfEEEvT5_PKS3_S5_NS_24const_host_device_scalarIT6_EEPKT4_S5_PKS7_SB_S5_SD_S8_SB_S5_SD_SB_S5_PS7_21rocsparse_index_base_SF_SF_SF_bbb ; -- Begin function _ZN9rocsparseL41csrgemm_numeric_fill_block_per_row_kernelILj1024ELj64ELj32768ELj137ELj32Eii21rocsparse_complex_numIfEEEvT5_PKS3_S5_NS_24const_host_device_scalarIT6_EEPKT4_S5_PKS7_SB_S5_SD_S8_SB_S5_SD_SB_S5_PS7_21rocsparse_index_base_SF_SF_SF_bbb
	.p2align	8
	.type	_ZN9rocsparseL41csrgemm_numeric_fill_block_per_row_kernelILj1024ELj64ELj32768ELj137ELj32Eii21rocsparse_complex_numIfEEEvT5_PKS3_S5_NS_24const_host_device_scalarIT6_EEPKT4_S5_PKS7_SB_S5_SD_S8_SB_S5_SD_SB_S5_PS7_21rocsparse_index_base_SF_SF_SF_bbb,@function
_ZN9rocsparseL41csrgemm_numeric_fill_block_per_row_kernelILj1024ELj64ELj32768ELj137ELj32Eii21rocsparse_complex_numIfEEEvT5_PKS3_S5_NS_24const_host_device_scalarIT6_EEPKT4_S5_PKS7_SB_S5_SD_S8_SB_S5_SD_SB_S5_PS7_21rocsparse_index_base_SF_SF_SF_bbb: ; @_ZN9rocsparseL41csrgemm_numeric_fill_block_per_row_kernelILj1024ELj64ELj32768ELj137ELj32Eii21rocsparse_complex_numIfEEEvT5_PKS3_S5_NS_24const_host_device_scalarIT6_EEPKT4_S5_PKS7_SB_S5_SD_S8_SB_S5_SD_SB_S5_PS7_21rocsparse_index_base_SF_SF_SF_bbb
; %bb.0:
	s_load_dwordx2 s[4:5], s[0:1], 0x70
	s_load_dwordx4 s[64:67], s[0:1], 0x88
                                        ; implicit-def: $vgpr22 : SGPR spill to VGPR lane
	s_mov_b32 s7, 0
	s_mov_b32 s42, 0
	s_waitcnt lgkmcnt(0)
	v_writelane_b32 v22, s4, 0
	s_nop 1
	v_writelane_b32 v22, s5, 1
	s_load_dwordx4 s[24:27], s[0:1], 0x60
	s_load_dwordx8 s[8:15], s[0:1], 0x40
	s_load_dword s3, s[0:1], 0x98
	s_load_dwordx4 s[28:31], s[0:1], 0x8
	s_load_dwordx8 s[16:23], s[0:1], 0x20
	s_load_dwordx2 s[4:5], s[0:1], 0x80
	s_waitcnt lgkmcnt(0)
	s_bitcmp1_b32 s3, 0
	s_cselect_b64 s[36:37], -1, 0
	s_bitcmp1_b32 s3, 16
	v_writelane_b32 v22, s4, 2
	s_nop 1
	v_writelane_b32 v22, s5, 3
	s_cselect_b64 s[4:5], -1, 0
	s_xor_b64 s[4:5], s[4:5], -1
	v_cndmask_b32_e64 v1, 0, 1, s[4:5]
	s_bitcmp0_b32 s3, 0
	v_cmp_ne_u32_e64 s[4:5], 1, v1
	s_cbranch_scc1 .LBB56_5
; %bb.1:
	s_load_dwordx2 s[6:7], s[0:1], 0x18
	s_and_b64 vcc, exec, s[4:5]
	s_waitcnt lgkmcnt(0)
	s_mov_b32 s42, s6
	s_cbranch_vccnz .LBB56_3
; %bb.2:
	s_load_dword s42, s[6:7], 0x0
.LBB56_3:
	s_and_b64 vcc, exec, s[4:5]
	s_cbranch_vccnz .LBB56_5
; %bb.4:
	s_load_dword s7, s[6:7], 0x4
.LBB56_5:
	s_bitcmp1_b32 s3, 8
	s_cselect_b64 s[34:35], -1, 0
	s_bfe_u32 s3, s3, 0x10008
	s_mov_b32 s40, 0
	s_cmp_eq_u32 s3, 0
	s_mov_b32 s41, 0
	s_cbranch_scc1 .LBB56_11
; %bb.6:
	s_and_b64 vcc, exec, s[4:5]
	s_mov_b32 s40, s12
	s_cbranch_vccnz .LBB56_8
; %bb.7:
	s_load_dword s40, s[12:13], 0x0
.LBB56_8:
	s_and_b64 vcc, exec, s[4:5]
	s_cbranch_vccnz .LBB56_10
; %bb.9:
	s_load_dword s13, s[12:13], 0x4
.LBB56_10:
	s_waitcnt lgkmcnt(0)
	s_mov_b32 s41, s13
.LBB56_11:
	s_load_dword s33, s[0:1], 0x0
	v_lshl_add_u32 v2, v0, 3, 0
	v_or_b32_e32 v1, 0xfffffc00, v0
	v_add_u32_e32 v8, 0x20000, v2
	v_lshl_add_u32 v9, v0, 2, 0
	s_mov_b64 s[0:1], 0
	s_waitcnt lgkmcnt(0)
	v_mov_b32_e32 v6, s33
	v_mov_b32_e32 v2, 0
	s_movk_i32 s3, 0x7bff
	v_mov_b32_e32 v3, v9
	v_mov_b32_e32 v4, v8
	;; [unrolled: 1-line block ×3, first 2 shown]
.LBB56_12:                              ; =>This Inner Loop Header: Depth=1
	v_add_u32_e32 v5, 0x400, v5
	v_cmp_lt_u32_e32 vcc, s3, v5
	ds_write_b32 v3, v6
	ds_write2_b32 v4, v2, v2 offset1:1
	v_add_u32_e32 v4, 0x2000, v4
	s_or_b64 s[0:1], vcc, s[0:1]
	v_add_u32_e32 v3, 0x1000, v3
	s_andn2_b64 exec, exec, s[0:1]
	s_cbranch_execnz .LBB56_12
; %bb.13:
	s_or_b64 exec, exec, s[0:1]
	s_waitcnt lgkmcnt(0)
	s_barrier
	s_load_dword s0, s[28:29], 0x0
	s_mov_b32 s1, 0
	s_waitcnt lgkmcnt(0)
	s_add_i32 s0, s0, s2
	s_lshl_b64 s[0:1], s[0:1], 2
	s_add_u32 s0, s30, s0
	s_addc_u32 s1, s31, s1
	s_load_dword s44, s[0:1], 0x0
	s_and_b64 vcc, exec, s[36:37]
	s_cbranch_vccz .LBB56_31
; %bb.14:
	s_waitcnt lgkmcnt(0)
	s_ashr_i32 s45, s44, 31
	s_lshl_b64 s[0:1], s[44:45], 2
	s_add_u32 s0, s16, s0
	s_addc_u32 s1, s17, s1
	s_load_dwordx2 s[2:3], s[0:1], 0x0
	v_lshrrev_b32_e32 v2, 6, v0
	v_subrev_u32_e32 v2, s64, v2
	s_waitcnt lgkmcnt(0)
	s_sub_i32 s6, s3, s64
	v_add_u32_e32 v2, s2, v2
	v_cmp_gt_i32_e32 vcc, s6, v2
	s_and_saveexec_b64 s[0:1], vcc
	s_cbranch_execz .LBB56_30
; %bb.15:
	v_and_b32_e32 v3, 63, v0
	v_subrev_u32_e32 v10, s65, v3
	s_mov_b64 s[2:3], 0
	s_movk_i32 s43, 0x89
	s_branch .LBB56_17
.LBB56_16:                              ;   in Loop: Header=BB56_17 Depth=1
	s_or_b64 exec, exec, s[4:5]
	v_add_u32_e32 v2, 16, v2
	v_cmp_le_i32_e32 vcc, s6, v2
	s_or_b64 s[2:3], vcc, s[2:3]
	s_andn2_b64 exec, exec, s[2:3]
	s_cbranch_execz .LBB56_30
.LBB56_17:                              ; =>This Loop Header: Depth=1
                                        ;     Child Loop BB56_21 Depth 2
                                        ;       Child Loop BB56_24 Depth 3
	v_ashrrev_i32_e32 v3, 31, v2
	v_lshl_add_u64 v[4:5], v[2:3], 2, s[18:19]
	global_load_dword v4, v[4:5], off
	s_waitcnt vmcnt(0)
	v_subrev_u32_e32 v4, s64, v4
	v_ashrrev_i32_e32 v5, 31, v4
	v_lshl_add_u64 v[4:5], v[4:5], 2, s[22:23]
	global_load_dwordx2 v[4:5], v[4:5], off
	s_waitcnt vmcnt(0)
	v_subrev_u32_e32 v11, s65, v5
	v_add_u32_e32 v4, v4, v10
	v_cmp_lt_i32_e32 vcc, v4, v11
	s_and_saveexec_b64 s[4:5], vcc
	s_cbranch_execz .LBB56_16
; %bb.18:                               ;   in Loop: Header=BB56_17 Depth=1
	v_lshl_add_u64 v[6:7], v[2:3], 3, s[20:21]
	global_load_dwordx2 v[6:7], v[6:7], off
	s_mov_b64 s[12:13], 0
	s_waitcnt vmcnt(0)
	v_mul_f32_e64 v3, v7, -s7
	v_mul_f32_e32 v12, s42, v7
	v_fmac_f32_e32 v3, s42, v6
	v_fmac_f32_e32 v12, s7, v6
	s_branch .LBB56_21
.LBB56_19:                              ;   in Loop: Header=BB56_21 Depth=2
	s_or_b64 exec, exec, s[28:29]
.LBB56_20:                              ;   in Loop: Header=BB56_21 Depth=2
	s_or_b64 exec, exec, s[16:17]
	s_waitcnt vmcnt(0)
	v_mul_f32_e64 v13, v7, -v12
	v_lshl_add_u32 v5, v5, 3, 0
	v_fmac_f32_e32 v13, v3, v6
	v_mul_f32_e32 v7, v3, v7
	v_add_u32_e32 v5, 0x20000, v5
	v_fmac_f32_e32 v7, v12, v6
	ds_add_f32 v5, v13
	ds_add_f32 v5, v7 offset:4
	v_add_u32_e32 v4, 64, v4
	v_cmp_ge_i32_e32 vcc, v4, v11
	s_or_b64 s[12:13], vcc, s[12:13]
	s_andn2_b64 exec, exec, s[12:13]
	s_cbranch_execz .LBB56_16
.LBB56_21:                              ;   Parent Loop BB56_17 Depth=1
                                        ; =>  This Loop Header: Depth=2
                                        ;       Child Loop BB56_24 Depth 3
	v_ashrrev_i32_e32 v5, 31, v4
	v_lshl_add_u64 v[6:7], v[4:5], 2, s[8:9]
	global_load_dword v13, v[6:7], off
	v_lshl_add_u64 v[6:7], v[4:5], 3, s[10:11]
	global_load_dwordx2 v[6:7], v[6:7], off
	s_waitcnt vmcnt(1)
	v_subrev_u32_e32 v13, s65, v13
	v_mul_lo_u32 v5, v13, s43
	v_and_b32_e32 v5, 0x7fff, v5
	v_lshl_add_u32 v14, v5, 2, 0
	ds_read_b32 v15, v14
	s_waitcnt lgkmcnt(0)
	v_cmp_ne_u32_e32 vcc, v15, v13
	s_and_saveexec_b64 s[16:17], vcc
	s_cbranch_execz .LBB56_20
; %bb.22:                               ;   in Loop: Header=BB56_21 Depth=2
	s_mov_b64 s[28:29], 0
	s_branch .LBB56_24
.LBB56_23:                              ;   in Loop: Header=BB56_24 Depth=3
	s_or_b64 exec, exec, s[38:39]
	s_and_b64 s[30:31], exec, s[36:37]
	s_or_b64 s[28:29], s[30:31], s[28:29]
	s_andn2_b64 exec, exec, s[28:29]
	s_cbranch_execz .LBB56_19
.LBB56_24:                              ;   Parent Loop BB56_17 Depth=1
                                        ;     Parent Loop BB56_21 Depth=2
                                        ; =>    This Inner Loop Header: Depth=3
	v_cmp_ne_u32_e32 vcc, s33, v15
	s_mov_b64 s[30:31], 0
	s_and_saveexec_b64 s[36:37], vcc
	s_xor_b64 s[36:37], exec, s[36:37]
	s_cbranch_execz .LBB56_26
; %bb.25:                               ;   in Loop: Header=BB56_24 Depth=3
	v_add_u32_e32 v5, 1, v5
	s_mov_b64 s[30:31], exec
	v_and_b32_e32 v5, 0x7fff, v5
                                        ; implicit-def: $vgpr14
	s_andn2_saveexec_b64 s[36:37], s[36:37]
	s_cbranch_execz .LBB56_28
	s_branch .LBB56_27
.LBB56_26:                              ;   in Loop: Header=BB56_24 Depth=3
	s_andn2_saveexec_b64 s[36:37], s[36:37]
	s_cbranch_execz .LBB56_28
.LBB56_27:                              ;   in Loop: Header=BB56_24 Depth=3
	v_mov_b32_e32 v15, s33
	ds_cmpst_rtn_b32 v14, v14, v15, v13
	s_andn2_b64 s[30:31], s[30:31], exec
	s_waitcnt lgkmcnt(0)
	v_cmp_ne_u32_e32 vcc, s33, v14
	s_and_b64 s[38:39], vcc, exec
	s_or_b64 s[30:31], s[30:31], s[38:39]
.LBB56_28:                              ;   in Loop: Header=BB56_24 Depth=3
	s_or_b64 exec, exec, s[36:37]
	s_mov_b64 s[36:37], -1
                                        ; implicit-def: $vgpr14
                                        ; implicit-def: $vgpr15
	s_and_saveexec_b64 s[38:39], s[30:31]
	s_cbranch_execz .LBB56_23
; %bb.29:                               ;   in Loop: Header=BB56_24 Depth=3
	v_lshl_add_u32 v14, v5, 2, 0
	ds_read_b32 v15, v14
	s_waitcnt lgkmcnt(0)
	v_cmp_eq_u32_e32 vcc, v15, v13
	s_orn2_b64 s[36:37], vcc, exec
	s_branch .LBB56_23
.LBB56_30:
	s_or_b64 exec, exec, s[0:1]
.LBB56_31:
	s_andn2_b64 vcc, exec, s[34:35]
	s_cbranch_vccnz .LBB56_46
; %bb.32:
	s_waitcnt lgkmcnt(0)
	s_ashr_i32 s45, s44, 31
	s_lshl_b64 s[0:1], s[44:45], 2
	s_add_u32 s0, s14, s0
	s_addc_u32 s1, s15, s1
	s_load_dwordx2 s[2:3], s[0:1], 0x0
	v_subrev_u32_e32 v2, s67, v0
	s_waitcnt lgkmcnt(0)
	s_sub_i32 s14, s3, s67
	v_add_u32_e32 v2, s2, v2
	v_cmp_gt_i32_e32 vcc, s14, v2
	s_and_saveexec_b64 s[0:1], vcc
	s_cbranch_execz .LBB56_45
; %bb.33:
	s_mov_b64 s[2:3], 0
	s_movk_i32 s15, 0x89
	s_branch .LBB56_36
.LBB56_34:                              ;   in Loop: Header=BB56_36 Depth=1
	s_or_b64 exec, exec, s[6:7]
.LBB56_35:                              ;   in Loop: Header=BB56_36 Depth=1
	s_or_b64 exec, exec, s[4:5]
	s_waitcnt vmcnt(0)
	v_mul_f32_e64 v6, v5, -s41
	v_lshl_add_u32 v3, v3, 3, 0
	v_fmac_f32_e32 v6, s40, v4
	v_mul_f32_e32 v5, s40, v5
	v_add_u32_e32 v3, 0x20000, v3
	v_fmac_f32_e32 v5, s41, v4
	ds_add_f32 v3, v6
	ds_add_f32 v3, v5 offset:4
	v_add_u32_e32 v2, 0x400, v2
	v_cmp_le_i32_e32 vcc, s14, v2
	s_or_b64 s[2:3], vcc, s[2:3]
	s_andn2_b64 exec, exec, s[2:3]
	s_cbranch_execz .LBB56_45
.LBB56_36:                              ; =>This Loop Header: Depth=1
                                        ;     Child Loop BB56_39 Depth 2
	v_ashrrev_i32_e32 v3, 31, v2
	v_lshl_add_u64 v[4:5], v[2:3], 2, s[24:25]
	global_load_dword v6, v[4:5], off
	v_lshl_add_u64 v[4:5], v[2:3], 3, s[26:27]
	global_load_dwordx2 v[4:5], v[4:5], off
	s_waitcnt vmcnt(1)
	v_subrev_u32_e32 v6, s67, v6
	v_mul_lo_u32 v3, v6, s15
	v_and_b32_e32 v3, 0x7fff, v3
	v_lshl_add_u32 v7, v3, 2, 0
	ds_read_b32 v10, v7
	s_waitcnt lgkmcnt(0)
	v_cmp_ne_u32_e32 vcc, v10, v6
	s_and_saveexec_b64 s[4:5], vcc
	s_cbranch_execz .LBB56_35
; %bb.37:                               ;   in Loop: Header=BB56_36 Depth=1
	s_mov_b64 s[6:7], 0
	s_branch .LBB56_39
.LBB56_38:                              ;   in Loop: Header=BB56_39 Depth=2
	s_or_b64 exec, exec, s[12:13]
	s_and_b64 s[8:9], exec, s[10:11]
	s_or_b64 s[6:7], s[8:9], s[6:7]
	s_andn2_b64 exec, exec, s[6:7]
	s_cbranch_execz .LBB56_34
.LBB56_39:                              ;   Parent Loop BB56_36 Depth=1
                                        ; =>  This Inner Loop Header: Depth=2
	v_cmp_ne_u32_e32 vcc, s33, v10
	s_mov_b64 s[8:9], 0
	s_and_saveexec_b64 s[10:11], vcc
	s_xor_b64 s[10:11], exec, s[10:11]
	s_cbranch_execz .LBB56_41
; %bb.40:                               ;   in Loop: Header=BB56_39 Depth=2
	v_add_u32_e32 v3, 1, v3
	s_mov_b64 s[8:9], exec
	v_and_b32_e32 v3, 0x7fff, v3
                                        ; implicit-def: $vgpr7
	s_andn2_saveexec_b64 s[10:11], s[10:11]
	s_cbranch_execz .LBB56_43
	s_branch .LBB56_42
.LBB56_41:                              ;   in Loop: Header=BB56_39 Depth=2
	s_andn2_saveexec_b64 s[10:11], s[10:11]
	s_cbranch_execz .LBB56_43
.LBB56_42:                              ;   in Loop: Header=BB56_39 Depth=2
	v_mov_b32_e32 v10, s33
	ds_cmpst_rtn_b32 v7, v7, v10, v6
	s_andn2_b64 s[8:9], s[8:9], exec
	s_waitcnt lgkmcnt(0)
	v_cmp_ne_u32_e32 vcc, s33, v7
	s_and_b64 s[12:13], vcc, exec
	s_or_b64 s[8:9], s[8:9], s[12:13]
.LBB56_43:                              ;   in Loop: Header=BB56_39 Depth=2
	s_or_b64 exec, exec, s[10:11]
	s_mov_b64 s[10:11], -1
                                        ; implicit-def: $vgpr7
                                        ; implicit-def: $vgpr10
	s_and_saveexec_b64 s[12:13], s[8:9]
	s_cbranch_execz .LBB56_38
; %bb.44:                               ;   in Loop: Header=BB56_39 Depth=2
	v_lshl_add_u32 v7, v3, 2, 0
	ds_read_b32 v10, v7
	s_waitcnt lgkmcnt(0)
	v_cmp_eq_u32_e32 vcc, v10, v6
	s_orn2_b64 s[10:11], vcc, exec
	s_branch .LBB56_38
.LBB56_45:
	s_or_b64 exec, exec, s[0:1]
.LBB56_46:
	s_waitcnt lgkmcnt(0)
	v_writelane_b32 v22, s44, 4
	s_add_i32 s0, 0, 0x60000
	v_lshrrev_b32_e32 v4, 3, v0
	v_writelane_b32 v22, s45, 5
	v_writelane_b32 v22, s0, 6
	s_add_i32 s60, 0, 0x60004
	v_mbcnt_lo_u32_b32 v2, -1, 0
	v_and_b32_e32 v4, 0x7c, v4
	v_writelane_b32 v22, s60, 7
	s_add_i32 s60, 0, 0x60008
	v_mbcnt_hi_u32_b32 v2, -1, v2
	v_add_u32_e32 v6, s0, v4
	s_movk_i32 s0, 0x3ff
	v_writelane_b32 v22, s60, 8
	s_add_i32 s60, 0, 0x6000c
	v_sub_u32_e32 v2, 63, v2
	v_cmp_eq_u32_e32 vcc, s0, v0
	s_movk_i32 s0, 0x5f
	s_movk_i32 s2, 0x7f
	;; [unrolled: 1-line block ×29, first 2 shown]
	v_writelane_b32 v22, s60, 9
	s_add_i32 s60, 0, 0x60014
	v_lshrrev_b64 v[2:3], v2, -1
	v_cmp_lt_u32_e64 s[0:1], s0, v0
	v_cmp_lt_u32_e64 s[2:3], s2, v0
	;; [unrolled: 1-line block ×29, first 2 shown]
	v_mov_b32_e32 v7, 0
	s_add_i32 s79, 0, 0x60010
	v_writelane_b32 v22, s60, 10
	s_add_i32 s82, 0, 0x60018
	s_add_i32 s83, 0, 0x6001c
	;; [unrolled: 1-line block ×26, first 2 shown]
	v_cmp_lt_u32_e64 s[60:61], 31, v0
	v_cmp_lt_u32_e64 s[62:63], 63, v0
	s_mov_b64 s[74:75], 0
	s_barrier
	s_branch .LBB56_48
.LBB56_47:                              ;   in Loop: Header=BB56_48 Depth=1
	s_or_b64 exec, exec, s[64:65]
	v_mov_b32_e32 v4, s78
	s_waitcnt lgkmcnt(0)
	s_barrier
	ds_read_b32 v4, v4
	v_add_u32_e32 v1, 0x400, v1
	s_movk_i32 s64, 0x7bff
	v_cmp_lt_u32_e64 s[64:65], s64, v1
	v_add_u32_e32 v8, 0x2000, v8
	s_waitcnt lgkmcnt(0)
	v_add_u32_e32 v7, v4, v7
	s_or_b64 s[74:75], s[64:65], s[74:75]
	v_add_u32_e32 v9, 0x1000, v9
	s_andn2_b64 exec, exec, s[74:75]
	s_cbranch_execz .LBB56_114
.LBB56_48:                              ; =>This Inner Loop Header: Depth=1
	ds_read_b32 v10, v9
	ds_read2_b32 v[4:5], v8 offset1:1
	s_waitcnt lgkmcnt(0)
	s_barrier
	v_cmp_gt_i32_e64 s[64:65], s33, v10
	s_bcnt1_i32_b64 s76, s[64:65]
	s_nop 0
	v_and_b32_e32 v12, s64, v2
	v_and_b32_e32 v11, s65, v3
	v_bcnt_u32_b32 v12, v12, 0
	v_bcnt_u32_b32 v11, v11, v12
	v_mov_b32_e32 v12, s76
	ds_write_b32 v6, v12
	s_waitcnt lgkmcnt(0)
	s_barrier
	s_and_saveexec_b64 s[76:77], s[60:61]
	s_cbranch_execz .LBB56_81
; %bb.49:                               ;   in Loop: Header=BB56_48 Depth=1
	v_readlane_b32 s80, v22, 6
	s_nop 1
	v_mov_b32_e32 v12, s80
	ds_read_b32 v12, v12
	s_waitcnt lgkmcnt(0)
	v_add_u32_e32 v11, v12, v11
	s_or_b64 exec, exec, s[76:77]
	s_and_saveexec_b64 s[76:77], s[62:63]
	s_cbranch_execnz .LBB56_82
.LBB56_50:                              ;   in Loop: Header=BB56_48 Depth=1
	s_or_b64 exec, exec, s[76:77]
	s_and_saveexec_b64 s[76:77], s[0:1]
	s_cbranch_execz .LBB56_83
.LBB56_51:                              ;   in Loop: Header=BB56_48 Depth=1
	v_readlane_b32 s80, v22, 8
	s_nop 1
	v_mov_b32_e32 v12, s80
	ds_read_b32 v12, v12
	s_waitcnt lgkmcnt(0)
	v_add_u32_e32 v11, v12, v11
	s_or_b64 exec, exec, s[76:77]
	s_and_saveexec_b64 s[76:77], s[2:3]
	s_cbranch_execnz .LBB56_84
.LBB56_52:                              ;   in Loop: Header=BB56_48 Depth=1
	s_or_b64 exec, exec, s[76:77]
	s_and_saveexec_b64 s[76:77], s[4:5]
	s_cbranch_execz .LBB56_85
.LBB56_53:                              ;   in Loop: Header=BB56_48 Depth=1
	v_mov_b32_e32 v12, s79
	ds_read_b32 v12, v12
	s_waitcnt lgkmcnt(0)
	v_add_u32_e32 v11, v12, v11
	s_or_b64 exec, exec, s[76:77]
	s_and_saveexec_b64 s[76:77], s[6:7]
	s_cbranch_execnz .LBB56_86
.LBB56_54:                              ;   in Loop: Header=BB56_48 Depth=1
	s_or_b64 exec, exec, s[76:77]
	s_and_saveexec_b64 s[76:77], s[8:9]
	s_cbranch_execz .LBB56_87
.LBB56_55:                              ;   in Loop: Header=BB56_48 Depth=1
	v_mov_b32_e32 v12, s82
	ds_read_b32 v12, v12
	s_waitcnt lgkmcnt(0)
	v_add_u32_e32 v11, v12, v11
	s_or_b64 exec, exec, s[76:77]
	s_and_saveexec_b64 s[76:77], s[10:11]
	s_cbranch_execnz .LBB56_88
.LBB56_56:                              ;   in Loop: Header=BB56_48 Depth=1
	s_or_b64 exec, exec, s[76:77]
	s_and_saveexec_b64 s[76:77], s[12:13]
	s_cbranch_execz .LBB56_89
.LBB56_57:                              ;   in Loop: Header=BB56_48 Depth=1
	v_mov_b32_e32 v12, s84
	ds_read_b32 v12, v12
	s_waitcnt lgkmcnt(0)
	v_add_u32_e32 v11, v12, v11
	s_or_b64 exec, exec, s[76:77]
	s_and_saveexec_b64 s[76:77], s[14:15]
	s_cbranch_execnz .LBB56_90
.LBB56_58:                              ;   in Loop: Header=BB56_48 Depth=1
	s_or_b64 exec, exec, s[76:77]
	s_and_saveexec_b64 s[76:77], s[16:17]
	s_cbranch_execz .LBB56_91
.LBB56_59:                              ;   in Loop: Header=BB56_48 Depth=1
	v_mov_b32_e32 v12, s86
	ds_read_b32 v12, v12
	s_waitcnt lgkmcnt(0)
	v_add_u32_e32 v11, v12, v11
	s_or_b64 exec, exec, s[76:77]
	s_and_saveexec_b64 s[76:77], s[18:19]
	s_cbranch_execnz .LBB56_92
.LBB56_60:                              ;   in Loop: Header=BB56_48 Depth=1
	s_or_b64 exec, exec, s[76:77]
	s_and_saveexec_b64 s[76:77], s[20:21]
	s_cbranch_execz .LBB56_93
.LBB56_61:                              ;   in Loop: Header=BB56_48 Depth=1
	v_mov_b32_e32 v12, s88
	ds_read_b32 v12, v12
	s_waitcnt lgkmcnt(0)
	v_add_u32_e32 v11, v12, v11
	s_or_b64 exec, exec, s[76:77]
	s_and_saveexec_b64 s[76:77], s[22:23]
	s_cbranch_execnz .LBB56_94
.LBB56_62:                              ;   in Loop: Header=BB56_48 Depth=1
	s_or_b64 exec, exec, s[76:77]
	s_and_saveexec_b64 s[76:77], s[24:25]
	s_cbranch_execz .LBB56_95
.LBB56_63:                              ;   in Loop: Header=BB56_48 Depth=1
	v_mov_b32_e32 v12, s90
	ds_read_b32 v12, v12
	s_waitcnt lgkmcnt(0)
	v_add_u32_e32 v11, v12, v11
	s_or_b64 exec, exec, s[76:77]
	s_and_saveexec_b64 s[76:77], s[26:27]
	s_cbranch_execnz .LBB56_96
.LBB56_64:                              ;   in Loop: Header=BB56_48 Depth=1
	s_or_b64 exec, exec, s[76:77]
	s_and_saveexec_b64 s[76:77], s[28:29]
	s_cbranch_execz .LBB56_97
.LBB56_65:                              ;   in Loop: Header=BB56_48 Depth=1
	v_mov_b32_e32 v12, s92
	ds_read_b32 v12, v12
	s_waitcnt lgkmcnt(0)
	v_add_u32_e32 v11, v12, v11
	s_or_b64 exec, exec, s[76:77]
	s_and_saveexec_b64 s[76:77], s[30:31]
	s_cbranch_execnz .LBB56_98
.LBB56_66:                              ;   in Loop: Header=BB56_48 Depth=1
	s_or_b64 exec, exec, s[76:77]
	s_and_saveexec_b64 s[76:77], s[34:35]
	s_cbranch_execz .LBB56_99
.LBB56_67:                              ;   in Loop: Header=BB56_48 Depth=1
	v_mov_b32_e32 v12, s94
	ds_read_b32 v12, v12
	s_waitcnt lgkmcnt(0)
	v_add_u32_e32 v11, v12, v11
	s_or_b64 exec, exec, s[76:77]
	s_and_saveexec_b64 s[76:77], s[36:37]
	s_cbranch_execnz .LBB56_100
.LBB56_68:                              ;   in Loop: Header=BB56_48 Depth=1
	s_or_b64 exec, exec, s[76:77]
	s_and_saveexec_b64 s[76:77], s[38:39]
	s_cbranch_execz .LBB56_101
.LBB56_69:                              ;   in Loop: Header=BB56_48 Depth=1
	v_mov_b32_e32 v12, s96
	ds_read_b32 v12, v12
	s_waitcnt lgkmcnt(0)
	v_add_u32_e32 v11, v12, v11
	s_or_b64 exec, exec, s[76:77]
	s_and_saveexec_b64 s[76:77], s[40:41]
	s_cbranch_execnz .LBB56_102
.LBB56_70:                              ;   in Loop: Header=BB56_48 Depth=1
	s_or_b64 exec, exec, s[76:77]
	s_and_saveexec_b64 s[76:77], s[42:43]
	s_cbranch_execz .LBB56_103
.LBB56_71:                              ;   in Loop: Header=BB56_48 Depth=1
	v_mov_b32_e32 v12, s98
	ds_read_b32 v12, v12
	s_waitcnt lgkmcnt(0)
	v_add_u32_e32 v11, v12, v11
	s_or_b64 exec, exec, s[76:77]
	s_and_saveexec_b64 s[76:77], s[44:45]
	s_cbranch_execnz .LBB56_104
.LBB56_72:                              ;   in Loop: Header=BB56_48 Depth=1
	s_or_b64 exec, exec, s[76:77]
	s_and_saveexec_b64 s[76:77], s[46:47]
	s_cbranch_execz .LBB56_105
.LBB56_73:                              ;   in Loop: Header=BB56_48 Depth=1
	v_mov_b32_e32 v12, s70
	ds_read_b32 v12, v12
	s_waitcnt lgkmcnt(0)
	v_add_u32_e32 v11, v12, v11
	s_or_b64 exec, exec, s[76:77]
	s_and_saveexec_b64 s[76:77], s[48:49]
	s_cbranch_execnz .LBB56_106
.LBB56_74:                              ;   in Loop: Header=BB56_48 Depth=1
	s_or_b64 exec, exec, s[76:77]
	s_and_saveexec_b64 s[76:77], s[50:51]
	s_cbranch_execz .LBB56_107
.LBB56_75:                              ;   in Loop: Header=BB56_48 Depth=1
	v_mov_b32_e32 v12, s72
	ds_read_b32 v12, v12
	s_waitcnt lgkmcnt(0)
	v_add_u32_e32 v11, v12, v11
	s_or_b64 exec, exec, s[76:77]
	s_and_saveexec_b64 s[76:77], s[52:53]
	s_cbranch_execnz .LBB56_108
.LBB56_76:                              ;   in Loop: Header=BB56_48 Depth=1
	s_or_b64 exec, exec, s[76:77]
	s_and_saveexec_b64 s[76:77], s[54:55]
	s_cbranch_execz .LBB56_109
.LBB56_77:                              ;   in Loop: Header=BB56_48 Depth=1
	v_mov_b32_e32 v12, s69
	ds_read_b32 v12, v12
	s_waitcnt lgkmcnt(0)
	v_add_u32_e32 v11, v12, v11
	s_or_b64 exec, exec, s[76:77]
	s_and_saveexec_b64 s[76:77], s[56:57]
	s_cbranch_execnz .LBB56_110
.LBB56_78:                              ;   in Loop: Header=BB56_48 Depth=1
	s_or_b64 exec, exec, s[76:77]
	s_and_saveexec_b64 s[76:77], s[58:59]
	s_cbranch_execz .LBB56_111
.LBB56_79:                              ;   in Loop: Header=BB56_48 Depth=1
	v_mov_b32_e32 v12, s73
	ds_read_b32 v12, v12
	s_waitcnt lgkmcnt(0)
	v_add_u32_e32 v11, v12, v11
	s_or_b64 exec, exec, s[76:77]
	s_and_saveexec_b64 s[76:77], s[64:65]
	s_cbranch_execnz .LBB56_112
.LBB56_80:                              ;   in Loop: Header=BB56_48 Depth=1
	s_or_b64 exec, exec, s[76:77]
	s_and_saveexec_b64 s[64:65], vcc
	s_cbranch_execz .LBB56_47
	s_branch .LBB56_113
.LBB56_81:                              ;   in Loop: Header=BB56_48 Depth=1
	s_or_b64 exec, exec, s[76:77]
	s_and_saveexec_b64 s[76:77], s[62:63]
	s_cbranch_execz .LBB56_50
.LBB56_82:                              ;   in Loop: Header=BB56_48 Depth=1
	v_readlane_b32 s80, v22, 7
	s_nop 1
	v_mov_b32_e32 v12, s80
	ds_read_b32 v12, v12
	s_waitcnt lgkmcnt(0)
	v_add_u32_e32 v11, v12, v11
	s_or_b64 exec, exec, s[76:77]
	s_and_saveexec_b64 s[76:77], s[0:1]
	s_cbranch_execnz .LBB56_51
.LBB56_83:                              ;   in Loop: Header=BB56_48 Depth=1
	s_or_b64 exec, exec, s[76:77]
	s_and_saveexec_b64 s[76:77], s[2:3]
	s_cbranch_execz .LBB56_52
.LBB56_84:                              ;   in Loop: Header=BB56_48 Depth=1
	v_readlane_b32 s80, v22, 9
	s_nop 1
	v_mov_b32_e32 v12, s80
	ds_read_b32 v12, v12
	s_waitcnt lgkmcnt(0)
	v_add_u32_e32 v11, v12, v11
	s_or_b64 exec, exec, s[76:77]
	s_and_saveexec_b64 s[76:77], s[4:5]
	s_cbranch_execnz .LBB56_53
.LBB56_85:                              ;   in Loop: Header=BB56_48 Depth=1
	s_or_b64 exec, exec, s[76:77]
	s_and_saveexec_b64 s[76:77], s[6:7]
	s_cbranch_execz .LBB56_54
.LBB56_86:                              ;   in Loop: Header=BB56_48 Depth=1
	v_readlane_b32 s80, v22, 10
	s_nop 1
	v_mov_b32_e32 v12, s80
	ds_read_b32 v12, v12
	s_waitcnt lgkmcnt(0)
	v_add_u32_e32 v11, v12, v11
	s_or_b64 exec, exec, s[76:77]
	s_and_saveexec_b64 s[76:77], s[8:9]
	s_cbranch_execnz .LBB56_55
.LBB56_87:                              ;   in Loop: Header=BB56_48 Depth=1
	s_or_b64 exec, exec, s[76:77]
	s_and_saveexec_b64 s[76:77], s[10:11]
	s_cbranch_execz .LBB56_56
.LBB56_88:                              ;   in Loop: Header=BB56_48 Depth=1
	v_mov_b32_e32 v12, s83
	ds_read_b32 v12, v12
	s_waitcnt lgkmcnt(0)
	v_add_u32_e32 v11, v12, v11
	s_or_b64 exec, exec, s[76:77]
	s_and_saveexec_b64 s[76:77], s[12:13]
	s_cbranch_execnz .LBB56_57
.LBB56_89:                              ;   in Loop: Header=BB56_48 Depth=1
	s_or_b64 exec, exec, s[76:77]
	s_and_saveexec_b64 s[76:77], s[14:15]
	s_cbranch_execz .LBB56_58
.LBB56_90:                              ;   in Loop: Header=BB56_48 Depth=1
	v_mov_b32_e32 v12, s85
	ds_read_b32 v12, v12
	s_waitcnt lgkmcnt(0)
	v_add_u32_e32 v11, v12, v11
	s_or_b64 exec, exec, s[76:77]
	s_and_saveexec_b64 s[76:77], s[16:17]
	s_cbranch_execnz .LBB56_59
.LBB56_91:                              ;   in Loop: Header=BB56_48 Depth=1
	s_or_b64 exec, exec, s[76:77]
	s_and_saveexec_b64 s[76:77], s[18:19]
	s_cbranch_execz .LBB56_60
.LBB56_92:                              ;   in Loop: Header=BB56_48 Depth=1
	v_mov_b32_e32 v12, s87
	ds_read_b32 v12, v12
	s_waitcnt lgkmcnt(0)
	v_add_u32_e32 v11, v12, v11
	s_or_b64 exec, exec, s[76:77]
	s_and_saveexec_b64 s[76:77], s[20:21]
	s_cbranch_execnz .LBB56_61
.LBB56_93:                              ;   in Loop: Header=BB56_48 Depth=1
	s_or_b64 exec, exec, s[76:77]
	s_and_saveexec_b64 s[76:77], s[22:23]
	s_cbranch_execz .LBB56_62
.LBB56_94:                              ;   in Loop: Header=BB56_48 Depth=1
	v_mov_b32_e32 v12, s89
	ds_read_b32 v12, v12
	s_waitcnt lgkmcnt(0)
	v_add_u32_e32 v11, v12, v11
	s_or_b64 exec, exec, s[76:77]
	s_and_saveexec_b64 s[76:77], s[24:25]
	s_cbranch_execnz .LBB56_63
.LBB56_95:                              ;   in Loop: Header=BB56_48 Depth=1
	s_or_b64 exec, exec, s[76:77]
	s_and_saveexec_b64 s[76:77], s[26:27]
	s_cbranch_execz .LBB56_64
.LBB56_96:                              ;   in Loop: Header=BB56_48 Depth=1
	v_mov_b32_e32 v12, s91
	ds_read_b32 v12, v12
	s_waitcnt lgkmcnt(0)
	v_add_u32_e32 v11, v12, v11
	s_or_b64 exec, exec, s[76:77]
	s_and_saveexec_b64 s[76:77], s[28:29]
	s_cbranch_execnz .LBB56_65
.LBB56_97:                              ;   in Loop: Header=BB56_48 Depth=1
	s_or_b64 exec, exec, s[76:77]
	s_and_saveexec_b64 s[76:77], s[30:31]
	s_cbranch_execz .LBB56_66
.LBB56_98:                              ;   in Loop: Header=BB56_48 Depth=1
	v_mov_b32_e32 v12, s93
	ds_read_b32 v12, v12
	s_waitcnt lgkmcnt(0)
	v_add_u32_e32 v11, v12, v11
	s_or_b64 exec, exec, s[76:77]
	s_and_saveexec_b64 s[76:77], s[34:35]
	s_cbranch_execnz .LBB56_67
.LBB56_99:                              ;   in Loop: Header=BB56_48 Depth=1
	s_or_b64 exec, exec, s[76:77]
	s_and_saveexec_b64 s[76:77], s[36:37]
	s_cbranch_execz .LBB56_68
.LBB56_100:                             ;   in Loop: Header=BB56_48 Depth=1
	v_mov_b32_e32 v12, s95
	ds_read_b32 v12, v12
	s_waitcnt lgkmcnt(0)
	v_add_u32_e32 v11, v12, v11
	s_or_b64 exec, exec, s[76:77]
	s_and_saveexec_b64 s[76:77], s[38:39]
	s_cbranch_execnz .LBB56_69
.LBB56_101:                             ;   in Loop: Header=BB56_48 Depth=1
	s_or_b64 exec, exec, s[76:77]
	s_and_saveexec_b64 s[76:77], s[40:41]
	s_cbranch_execz .LBB56_70
.LBB56_102:                             ;   in Loop: Header=BB56_48 Depth=1
	v_mov_b32_e32 v12, s97
	ds_read_b32 v12, v12
	s_waitcnt lgkmcnt(0)
	v_add_u32_e32 v11, v12, v11
	s_or_b64 exec, exec, s[76:77]
	s_and_saveexec_b64 s[76:77], s[42:43]
	s_cbranch_execnz .LBB56_71
.LBB56_103:                             ;   in Loop: Header=BB56_48 Depth=1
	s_or_b64 exec, exec, s[76:77]
	s_and_saveexec_b64 s[76:77], s[44:45]
	s_cbranch_execz .LBB56_72
.LBB56_104:                             ;   in Loop: Header=BB56_48 Depth=1
	v_mov_b32_e32 v12, s99
	ds_read_b32 v12, v12
	s_waitcnt lgkmcnt(0)
	v_add_u32_e32 v11, v12, v11
	s_or_b64 exec, exec, s[76:77]
	s_and_saveexec_b64 s[76:77], s[46:47]
	s_cbranch_execnz .LBB56_73
.LBB56_105:                             ;   in Loop: Header=BB56_48 Depth=1
	s_or_b64 exec, exec, s[76:77]
	s_and_saveexec_b64 s[76:77], s[48:49]
	s_cbranch_execz .LBB56_74
.LBB56_106:                             ;   in Loop: Header=BB56_48 Depth=1
	v_mov_b32_e32 v12, s71
	ds_read_b32 v12, v12
	s_waitcnt lgkmcnt(0)
	v_add_u32_e32 v11, v12, v11
	s_or_b64 exec, exec, s[76:77]
	s_and_saveexec_b64 s[76:77], s[50:51]
	s_cbranch_execnz .LBB56_75
.LBB56_107:                             ;   in Loop: Header=BB56_48 Depth=1
	s_or_b64 exec, exec, s[76:77]
	s_and_saveexec_b64 s[76:77], s[52:53]
	s_cbranch_execz .LBB56_76
.LBB56_108:                             ;   in Loop: Header=BB56_48 Depth=1
	v_mov_b32_e32 v12, s68
	ds_read_b32 v12, v12
	s_waitcnt lgkmcnt(0)
	v_add_u32_e32 v11, v12, v11
	s_or_b64 exec, exec, s[76:77]
	s_and_saveexec_b64 s[76:77], s[54:55]
	s_cbranch_execnz .LBB56_77
.LBB56_109:                             ;   in Loop: Header=BB56_48 Depth=1
	s_or_b64 exec, exec, s[76:77]
	s_and_saveexec_b64 s[76:77], s[56:57]
	s_cbranch_execz .LBB56_78
.LBB56_110:                             ;   in Loop: Header=BB56_48 Depth=1
	v_mov_b32_e32 v12, s67
	ds_read_b32 v12, v12
	s_waitcnt lgkmcnt(0)
	v_add_u32_e32 v11, v12, v11
	s_or_b64 exec, exec, s[76:77]
	s_and_saveexec_b64 s[76:77], s[58:59]
	s_cbranch_execnz .LBB56_79
.LBB56_111:                             ;   in Loop: Header=BB56_48 Depth=1
	s_or_b64 exec, exec, s[76:77]
	s_and_saveexec_b64 s[76:77], s[64:65]
	s_cbranch_execz .LBB56_80
.LBB56_112:                             ;   in Loop: Header=BB56_48 Depth=1
	v_add3_u32 v12, v7, -1, v11
	v_lshl_add_u32 v13, v12, 2, 0
	v_lshl_add_u32 v12, v12, 3, 0
	v_add_u32_e32 v12, 0x20000, v12
	ds_write_b32 v13, v10
	ds_write2_b32 v12, v4, v5 offset1:1
	s_or_b64 exec, exec, s[76:77]
	s_and_saveexec_b64 s[64:65], vcc
	s_cbranch_execz .LBB56_47
.LBB56_113:                             ;   in Loop: Header=BB56_48 Depth=1
	v_mov_b32_e32 v4, s78
	ds_write_b32 v4, v11
	s_branch .LBB56_47
.LBB56_114:
	s_or_b64 exec, exec, s[74:75]
	v_readlane_b32 s0, v22, 4
	v_readlane_b32 s1, v22, 5
	s_ashr_i32 s1, s0, 31
	s_lshl_b64 s[0:1], s[0:1], 2
	v_readlane_b32 s2, v22, 0
	v_readlane_b32 s3, v22, 1
	s_add_u32 s2, s2, s0
	s_addc_u32 s3, s3, s1
	s_load_dwordx2 s[0:1], s[2:3], 0x0
	s_waitcnt lgkmcnt(0)
	s_sub_i32 s14, s1, s0
	v_cmp_gt_i32_e32 vcc, s14, v0
	s_and_saveexec_b64 s[2:3], vcc
	s_cbranch_execz .LBB56_128
; %bb.115:
	s_sub_i32 s8, s0, s66
	v_sub_co_u32_e64 v1, s[0:1], s14, 2
	s_nop 0
	v_readfirstlane_b32 s2, v1
	s_lshr_b32 s2, s2, 1
	s_add_i32 s2, s2, 1
	s_xor_b64 s[0:1], s[0:1], -1
	s_and_b32 s15, s14, -2
	s_and_b32 s3, s2, 7
	s_and_b32 s16, s2, -8
	s_cmp_lg_u32 s3, 0
	v_cmp_lt_u32_e32 vcc, 13, v1
	s_cselect_b64 s[4:5], -1, 0
	s_cmp_lg_u32 s14, s15
	v_cndmask_b32_e64 v1, 0, 1, vcc
	s_cselect_b64 s[10:11], -1, 0
	s_lshl_b32 s17, s3, 3
	v_cndmask_b32_e64 v2, 0, 1, s[0:1]
	v_cmp_ne_u32_e64 s[2:3], 1, v1
	v_cndmask_b32_e64 v1, 0, 1, s[4:5]
	s_mov_b32 s9, 0
	s_mov_b64 s[12:13], 0
	v_cmp_ne_u32_e64 s[0:1], 1, v2
	v_cmp_ne_u32_e64 s[4:5], 1, v1
	s_branch .LBB56_117
.LBB56_116:                             ;   in Loop: Header=BB56_117 Depth=1
	v_readlane_b32 s6, v22, 2
	v_add_u32_e32 v0, 0x400, v0
	v_ashrrev_i32_e32 v5, 31, v4
	v_readlane_b32 s7, v22, 3
	v_cmp_le_i32_e32 vcc, s14, v0
	s_or_b64 s[12:13], vcc, s[12:13]
	v_lshl_add_u64 v[4:5], v[4:5], 3, s[6:7]
	s_waitcnt lgkmcnt(0)
	global_store_dwordx2 v[4:5], v[2:3], off
	s_andn2_b64 exec, exec, s[12:13]
	s_cbranch_execz .LBB56_128
.LBB56_117:                             ; =>This Loop Header: Depth=1
                                        ;     Child Loop BB56_120 Depth 2
                                        ;     Child Loop BB56_123 Depth 2
	;; [unrolled: 1-line block ×3, first 2 shown]
	v_lshl_add_u32 v2, v0, 3, 0
	v_lshl_add_u32 v1, v0, 2, 0
	v_add_u32_e32 v2, 0x20000, v2
	ds_read_b32 v1, v1
	ds_read2_b32 v[2:3], v2 offset1:1
	s_and_b64 vcc, exec, s[0:1]
	v_mov_b32_e32 v4, s8
	s_mov_b32 s18, 0
	s_mov_b64 s[6:7], -1
	s_cbranch_vccnz .LBB56_125
; %bb.118:                              ;   in Loop: Header=BB56_117 Depth=1
	s_and_b64 vcc, exec, s[2:3]
	v_mov_b64_e32 v[4:5], s[8:9]
	s_cbranch_vccnz .LBB56_121
; %bb.119:                              ;   in Loop: Header=BB56_117 Depth=1
	s_mov_b32 s19, 0
	v_mov_b32_e32 v4, s8
	v_mov_b32_e32 v5, 0
	s_mov_b32 s20, s16
.LBB56_120:                             ;   Parent Loop BB56_117 Depth=1
                                        ; =>  This Inner Loop Header: Depth=2
	v_mov_b32_e32 v20, s19
	ds_read2_b32 v[6:7], v20 offset1:1
	ds_read2_b32 v[8:9], v20 offset0:2 offset1:3
	ds_read2_b32 v[10:11], v20 offset0:4 offset1:5
	;; [unrolled: 1-line block ×7, first 2 shown]
	s_waitcnt lgkmcnt(7)
	v_cmp_gt_i32_e32 vcc, v1, v7
	s_waitcnt lgkmcnt(5)
	v_cmp_gt_i32_e64 s[6:7], v1, v10
	s_add_i32 s18, s18, 16
	v_cndmask_b32_e64 v7, 0, 1, vcc
	v_cmp_gt_i32_e32 vcc, v1, v6
	s_add_i32 s19, s19, 64
	s_add_i32 s20, s20, -8
	v_cndmask_b32_e64 v6, 0, 1, vcc
	v_cmp_gt_i32_e32 vcc, v1, v9
	v_cndmask_b32_e64 v9, 0, 1, s[6:7]
	v_cmp_gt_i32_e64 s[6:7], v1, v11
	v_addc_co_u32_e32 v5, vcc, v5, v7, vcc
	s_nop 0
	v_cndmask_b32_e64 v10, 0, 1, s[6:7]
	s_waitcnt lgkmcnt(3)
	v_cmp_gt_i32_e64 s[6:7], v1, v15
	v_cmp_gt_i32_e32 vcc, v1, v12
	s_cmp_lg_u32 s20, 0
	v_cndmask_b32_e64 v11, 0, 1, s[6:7]
	v_cmp_gt_i32_e64 s[6:7], v1, v14
	s_nop 1
	v_cndmask_b32_e64 v14, 0, 1, s[6:7]
	s_waitcnt lgkmcnt(1)
	v_cmp_gt_i32_e64 s[6:7], v1, v18
	s_nop 1
	v_cndmask_b32_e64 v15, 0, 1, s[6:7]
	v_cmp_gt_i32_e64 s[6:7], v1, v19
	s_nop 1
	v_cndmask_b32_e64 v18, 0, 1, s[6:7]
	v_cmp_gt_i32_e64 s[6:7], v1, v8
	s_nop 1
	v_addc_co_u32_e64 v4, s[6:7], v4, v6, s[6:7]
	v_cmp_gt_i32_e64 s[6:7], v1, v13
	v_addc_co_u32_e32 v4, vcc, v4, v9, vcc
	s_nop 0
	v_addc_co_u32_e64 v5, s[6:7], v5, v10, s[6:7]
	v_cmp_gt_i32_e32 vcc, v1, v17
	v_cmp_gt_i32_e64 s[6:7], v1, v16
	s_nop 0
	v_addc_co_u32_e32 v5, vcc, v5, v11, vcc
	v_addc_co_u32_e64 v4, s[6:7], v4, v14, s[6:7]
	s_waitcnt lgkmcnt(0)
	v_cmp_gt_i32_e32 vcc, v1, v20
	v_cmp_gt_i32_e64 s[6:7], v1, v21
	s_nop 0
	v_addc_co_u32_e32 v4, vcc, v4, v15, vcc
	v_addc_co_u32_e64 v5, s[6:7], v5, v18, s[6:7]
	s_cbranch_scc1 .LBB56_120
.LBB56_121:                             ;   in Loop: Header=BB56_117 Depth=1
	s_and_b64 vcc, exec, s[4:5]
	s_cbranch_vccnz .LBB56_124
; %bb.122:                              ;   in Loop: Header=BB56_117 Depth=1
	s_lshl_b32 s6, s18, 2
	s_add_i32 s6, s6, 0
	s_mov_b32 s7, s17
.LBB56_123:                             ;   Parent Loop BB56_117 Depth=1
                                        ; =>  This Inner Loop Header: Depth=2
	v_mov_b32_e32 v6, s6
	ds_read2_b32 v[6:7], v6 offset1:1
	s_add_i32 s6, s6, 8
	s_add_i32 s7, s7, -8
	s_cmp_lg_u32 s7, 0
	s_waitcnt lgkmcnt(0)
	v_cmp_gt_i32_e32 vcc, v1, v7
	s_nop 1
	v_addc_co_u32_e32 v5, vcc, 0, v5, vcc
	v_cmp_gt_i32_e32 vcc, v1, v6
	s_nop 1
	v_addc_co_u32_e32 v4, vcc, 0, v4, vcc
	s_cbranch_scc1 .LBB56_123
.LBB56_124:                             ;   in Loop: Header=BB56_117 Depth=1
	v_add_u32_e32 v4, v4, v5
	s_mov_b32 s18, s15
	s_mov_b64 s[6:7], s[10:11]
.LBB56_125:                             ;   in Loop: Header=BB56_117 Depth=1
	s_and_b64 vcc, exec, s[6:7]
	s_cbranch_vccz .LBB56_116
; %bb.126:                              ;   in Loop: Header=BB56_117 Depth=1
	s_lshl_b32 s6, s18, 2
	s_add_i32 s6, s6, 0
.LBB56_127:                             ;   Parent Loop BB56_117 Depth=1
                                        ; =>  This Inner Loop Header: Depth=2
	v_mov_b32_e32 v5, s6
	ds_read_b32 v5, v5
	s_add_i32 s18, s18, 1
	s_add_i32 s6, s6, 4
	s_cmp_ge_i32 s18, s14
	s_waitcnt lgkmcnt(0)
	v_cmp_gt_i32_e32 vcc, v1, v5
	s_nop 1
	v_addc_co_u32_e32 v4, vcc, 0, v4, vcc
	s_cbranch_scc0 .LBB56_127
	s_branch .LBB56_116
.LBB56_128:
	s_endpgm
	.section	.rodata,"a",@progbits
	.p2align	6, 0x0
	.amdhsa_kernel _ZN9rocsparseL41csrgemm_numeric_fill_block_per_row_kernelILj1024ELj64ELj32768ELj137ELj32Eii21rocsparse_complex_numIfEEEvT5_PKS3_S5_NS_24const_host_device_scalarIT6_EEPKT4_S5_PKS7_SB_S5_SD_S8_SB_S5_SD_SB_S5_PS7_21rocsparse_index_base_SF_SF_SF_bbb
		.amdhsa_group_segment_fixed_size 0
		.amdhsa_private_segment_fixed_size 0
		.amdhsa_kernarg_size 156
		.amdhsa_user_sgpr_count 2
		.amdhsa_user_sgpr_dispatch_ptr 0
		.amdhsa_user_sgpr_queue_ptr 0
		.amdhsa_user_sgpr_kernarg_segment_ptr 1
		.amdhsa_user_sgpr_dispatch_id 0
		.amdhsa_user_sgpr_kernarg_preload_length 0
		.amdhsa_user_sgpr_kernarg_preload_offset 0
		.amdhsa_user_sgpr_private_segment_size 0
		.amdhsa_uses_dynamic_stack 0
		.amdhsa_enable_private_segment 0
		.amdhsa_system_sgpr_workgroup_id_x 1
		.amdhsa_system_sgpr_workgroup_id_y 0
		.amdhsa_system_sgpr_workgroup_id_z 0
		.amdhsa_system_sgpr_workgroup_info 0
		.amdhsa_system_vgpr_workitem_id 0
		.amdhsa_next_free_vgpr 23
		.amdhsa_next_free_sgpr 100
		.amdhsa_accum_offset 24
		.amdhsa_reserve_vcc 1
		.amdhsa_float_round_mode_32 0
		.amdhsa_float_round_mode_16_64 0
		.amdhsa_float_denorm_mode_32 3
		.amdhsa_float_denorm_mode_16_64 3
		.amdhsa_dx10_clamp 1
		.amdhsa_ieee_mode 1
		.amdhsa_fp16_overflow 0
		.amdhsa_tg_split 0
		.amdhsa_exception_fp_ieee_invalid_op 0
		.amdhsa_exception_fp_denorm_src 0
		.amdhsa_exception_fp_ieee_div_zero 0
		.amdhsa_exception_fp_ieee_overflow 0
		.amdhsa_exception_fp_ieee_underflow 0
		.amdhsa_exception_fp_ieee_inexact 0
		.amdhsa_exception_int_div_zero 0
	.end_amdhsa_kernel
	.section	.text._ZN9rocsparseL41csrgemm_numeric_fill_block_per_row_kernelILj1024ELj64ELj32768ELj137ELj32Eii21rocsparse_complex_numIfEEEvT5_PKS3_S5_NS_24const_host_device_scalarIT6_EEPKT4_S5_PKS7_SB_S5_SD_S8_SB_S5_SD_SB_S5_PS7_21rocsparse_index_base_SF_SF_SF_bbb,"axG",@progbits,_ZN9rocsparseL41csrgemm_numeric_fill_block_per_row_kernelILj1024ELj64ELj32768ELj137ELj32Eii21rocsparse_complex_numIfEEEvT5_PKS3_S5_NS_24const_host_device_scalarIT6_EEPKT4_S5_PKS7_SB_S5_SD_S8_SB_S5_SD_SB_S5_PS7_21rocsparse_index_base_SF_SF_SF_bbb,comdat
.Lfunc_end56:
	.size	_ZN9rocsparseL41csrgemm_numeric_fill_block_per_row_kernelILj1024ELj64ELj32768ELj137ELj32Eii21rocsparse_complex_numIfEEEvT5_PKS3_S5_NS_24const_host_device_scalarIT6_EEPKT4_S5_PKS7_SB_S5_SD_S8_SB_S5_SD_SB_S5_PS7_21rocsparse_index_base_SF_SF_SF_bbb, .Lfunc_end56-_ZN9rocsparseL41csrgemm_numeric_fill_block_per_row_kernelILj1024ELj64ELj32768ELj137ELj32Eii21rocsparse_complex_numIfEEEvT5_PKS3_S5_NS_24const_host_device_scalarIT6_EEPKT4_S5_PKS7_SB_S5_SD_S8_SB_S5_SD_SB_S5_PS7_21rocsparse_index_base_SF_SF_SF_bbb
                                        ; -- End function
	.set _ZN9rocsparseL41csrgemm_numeric_fill_block_per_row_kernelILj1024ELj64ELj32768ELj137ELj32Eii21rocsparse_complex_numIfEEEvT5_PKS3_S5_NS_24const_host_device_scalarIT6_EEPKT4_S5_PKS7_SB_S5_SD_S8_SB_S5_SD_SB_S5_PS7_21rocsparse_index_base_SF_SF_SF_bbb.num_vgpr, 23
	.set _ZN9rocsparseL41csrgemm_numeric_fill_block_per_row_kernelILj1024ELj64ELj32768ELj137ELj32Eii21rocsparse_complex_numIfEEEvT5_PKS3_S5_NS_24const_host_device_scalarIT6_EEPKT4_S5_PKS7_SB_S5_SD_S8_SB_S5_SD_SB_S5_PS7_21rocsparse_index_base_SF_SF_SF_bbb.num_agpr, 0
	.set _ZN9rocsparseL41csrgemm_numeric_fill_block_per_row_kernelILj1024ELj64ELj32768ELj137ELj32Eii21rocsparse_complex_numIfEEEvT5_PKS3_S5_NS_24const_host_device_scalarIT6_EEPKT4_S5_PKS7_SB_S5_SD_S8_SB_S5_SD_SB_S5_PS7_21rocsparse_index_base_SF_SF_SF_bbb.numbered_sgpr, 100
	.set _ZN9rocsparseL41csrgemm_numeric_fill_block_per_row_kernelILj1024ELj64ELj32768ELj137ELj32Eii21rocsparse_complex_numIfEEEvT5_PKS3_S5_NS_24const_host_device_scalarIT6_EEPKT4_S5_PKS7_SB_S5_SD_S8_SB_S5_SD_SB_S5_PS7_21rocsparse_index_base_SF_SF_SF_bbb.num_named_barrier, 0
	.set _ZN9rocsparseL41csrgemm_numeric_fill_block_per_row_kernelILj1024ELj64ELj32768ELj137ELj32Eii21rocsparse_complex_numIfEEEvT5_PKS3_S5_NS_24const_host_device_scalarIT6_EEPKT4_S5_PKS7_SB_S5_SD_S8_SB_S5_SD_SB_S5_PS7_21rocsparse_index_base_SF_SF_SF_bbb.private_seg_size, 0
	.set _ZN9rocsparseL41csrgemm_numeric_fill_block_per_row_kernelILj1024ELj64ELj32768ELj137ELj32Eii21rocsparse_complex_numIfEEEvT5_PKS3_S5_NS_24const_host_device_scalarIT6_EEPKT4_S5_PKS7_SB_S5_SD_S8_SB_S5_SD_SB_S5_PS7_21rocsparse_index_base_SF_SF_SF_bbb.uses_vcc, 1
	.set _ZN9rocsparseL41csrgemm_numeric_fill_block_per_row_kernelILj1024ELj64ELj32768ELj137ELj32Eii21rocsparse_complex_numIfEEEvT5_PKS3_S5_NS_24const_host_device_scalarIT6_EEPKT4_S5_PKS7_SB_S5_SD_S8_SB_S5_SD_SB_S5_PS7_21rocsparse_index_base_SF_SF_SF_bbb.uses_flat_scratch, 0
	.set _ZN9rocsparseL41csrgemm_numeric_fill_block_per_row_kernelILj1024ELj64ELj32768ELj137ELj32Eii21rocsparse_complex_numIfEEEvT5_PKS3_S5_NS_24const_host_device_scalarIT6_EEPKT4_S5_PKS7_SB_S5_SD_S8_SB_S5_SD_SB_S5_PS7_21rocsparse_index_base_SF_SF_SF_bbb.has_dyn_sized_stack, 0
	.set _ZN9rocsparseL41csrgemm_numeric_fill_block_per_row_kernelILj1024ELj64ELj32768ELj137ELj32Eii21rocsparse_complex_numIfEEEvT5_PKS3_S5_NS_24const_host_device_scalarIT6_EEPKT4_S5_PKS7_SB_S5_SD_S8_SB_S5_SD_SB_S5_PS7_21rocsparse_index_base_SF_SF_SF_bbb.has_recursion, 0
	.set _ZN9rocsparseL41csrgemm_numeric_fill_block_per_row_kernelILj1024ELj64ELj32768ELj137ELj32Eii21rocsparse_complex_numIfEEEvT5_PKS3_S5_NS_24const_host_device_scalarIT6_EEPKT4_S5_PKS7_SB_S5_SD_S8_SB_S5_SD_SB_S5_PS7_21rocsparse_index_base_SF_SF_SF_bbb.has_indirect_call, 0
	.section	.AMDGPU.csdata,"",@progbits
; Kernel info:
; codeLenInByte = 4776
; TotalNumSgprs: 106
; NumVgprs: 23
; NumAgprs: 0
; TotalNumVgprs: 23
; ScratchSize: 0
; MemoryBound: 0
; FloatMode: 240
; IeeeMode: 1
; LDSByteSize: 0 bytes/workgroup (compile time only)
; SGPRBlocks: 13
; VGPRBlocks: 2
; NumSGPRsForWavesPerEU: 106
; NumVGPRsForWavesPerEU: 23
; AccumOffset: 24
; Occupancy: 7
; WaveLimiterHint : 1
; COMPUTE_PGM_RSRC2:SCRATCH_EN: 0
; COMPUTE_PGM_RSRC2:USER_SGPR: 2
; COMPUTE_PGM_RSRC2:TRAP_HANDLER: 0
; COMPUTE_PGM_RSRC2:TGID_X_EN: 1
; COMPUTE_PGM_RSRC2:TGID_Y_EN: 0
; COMPUTE_PGM_RSRC2:TGID_Z_EN: 0
; COMPUTE_PGM_RSRC2:TIDIG_COMP_CNT: 0
; COMPUTE_PGM_RSRC3_GFX90A:ACCUM_OFFSET: 5
; COMPUTE_PGM_RSRC3_GFX90A:TG_SPLIT: 0
	.section	.text._ZN9rocsparseL41csrgemm_numeric_fill_block_per_row_kernelILj1024ELj64ELj32768ELj137ELj64Eii21rocsparse_complex_numIfEEEvT5_PKS3_S5_NS_24const_host_device_scalarIT6_EEPKT4_S5_PKS7_SB_S5_SD_S8_SB_S5_SD_SB_S5_PS7_21rocsparse_index_base_SF_SF_SF_bbb,"axG",@progbits,_ZN9rocsparseL41csrgemm_numeric_fill_block_per_row_kernelILj1024ELj64ELj32768ELj137ELj64Eii21rocsparse_complex_numIfEEEvT5_PKS3_S5_NS_24const_host_device_scalarIT6_EEPKT4_S5_PKS7_SB_S5_SD_S8_SB_S5_SD_SB_S5_PS7_21rocsparse_index_base_SF_SF_SF_bbb,comdat
	.globl	_ZN9rocsparseL41csrgemm_numeric_fill_block_per_row_kernelILj1024ELj64ELj32768ELj137ELj64Eii21rocsparse_complex_numIfEEEvT5_PKS3_S5_NS_24const_host_device_scalarIT6_EEPKT4_S5_PKS7_SB_S5_SD_S8_SB_S5_SD_SB_S5_PS7_21rocsparse_index_base_SF_SF_SF_bbb ; -- Begin function _ZN9rocsparseL41csrgemm_numeric_fill_block_per_row_kernelILj1024ELj64ELj32768ELj137ELj64Eii21rocsparse_complex_numIfEEEvT5_PKS3_S5_NS_24const_host_device_scalarIT6_EEPKT4_S5_PKS7_SB_S5_SD_S8_SB_S5_SD_SB_S5_PS7_21rocsparse_index_base_SF_SF_SF_bbb
	.p2align	8
	.type	_ZN9rocsparseL41csrgemm_numeric_fill_block_per_row_kernelILj1024ELj64ELj32768ELj137ELj64Eii21rocsparse_complex_numIfEEEvT5_PKS3_S5_NS_24const_host_device_scalarIT6_EEPKT4_S5_PKS7_SB_S5_SD_S8_SB_S5_SD_SB_S5_PS7_21rocsparse_index_base_SF_SF_SF_bbb,@function
_ZN9rocsparseL41csrgemm_numeric_fill_block_per_row_kernelILj1024ELj64ELj32768ELj137ELj64Eii21rocsparse_complex_numIfEEEvT5_PKS3_S5_NS_24const_host_device_scalarIT6_EEPKT4_S5_PKS7_SB_S5_SD_S8_SB_S5_SD_SB_S5_PS7_21rocsparse_index_base_SF_SF_SF_bbb: ; @_ZN9rocsparseL41csrgemm_numeric_fill_block_per_row_kernelILj1024ELj64ELj32768ELj137ELj64Eii21rocsparse_complex_numIfEEEvT5_PKS3_S5_NS_24const_host_device_scalarIT6_EEPKT4_S5_PKS7_SB_S5_SD_S8_SB_S5_SD_SB_S5_PS7_21rocsparse_index_base_SF_SF_SF_bbb
; %bb.0:
	s_load_dwordx2 s[40:41], s[0:1], 0x70
	s_load_dwordx4 s[24:27], s[0:1], 0x60
	s_load_dwordx8 s[8:15], s[0:1], 0x40
	s_load_dword s3, s[0:1], 0x98
	s_load_dwordx4 s[28:31], s[0:1], 0x8
	s_load_dwordx8 s[16:23], s[0:1], 0x20
	s_load_dwordx2 s[34:35], s[0:1], 0x80
	s_load_dwordx4 s[36:39], s[0:1], 0x88
	s_waitcnt lgkmcnt(0)
	s_bitcmp1_b32 s3, 0
	s_cselect_b64 s[46:47], -1, 0
	s_bitcmp1_b32 s3, 16
	s_cselect_b64 s[4:5], -1, 0
	s_xor_b64 s[4:5], s[4:5], -1
	v_cndmask_b32_e64 v1, 0, 1, s[4:5]
	s_mov_b32 s7, 0
	s_bitcmp0_b32 s3, 0
	v_cmp_ne_u32_e64 s[4:5], 1, v1
	s_mov_b32 s52, 0
	s_cbranch_scc1 .LBB57_5
; %bb.1:
	s_load_dwordx2 s[6:7], s[0:1], 0x18
	s_and_b64 vcc, exec, s[4:5]
	s_waitcnt lgkmcnt(0)
	s_mov_b32 s52, s6
	s_cbranch_vccnz .LBB57_3
; %bb.2:
	s_load_dword s52, s[6:7], 0x0
.LBB57_3:
	s_and_b64 vcc, exec, s[4:5]
	s_cbranch_vccnz .LBB57_5
; %bb.4:
	s_load_dword s7, s[6:7], 0x4
.LBB57_5:
	s_bitcmp1_b32 s3, 8
	s_cselect_b64 s[44:45], -1, 0
	s_bfe_u32 s3, s3, 0x10008
	s_mov_b32 s50, 0
	s_cmp_eq_u32 s3, 0
	s_mov_b32 s51, 0
	s_cbranch_scc1 .LBB57_11
; %bb.6:
	s_and_b64 vcc, exec, s[4:5]
	s_mov_b32 s50, s12
	s_cbranch_vccnz .LBB57_8
; %bb.7:
	s_load_dword s50, s[12:13], 0x0
.LBB57_8:
	s_and_b64 vcc, exec, s[4:5]
	s_cbranch_vccnz .LBB57_10
; %bb.9:
	s_load_dword s13, s[12:13], 0x4
.LBB57_10:
	s_waitcnt lgkmcnt(0)
	s_mov_b32 s51, s13
.LBB57_11:
	s_load_dword s33, s[0:1], 0x0
	v_lshl_add_u32 v2, v0, 3, 0
	v_or_b32_e32 v1, 0xfffffc00, v0
	v_add_u32_e32 v8, 0x20000, v2
	v_lshl_add_u32 v9, v0, 2, 0
	s_mov_b64 s[0:1], 0
	s_waitcnt lgkmcnt(0)
	v_mov_b32_e32 v6, s33
	v_mov_b32_e32 v2, 0
	s_movk_i32 s3, 0x7bff
	v_mov_b32_e32 v3, v9
	v_mov_b32_e32 v4, v8
	;; [unrolled: 1-line block ×3, first 2 shown]
.LBB57_12:                              ; =>This Inner Loop Header: Depth=1
	v_add_u32_e32 v5, 0x400, v5
	v_cmp_lt_u32_e32 vcc, s3, v5
	ds_write_b32 v3, v6
	ds_write2_b32 v4, v2, v2 offset1:1
	v_add_u32_e32 v4, 0x2000, v4
	s_or_b64 s[0:1], vcc, s[0:1]
	v_add_u32_e32 v3, 0x1000, v3
	s_andn2_b64 exec, exec, s[0:1]
	s_cbranch_execnz .LBB57_12
; %bb.13:
	s_or_b64 exec, exec, s[0:1]
	s_waitcnt lgkmcnt(0)
	s_barrier
	s_load_dword s0, s[28:29], 0x0
	s_mov_b32 s1, 0
	v_lshrrev_b32_e32 v10, 6, v0
	s_waitcnt lgkmcnt(0)
	s_add_i32 s0, s0, s2
	s_lshl_b64 s[0:1], s[0:1], 2
	s_add_u32 s0, s30, s0
	s_addc_u32 s1, s31, s1
	s_load_dword s42, s[0:1], 0x0
	s_and_b64 vcc, exec, s[46:47]
	s_cbranch_vccz .LBB57_31
; %bb.14:
	s_waitcnt lgkmcnt(0)
	s_ashr_i32 s43, s42, 31
	s_lshl_b64 s[0:1], s[42:43], 2
	s_add_u32 s0, s16, s0
	s_addc_u32 s1, s17, s1
	s_load_dwordx2 s[2:3], s[0:1], 0x0
	v_subrev_u32_e32 v2, s36, v10
	s_waitcnt lgkmcnt(0)
	s_sub_i32 s6, s3, s36
	v_add_u32_e32 v2, s2, v2
	v_cmp_gt_i32_e32 vcc, s6, v2
	s_and_saveexec_b64 s[0:1], vcc
	s_cbranch_execz .LBB57_30
; %bb.15:
	v_and_b32_e32 v3, 63, v0
	v_subrev_u32_e32 v11, s37, v3
	s_mov_b64 s[2:3], 0
	s_movk_i32 s43, 0x89
	s_branch .LBB57_17
.LBB57_16:                              ;   in Loop: Header=BB57_17 Depth=1
	s_or_b64 exec, exec, s[4:5]
	v_add_u32_e32 v2, 16, v2
	v_cmp_le_i32_e32 vcc, s6, v2
	s_or_b64 s[2:3], vcc, s[2:3]
	s_andn2_b64 exec, exec, s[2:3]
	s_cbranch_execz .LBB57_30
.LBB57_17:                              ; =>This Loop Header: Depth=1
                                        ;     Child Loop BB57_21 Depth 2
                                        ;       Child Loop BB57_24 Depth 3
	v_ashrrev_i32_e32 v3, 31, v2
	v_lshl_add_u64 v[4:5], v[2:3], 2, s[18:19]
	global_load_dword v4, v[4:5], off
	s_waitcnt vmcnt(0)
	v_subrev_u32_e32 v4, s36, v4
	v_ashrrev_i32_e32 v5, 31, v4
	v_lshl_add_u64 v[4:5], v[4:5], 2, s[22:23]
	global_load_dwordx2 v[4:5], v[4:5], off
	s_waitcnt vmcnt(0)
	v_subrev_u32_e32 v12, s37, v5
	v_add_u32_e32 v4, v4, v11
	v_cmp_lt_i32_e32 vcc, v4, v12
	s_and_saveexec_b64 s[4:5], vcc
	s_cbranch_execz .LBB57_16
; %bb.18:                               ;   in Loop: Header=BB57_17 Depth=1
	v_lshl_add_u64 v[6:7], v[2:3], 3, s[20:21]
	global_load_dwordx2 v[6:7], v[6:7], off
	s_mov_b64 s[12:13], 0
	s_waitcnt vmcnt(0)
	v_mul_f32_e64 v3, v7, -s7
	v_mul_f32_e32 v13, s52, v7
	v_fmac_f32_e32 v3, s52, v6
	v_fmac_f32_e32 v13, s7, v6
	s_branch .LBB57_21
.LBB57_19:                              ;   in Loop: Header=BB57_21 Depth=2
	s_or_b64 exec, exec, s[28:29]
.LBB57_20:                              ;   in Loop: Header=BB57_21 Depth=2
	s_or_b64 exec, exec, s[16:17]
	s_waitcnt vmcnt(0)
	v_mul_f32_e64 v14, v7, -v13
	v_lshl_add_u32 v5, v5, 3, 0
	v_fmac_f32_e32 v14, v3, v6
	v_mul_f32_e32 v7, v3, v7
	v_add_u32_e32 v5, 0x20000, v5
	v_fmac_f32_e32 v7, v13, v6
	ds_add_f32 v5, v14
	ds_add_f32 v5, v7 offset:4
	v_add_u32_e32 v4, 64, v4
	v_cmp_ge_i32_e32 vcc, v4, v12
	s_or_b64 s[12:13], vcc, s[12:13]
	s_andn2_b64 exec, exec, s[12:13]
	s_cbranch_execz .LBB57_16
.LBB57_21:                              ;   Parent Loop BB57_17 Depth=1
                                        ; =>  This Loop Header: Depth=2
                                        ;       Child Loop BB57_24 Depth 3
	v_ashrrev_i32_e32 v5, 31, v4
	v_lshl_add_u64 v[6:7], v[4:5], 2, s[8:9]
	global_load_dword v14, v[6:7], off
	v_lshl_add_u64 v[6:7], v[4:5], 3, s[10:11]
	global_load_dwordx2 v[6:7], v[6:7], off
	s_waitcnt vmcnt(1)
	v_subrev_u32_e32 v14, s37, v14
	v_mul_lo_u32 v5, v14, s43
	v_and_b32_e32 v5, 0x7fff, v5
	v_lshl_add_u32 v15, v5, 2, 0
	ds_read_b32 v16, v15
	s_waitcnt lgkmcnt(0)
	v_cmp_ne_u32_e32 vcc, v16, v14
	s_and_saveexec_b64 s[16:17], vcc
	s_cbranch_execz .LBB57_20
; %bb.22:                               ;   in Loop: Header=BB57_21 Depth=2
	s_mov_b64 s[28:29], 0
	s_branch .LBB57_24
.LBB57_23:                              ;   in Loop: Header=BB57_24 Depth=3
	s_or_b64 exec, exec, s[48:49]
	s_and_b64 s[30:31], exec, s[46:47]
	s_or_b64 s[28:29], s[30:31], s[28:29]
	s_andn2_b64 exec, exec, s[28:29]
	s_cbranch_execz .LBB57_19
.LBB57_24:                              ;   Parent Loop BB57_17 Depth=1
                                        ;     Parent Loop BB57_21 Depth=2
                                        ; =>    This Inner Loop Header: Depth=3
	v_cmp_ne_u32_e32 vcc, s33, v16
	s_mov_b64 s[30:31], 0
	s_and_saveexec_b64 s[46:47], vcc
	s_xor_b64 s[46:47], exec, s[46:47]
	s_cbranch_execz .LBB57_26
; %bb.25:                               ;   in Loop: Header=BB57_24 Depth=3
	v_add_u32_e32 v5, 1, v5
	s_mov_b64 s[30:31], exec
	v_and_b32_e32 v5, 0x7fff, v5
                                        ; implicit-def: $vgpr15
	s_andn2_saveexec_b64 s[46:47], s[46:47]
	s_cbranch_execz .LBB57_28
	s_branch .LBB57_27
.LBB57_26:                              ;   in Loop: Header=BB57_24 Depth=3
	s_andn2_saveexec_b64 s[46:47], s[46:47]
	s_cbranch_execz .LBB57_28
.LBB57_27:                              ;   in Loop: Header=BB57_24 Depth=3
	v_mov_b32_e32 v16, s33
	ds_cmpst_rtn_b32 v15, v15, v16, v14
	s_andn2_b64 s[30:31], s[30:31], exec
	s_waitcnt lgkmcnt(0)
	v_cmp_ne_u32_e32 vcc, s33, v15
	s_and_b64 s[48:49], vcc, exec
	s_or_b64 s[30:31], s[30:31], s[48:49]
.LBB57_28:                              ;   in Loop: Header=BB57_24 Depth=3
	s_or_b64 exec, exec, s[46:47]
	s_mov_b64 s[46:47], -1
                                        ; implicit-def: $vgpr15
                                        ; implicit-def: $vgpr16
	s_and_saveexec_b64 s[48:49], s[30:31]
	s_cbranch_execz .LBB57_23
; %bb.29:                               ;   in Loop: Header=BB57_24 Depth=3
	v_lshl_add_u32 v15, v5, 2, 0
	ds_read_b32 v16, v15
	s_waitcnt lgkmcnt(0)
	v_cmp_eq_u32_e32 vcc, v16, v14
	s_orn2_b64 s[46:47], vcc, exec
	s_branch .LBB57_23
.LBB57_30:
	s_or_b64 exec, exec, s[0:1]
.LBB57_31:
	s_andn2_b64 vcc, exec, s[44:45]
	s_cbranch_vccnz .LBB57_46
; %bb.32:
	s_waitcnt lgkmcnt(0)
	s_ashr_i32 s43, s42, 31
	s_lshl_b64 s[0:1], s[42:43], 2
	s_add_u32 s0, s14, s0
	s_addc_u32 s1, s15, s1
	s_load_dwordx2 s[2:3], s[0:1], 0x0
	v_subrev_u32_e32 v2, s39, v0
	s_waitcnt lgkmcnt(0)
	s_sub_i32 s14, s3, s39
	v_add_u32_e32 v2, s2, v2
	v_cmp_gt_i32_e32 vcc, s14, v2
	s_and_saveexec_b64 s[0:1], vcc
	s_cbranch_execz .LBB57_45
; %bb.33:
	s_mov_b64 s[2:3], 0
	s_movk_i32 s15, 0x89
	s_branch .LBB57_36
.LBB57_34:                              ;   in Loop: Header=BB57_36 Depth=1
	s_or_b64 exec, exec, s[6:7]
.LBB57_35:                              ;   in Loop: Header=BB57_36 Depth=1
	s_or_b64 exec, exec, s[4:5]
	s_waitcnt vmcnt(0)
	v_mul_f32_e64 v6, v5, -s51
	v_lshl_add_u32 v3, v3, 3, 0
	v_fmac_f32_e32 v6, s50, v4
	v_mul_f32_e32 v5, s50, v5
	v_add_u32_e32 v3, 0x20000, v3
	v_fmac_f32_e32 v5, s51, v4
	ds_add_f32 v3, v6
	ds_add_f32 v3, v5 offset:4
	v_add_u32_e32 v2, 0x400, v2
	v_cmp_le_i32_e32 vcc, s14, v2
	s_or_b64 s[2:3], vcc, s[2:3]
	s_andn2_b64 exec, exec, s[2:3]
	s_cbranch_execz .LBB57_45
.LBB57_36:                              ; =>This Loop Header: Depth=1
                                        ;     Child Loop BB57_39 Depth 2
	v_ashrrev_i32_e32 v3, 31, v2
	v_lshl_add_u64 v[4:5], v[2:3], 2, s[24:25]
	global_load_dword v6, v[4:5], off
	v_lshl_add_u64 v[4:5], v[2:3], 3, s[26:27]
	global_load_dwordx2 v[4:5], v[4:5], off
	s_waitcnt vmcnt(1)
	v_subrev_u32_e32 v6, s39, v6
	v_mul_lo_u32 v3, v6, s15
	v_and_b32_e32 v3, 0x7fff, v3
	v_lshl_add_u32 v7, v3, 2, 0
	ds_read_b32 v11, v7
	s_waitcnt lgkmcnt(0)
	v_cmp_ne_u32_e32 vcc, v11, v6
	s_and_saveexec_b64 s[4:5], vcc
	s_cbranch_execz .LBB57_35
; %bb.37:                               ;   in Loop: Header=BB57_36 Depth=1
	s_mov_b64 s[6:7], 0
	s_branch .LBB57_39
.LBB57_38:                              ;   in Loop: Header=BB57_39 Depth=2
	s_or_b64 exec, exec, s[12:13]
	s_and_b64 s[8:9], exec, s[10:11]
	s_or_b64 s[6:7], s[8:9], s[6:7]
	s_andn2_b64 exec, exec, s[6:7]
	s_cbranch_execz .LBB57_34
.LBB57_39:                              ;   Parent Loop BB57_36 Depth=1
                                        ; =>  This Inner Loop Header: Depth=2
	v_cmp_ne_u32_e32 vcc, s33, v11
	s_mov_b64 s[8:9], 0
	s_and_saveexec_b64 s[10:11], vcc
	s_xor_b64 s[10:11], exec, s[10:11]
	s_cbranch_execz .LBB57_41
; %bb.40:                               ;   in Loop: Header=BB57_39 Depth=2
	v_add_u32_e32 v3, 1, v3
	s_mov_b64 s[8:9], exec
	v_and_b32_e32 v3, 0x7fff, v3
                                        ; implicit-def: $vgpr7
	s_andn2_saveexec_b64 s[10:11], s[10:11]
	s_cbranch_execz .LBB57_43
	s_branch .LBB57_42
.LBB57_41:                              ;   in Loop: Header=BB57_39 Depth=2
	s_andn2_saveexec_b64 s[10:11], s[10:11]
	s_cbranch_execz .LBB57_43
.LBB57_42:                              ;   in Loop: Header=BB57_39 Depth=2
	v_mov_b32_e32 v11, s33
	ds_cmpst_rtn_b32 v7, v7, v11, v6
	s_andn2_b64 s[8:9], s[8:9], exec
	s_waitcnt lgkmcnt(0)
	v_cmp_ne_u32_e32 vcc, s33, v7
	s_and_b64 s[12:13], vcc, exec
	s_or_b64 s[8:9], s[8:9], s[12:13]
.LBB57_43:                              ;   in Loop: Header=BB57_39 Depth=2
	s_or_b64 exec, exec, s[10:11]
	s_mov_b64 s[10:11], -1
                                        ; implicit-def: $vgpr7
                                        ; implicit-def: $vgpr11
	s_and_saveexec_b64 s[12:13], s[8:9]
	s_cbranch_execz .LBB57_38
; %bb.44:                               ;   in Loop: Header=BB57_39 Depth=2
	v_lshl_add_u32 v7, v3, 2, 0
	ds_read_b32 v11, v7
	s_waitcnt lgkmcnt(0)
	v_cmp_eq_u32_e32 vcc, v11, v6
	s_orn2_b64 s[10:11], vcc, exec
	s_branch .LBB57_38
.LBB57_45:
	s_or_b64 exec, exec, s[0:1]
.LBB57_46:
	v_mbcnt_lo_u32_b32 v2, -1, 0
	v_mbcnt_hi_u32_b32 v2, -1, v2
	v_sub_u32_e32 v2, 63, v2
	s_add_i32 s39, 0, 0x60000
	s_movk_i32 s0, 0x3ff
	s_movk_i32 s2, 0x7f
	;; [unrolled: 1-line block ×15, first 2 shown]
	s_add_i32 s59, 0, 0x6003c
	v_lshrrev_b64 v[2:3], v2, -1
	v_lshl_add_u32 v6, v10, 2, s39
	v_cmp_eq_u32_e32 vcc, s0, v0
	v_cmp_lt_u32_e64 s[0:1], 63, v0
	v_cmp_lt_u32_e64 s[2:3], s2, v0
	;; [unrolled: 1-line block ×15, first 2 shown]
	s_mov_b64 s[36:37], 0
	v_mov_b32_e32 v7, 0
	s_add_i32 s43, 0, 0x60004
	s_add_i32 s46, 0, 0x60008
	;; [unrolled: 1-line block ×14, first 2 shown]
	v_mov_b32_e32 v10, s59
	s_movk_i32 s60, 0x7bff
	s_waitcnt lgkmcnt(0)
	s_barrier
	s_branch .LBB57_48
.LBB57_47:                              ;   in Loop: Header=BB57_48 Depth=1
	s_or_b64 exec, exec, s[30:31]
	s_waitcnt lgkmcnt(0)
	s_barrier
	ds_read_b32 v4, v10
	v_add_u32_e32 v1, 0x400, v1
	v_cmp_lt_u32_e64 s[30:31], s60, v1
	v_add_u32_e32 v8, 0x2000, v8
	s_or_b64 s[36:37], s[30:31], s[36:37]
	s_waitcnt lgkmcnt(0)
	v_add_u32_e32 v7, v4, v7
	v_add_u32_e32 v9, 0x1000, v9
	s_andn2_b64 exec, exec, s[36:37]
	s_cbranch_execz .LBB57_82
.LBB57_48:                              ; =>This Inner Loop Header: Depth=1
	ds_read_b32 v11, v9
	ds_read2_b32 v[4:5], v8 offset1:1
	s_waitcnt lgkmcnt(0)
	s_barrier
	v_cmp_gt_i32_e64 s[30:31], s33, v11
	s_bcnt1_i32_b64 s44, s[30:31]
	s_nop 0
	v_and_b32_e32 v13, s30, v2
	v_and_b32_e32 v12, s31, v3
	v_bcnt_u32_b32 v13, v13, 0
	v_bcnt_u32_b32 v12, v12, v13
	v_mov_b32_e32 v13, s44
	ds_write_b32 v6, v13
	s_waitcnt lgkmcnt(0)
	s_barrier
	s_and_saveexec_b64 s[44:45], s[0:1]
	s_cbranch_execz .LBB57_65
; %bb.49:                               ;   in Loop: Header=BB57_48 Depth=1
	v_mov_b32_e32 v13, s39
	ds_read_b32 v13, v13
	s_waitcnt lgkmcnt(0)
	v_add_u32_e32 v12, v13, v12
	s_or_b64 exec, exec, s[44:45]
	s_and_saveexec_b64 s[44:45], s[2:3]
	s_cbranch_execnz .LBB57_66
.LBB57_50:                              ;   in Loop: Header=BB57_48 Depth=1
	s_or_b64 exec, exec, s[44:45]
	s_and_saveexec_b64 s[44:45], s[4:5]
	s_cbranch_execz .LBB57_67
.LBB57_51:                              ;   in Loop: Header=BB57_48 Depth=1
	v_mov_b32_e32 v13, s46
	ds_read_b32 v13, v13
	s_waitcnt lgkmcnt(0)
	v_add_u32_e32 v12, v13, v12
	s_or_b64 exec, exec, s[44:45]
	s_and_saveexec_b64 s[44:45], s[6:7]
	s_cbranch_execnz .LBB57_68
.LBB57_52:                              ;   in Loop: Header=BB57_48 Depth=1
	s_or_b64 exec, exec, s[44:45]
	s_and_saveexec_b64 s[44:45], s[8:9]
	s_cbranch_execz .LBB57_69
.LBB57_53:                              ;   in Loop: Header=BB57_48 Depth=1
	v_mov_b32_e32 v13, s48
	ds_read_b32 v13, v13
	s_waitcnt lgkmcnt(0)
	v_add_u32_e32 v12, v13, v12
	s_or_b64 exec, exec, s[44:45]
	s_and_saveexec_b64 s[44:45], s[10:11]
	s_cbranch_execnz .LBB57_70
.LBB57_54:                              ;   in Loop: Header=BB57_48 Depth=1
	s_or_b64 exec, exec, s[44:45]
	s_and_saveexec_b64 s[44:45], s[12:13]
	s_cbranch_execz .LBB57_71
.LBB57_55:                              ;   in Loop: Header=BB57_48 Depth=1
	v_mov_b32_e32 v13, s50
	ds_read_b32 v13, v13
	s_waitcnt lgkmcnt(0)
	v_add_u32_e32 v12, v13, v12
	s_or_b64 exec, exec, s[44:45]
	s_and_saveexec_b64 s[44:45], s[14:15]
	s_cbranch_execnz .LBB57_72
.LBB57_56:                              ;   in Loop: Header=BB57_48 Depth=1
	s_or_b64 exec, exec, s[44:45]
	s_and_saveexec_b64 s[44:45], s[16:17]
	s_cbranch_execz .LBB57_73
.LBB57_57:                              ;   in Loop: Header=BB57_48 Depth=1
	v_mov_b32_e32 v13, s52
	ds_read_b32 v13, v13
	s_waitcnt lgkmcnt(0)
	v_add_u32_e32 v12, v13, v12
	s_or_b64 exec, exec, s[44:45]
	s_and_saveexec_b64 s[44:45], s[18:19]
	s_cbranch_execnz .LBB57_74
.LBB57_58:                              ;   in Loop: Header=BB57_48 Depth=1
	s_or_b64 exec, exec, s[44:45]
	s_and_saveexec_b64 s[44:45], s[20:21]
	s_cbranch_execz .LBB57_75
.LBB57_59:                              ;   in Loop: Header=BB57_48 Depth=1
	v_mov_b32_e32 v13, s54
	ds_read_b32 v13, v13
	s_waitcnt lgkmcnt(0)
	v_add_u32_e32 v12, v13, v12
	s_or_b64 exec, exec, s[44:45]
	s_and_saveexec_b64 s[44:45], s[22:23]
	s_cbranch_execnz .LBB57_76
.LBB57_60:                              ;   in Loop: Header=BB57_48 Depth=1
	s_or_b64 exec, exec, s[44:45]
	s_and_saveexec_b64 s[44:45], s[24:25]
	s_cbranch_execz .LBB57_77
.LBB57_61:                              ;   in Loop: Header=BB57_48 Depth=1
	v_mov_b32_e32 v13, s56
	ds_read_b32 v13, v13
	s_waitcnt lgkmcnt(0)
	v_add_u32_e32 v12, v13, v12
	s_or_b64 exec, exec, s[44:45]
	s_and_saveexec_b64 s[44:45], s[26:27]
	s_cbranch_execnz .LBB57_78
.LBB57_62:                              ;   in Loop: Header=BB57_48 Depth=1
	s_or_b64 exec, exec, s[44:45]
	s_and_saveexec_b64 s[44:45], s[28:29]
	s_cbranch_execz .LBB57_79
.LBB57_63:                              ;   in Loop: Header=BB57_48 Depth=1
	v_mov_b32_e32 v13, s58
	ds_read_b32 v13, v13
	s_waitcnt lgkmcnt(0)
	v_add_u32_e32 v12, v13, v12
	s_or_b64 exec, exec, s[44:45]
	s_and_saveexec_b64 s[44:45], s[30:31]
	s_cbranch_execnz .LBB57_80
.LBB57_64:                              ;   in Loop: Header=BB57_48 Depth=1
	s_or_b64 exec, exec, s[44:45]
	s_and_saveexec_b64 s[30:31], vcc
	s_cbranch_execz .LBB57_47
	s_branch .LBB57_81
.LBB57_65:                              ;   in Loop: Header=BB57_48 Depth=1
	s_or_b64 exec, exec, s[44:45]
	s_and_saveexec_b64 s[44:45], s[2:3]
	s_cbranch_execz .LBB57_50
.LBB57_66:                              ;   in Loop: Header=BB57_48 Depth=1
	v_mov_b32_e32 v13, s43
	ds_read_b32 v13, v13
	s_waitcnt lgkmcnt(0)
	v_add_u32_e32 v12, v13, v12
	s_or_b64 exec, exec, s[44:45]
	s_and_saveexec_b64 s[44:45], s[4:5]
	s_cbranch_execnz .LBB57_51
.LBB57_67:                              ;   in Loop: Header=BB57_48 Depth=1
	s_or_b64 exec, exec, s[44:45]
	s_and_saveexec_b64 s[44:45], s[6:7]
	s_cbranch_execz .LBB57_52
.LBB57_68:                              ;   in Loop: Header=BB57_48 Depth=1
	v_mov_b32_e32 v13, s47
	ds_read_b32 v13, v13
	s_waitcnt lgkmcnt(0)
	v_add_u32_e32 v12, v13, v12
	s_or_b64 exec, exec, s[44:45]
	s_and_saveexec_b64 s[44:45], s[8:9]
	s_cbranch_execnz .LBB57_53
.LBB57_69:                              ;   in Loop: Header=BB57_48 Depth=1
	s_or_b64 exec, exec, s[44:45]
	s_and_saveexec_b64 s[44:45], s[10:11]
	s_cbranch_execz .LBB57_54
.LBB57_70:                              ;   in Loop: Header=BB57_48 Depth=1
	v_mov_b32_e32 v13, s49
	ds_read_b32 v13, v13
	s_waitcnt lgkmcnt(0)
	v_add_u32_e32 v12, v13, v12
	s_or_b64 exec, exec, s[44:45]
	s_and_saveexec_b64 s[44:45], s[12:13]
	s_cbranch_execnz .LBB57_55
.LBB57_71:                              ;   in Loop: Header=BB57_48 Depth=1
	s_or_b64 exec, exec, s[44:45]
	s_and_saveexec_b64 s[44:45], s[14:15]
	s_cbranch_execz .LBB57_56
.LBB57_72:                              ;   in Loop: Header=BB57_48 Depth=1
	v_mov_b32_e32 v13, s51
	ds_read_b32 v13, v13
	s_waitcnt lgkmcnt(0)
	v_add_u32_e32 v12, v13, v12
	s_or_b64 exec, exec, s[44:45]
	s_and_saveexec_b64 s[44:45], s[16:17]
	s_cbranch_execnz .LBB57_57
.LBB57_73:                              ;   in Loop: Header=BB57_48 Depth=1
	s_or_b64 exec, exec, s[44:45]
	s_and_saveexec_b64 s[44:45], s[18:19]
	s_cbranch_execz .LBB57_58
.LBB57_74:                              ;   in Loop: Header=BB57_48 Depth=1
	v_mov_b32_e32 v13, s53
	ds_read_b32 v13, v13
	s_waitcnt lgkmcnt(0)
	v_add_u32_e32 v12, v13, v12
	s_or_b64 exec, exec, s[44:45]
	s_and_saveexec_b64 s[44:45], s[20:21]
	s_cbranch_execnz .LBB57_59
.LBB57_75:                              ;   in Loop: Header=BB57_48 Depth=1
	s_or_b64 exec, exec, s[44:45]
	s_and_saveexec_b64 s[44:45], s[22:23]
	s_cbranch_execz .LBB57_60
.LBB57_76:                              ;   in Loop: Header=BB57_48 Depth=1
	v_mov_b32_e32 v13, s55
	ds_read_b32 v13, v13
	s_waitcnt lgkmcnt(0)
	v_add_u32_e32 v12, v13, v12
	s_or_b64 exec, exec, s[44:45]
	s_and_saveexec_b64 s[44:45], s[24:25]
	s_cbranch_execnz .LBB57_61
.LBB57_77:                              ;   in Loop: Header=BB57_48 Depth=1
	s_or_b64 exec, exec, s[44:45]
	s_and_saveexec_b64 s[44:45], s[26:27]
	s_cbranch_execz .LBB57_62
.LBB57_78:                              ;   in Loop: Header=BB57_48 Depth=1
	v_mov_b32_e32 v13, s57
	ds_read_b32 v13, v13
	s_waitcnt lgkmcnt(0)
	v_add_u32_e32 v12, v13, v12
	s_or_b64 exec, exec, s[44:45]
	s_and_saveexec_b64 s[44:45], s[28:29]
	s_cbranch_execnz .LBB57_63
.LBB57_79:                              ;   in Loop: Header=BB57_48 Depth=1
	s_or_b64 exec, exec, s[44:45]
	s_and_saveexec_b64 s[44:45], s[30:31]
	s_cbranch_execz .LBB57_64
.LBB57_80:                              ;   in Loop: Header=BB57_48 Depth=1
	v_add3_u32 v13, v7, -1, v12
	v_lshl_add_u32 v14, v13, 2, 0
	v_lshl_add_u32 v13, v13, 3, 0
	v_add_u32_e32 v13, 0x20000, v13
	ds_write_b32 v14, v11
	ds_write2_b32 v13, v4, v5 offset1:1
	s_or_b64 exec, exec, s[44:45]
	s_and_saveexec_b64 s[30:31], vcc
	s_cbranch_execz .LBB57_47
.LBB57_81:                              ;   in Loop: Header=BB57_48 Depth=1
	v_mov_b32_e32 v4, s59
	ds_write_b32 v4, v12
	s_branch .LBB57_47
.LBB57_82:
	s_or_b64 exec, exec, s[36:37]
	s_ashr_i32 s43, s42, 31
	s_lshl_b64 s[0:1], s[42:43], 2
	s_add_u32 s2, s40, s0
	s_addc_u32 s3, s41, s1
	s_load_dwordx2 s[0:1], s[2:3], 0x0
	s_waitcnt lgkmcnt(0)
	s_sub_i32 s14, s1, s0
	v_cmp_gt_i32_e32 vcc, s14, v0
	s_and_saveexec_b64 s[2:3], vcc
	s_cbranch_execz .LBB57_96
; %bb.83:
	s_sub_i32 s8, s0, s38
	v_sub_co_u32_e64 v1, s[0:1], s14, 2
	s_nop 0
	v_readfirstlane_b32 s2, v1
	s_lshr_b32 s2, s2, 1
	s_add_i32 s2, s2, 1
	s_xor_b64 s[0:1], s[0:1], -1
	s_and_b32 s15, s14, -2
	s_and_b32 s3, s2, 7
	s_and_b32 s16, s2, -8
	s_cmp_lg_u32 s3, 0
	v_cmp_lt_u32_e32 vcc, 13, v1
	s_cselect_b64 s[4:5], -1, 0
	s_cmp_lg_u32 s14, s15
	v_cndmask_b32_e64 v1, 0, 1, vcc
	s_cselect_b64 s[10:11], -1, 0
	s_lshl_b32 s17, s3, 3
	v_cndmask_b32_e64 v2, 0, 1, s[0:1]
	v_cmp_ne_u32_e64 s[2:3], 1, v1
	v_cndmask_b32_e64 v1, 0, 1, s[4:5]
	s_mov_b32 s9, 0
	s_mov_b64 s[12:13], 0
	v_cmp_ne_u32_e64 s[0:1], 1, v2
	v_cmp_ne_u32_e64 s[4:5], 1, v1
	s_branch .LBB57_85
.LBB57_84:                              ;   in Loop: Header=BB57_85 Depth=1
	v_add_u32_e32 v0, 0x400, v0
	v_ashrrev_i32_e32 v5, 31, v4
	v_cmp_le_i32_e32 vcc, s14, v0
	v_lshl_add_u64 v[4:5], v[4:5], 3, s[34:35]
	s_or_b64 s[12:13], vcc, s[12:13]
	s_waitcnt lgkmcnt(0)
	global_store_dwordx2 v[4:5], v[2:3], off
	s_andn2_b64 exec, exec, s[12:13]
	s_cbranch_execz .LBB57_96
.LBB57_85:                              ; =>This Loop Header: Depth=1
                                        ;     Child Loop BB57_88 Depth 2
                                        ;     Child Loop BB57_91 Depth 2
	;; [unrolled: 1-line block ×3, first 2 shown]
	v_lshl_add_u32 v2, v0, 3, 0
	v_lshl_add_u32 v1, v0, 2, 0
	v_add_u32_e32 v2, 0x20000, v2
	ds_read_b32 v1, v1
	ds_read2_b32 v[2:3], v2 offset1:1
	s_and_b64 vcc, exec, s[0:1]
	v_mov_b32_e32 v4, s8
	s_mov_b32 s18, 0
	s_mov_b64 s[6:7], -1
	s_cbranch_vccnz .LBB57_93
; %bb.86:                               ;   in Loop: Header=BB57_85 Depth=1
	s_and_b64 vcc, exec, s[2:3]
	v_mov_b64_e32 v[4:5], s[8:9]
	s_cbranch_vccnz .LBB57_89
; %bb.87:                               ;   in Loop: Header=BB57_85 Depth=1
	s_mov_b32 s19, 0
	v_mov_b32_e32 v4, s8
	v_mov_b32_e32 v5, 0
	s_mov_b32 s20, s16
.LBB57_88:                              ;   Parent Loop BB57_85 Depth=1
                                        ; =>  This Inner Loop Header: Depth=2
	v_mov_b32_e32 v20, s19
	ds_read2_b32 v[6:7], v20 offset1:1
	ds_read2_b32 v[8:9], v20 offset0:2 offset1:3
	ds_read2_b32 v[10:11], v20 offset0:4 offset1:5
	;; [unrolled: 1-line block ×7, first 2 shown]
	s_waitcnt lgkmcnt(7)
	v_cmp_gt_i32_e32 vcc, v1, v7
	s_waitcnt lgkmcnt(5)
	v_cmp_gt_i32_e64 s[6:7], v1, v10
	s_add_i32 s18, s18, 16
	v_cndmask_b32_e64 v7, 0, 1, vcc
	v_cmp_gt_i32_e32 vcc, v1, v6
	s_add_i32 s19, s19, 64
	s_add_i32 s20, s20, -8
	v_cndmask_b32_e64 v6, 0, 1, vcc
	v_cmp_gt_i32_e32 vcc, v1, v9
	v_cndmask_b32_e64 v9, 0, 1, s[6:7]
	v_cmp_gt_i32_e64 s[6:7], v1, v11
	v_addc_co_u32_e32 v5, vcc, v5, v7, vcc
	s_nop 0
	v_cndmask_b32_e64 v10, 0, 1, s[6:7]
	s_waitcnt lgkmcnt(3)
	v_cmp_gt_i32_e64 s[6:7], v1, v15
	v_cmp_gt_i32_e32 vcc, v1, v12
	s_cmp_lg_u32 s20, 0
	v_cndmask_b32_e64 v11, 0, 1, s[6:7]
	v_cmp_gt_i32_e64 s[6:7], v1, v14
	s_nop 1
	v_cndmask_b32_e64 v14, 0, 1, s[6:7]
	s_waitcnt lgkmcnt(1)
	v_cmp_gt_i32_e64 s[6:7], v1, v18
	s_nop 1
	v_cndmask_b32_e64 v15, 0, 1, s[6:7]
	v_cmp_gt_i32_e64 s[6:7], v1, v19
	s_nop 1
	v_cndmask_b32_e64 v18, 0, 1, s[6:7]
	v_cmp_gt_i32_e64 s[6:7], v1, v8
	s_nop 1
	v_addc_co_u32_e64 v4, s[6:7], v4, v6, s[6:7]
	v_cmp_gt_i32_e64 s[6:7], v1, v13
	v_addc_co_u32_e32 v4, vcc, v4, v9, vcc
	s_nop 0
	v_addc_co_u32_e64 v5, s[6:7], v5, v10, s[6:7]
	v_cmp_gt_i32_e32 vcc, v1, v17
	v_cmp_gt_i32_e64 s[6:7], v1, v16
	s_nop 0
	v_addc_co_u32_e32 v5, vcc, v5, v11, vcc
	v_addc_co_u32_e64 v4, s[6:7], v4, v14, s[6:7]
	s_waitcnt lgkmcnt(0)
	v_cmp_gt_i32_e32 vcc, v1, v20
	v_cmp_gt_i32_e64 s[6:7], v1, v21
	s_nop 0
	v_addc_co_u32_e32 v4, vcc, v4, v15, vcc
	v_addc_co_u32_e64 v5, s[6:7], v5, v18, s[6:7]
	s_cbranch_scc1 .LBB57_88
.LBB57_89:                              ;   in Loop: Header=BB57_85 Depth=1
	s_and_b64 vcc, exec, s[4:5]
	s_cbranch_vccnz .LBB57_92
; %bb.90:                               ;   in Loop: Header=BB57_85 Depth=1
	s_lshl_b32 s6, s18, 2
	s_add_i32 s6, s6, 0
	s_mov_b32 s7, s17
.LBB57_91:                              ;   Parent Loop BB57_85 Depth=1
                                        ; =>  This Inner Loop Header: Depth=2
	v_mov_b32_e32 v6, s6
	ds_read2_b32 v[6:7], v6 offset1:1
	s_add_i32 s6, s6, 8
	s_add_i32 s7, s7, -8
	s_cmp_lg_u32 s7, 0
	s_waitcnt lgkmcnt(0)
	v_cmp_gt_i32_e32 vcc, v1, v7
	s_nop 1
	v_addc_co_u32_e32 v5, vcc, 0, v5, vcc
	v_cmp_gt_i32_e32 vcc, v1, v6
	s_nop 1
	v_addc_co_u32_e32 v4, vcc, 0, v4, vcc
	s_cbranch_scc1 .LBB57_91
.LBB57_92:                              ;   in Loop: Header=BB57_85 Depth=1
	v_add_u32_e32 v4, v4, v5
	s_mov_b32 s18, s15
	s_mov_b64 s[6:7], s[10:11]
.LBB57_93:                              ;   in Loop: Header=BB57_85 Depth=1
	s_and_b64 vcc, exec, s[6:7]
	s_cbranch_vccz .LBB57_84
; %bb.94:                               ;   in Loop: Header=BB57_85 Depth=1
	s_lshl_b32 s6, s18, 2
	s_add_i32 s6, s6, 0
.LBB57_95:                              ;   Parent Loop BB57_85 Depth=1
                                        ; =>  This Inner Loop Header: Depth=2
	v_mov_b32_e32 v5, s6
	ds_read_b32 v5, v5
	s_add_i32 s18, s18, 1
	s_add_i32 s6, s6, 4
	s_cmp_ge_i32 s18, s14
	s_waitcnt lgkmcnt(0)
	v_cmp_gt_i32_e32 vcc, v1, v5
	s_nop 1
	v_addc_co_u32_e32 v4, vcc, 0, v4, vcc
	s_cbranch_scc0 .LBB57_95
	s_branch .LBB57_84
.LBB57_96:
	s_endpgm
	.section	.rodata,"a",@progbits
	.p2align	6, 0x0
	.amdhsa_kernel _ZN9rocsparseL41csrgemm_numeric_fill_block_per_row_kernelILj1024ELj64ELj32768ELj137ELj64Eii21rocsparse_complex_numIfEEEvT5_PKS3_S5_NS_24const_host_device_scalarIT6_EEPKT4_S5_PKS7_SB_S5_SD_S8_SB_S5_SD_SB_S5_PS7_21rocsparse_index_base_SF_SF_SF_bbb
		.amdhsa_group_segment_fixed_size 0
		.amdhsa_private_segment_fixed_size 0
		.amdhsa_kernarg_size 156
		.amdhsa_user_sgpr_count 2
		.amdhsa_user_sgpr_dispatch_ptr 0
		.amdhsa_user_sgpr_queue_ptr 0
		.amdhsa_user_sgpr_kernarg_segment_ptr 1
		.amdhsa_user_sgpr_dispatch_id 0
		.amdhsa_user_sgpr_kernarg_preload_length 0
		.amdhsa_user_sgpr_kernarg_preload_offset 0
		.amdhsa_user_sgpr_private_segment_size 0
		.amdhsa_uses_dynamic_stack 0
		.amdhsa_enable_private_segment 0
		.amdhsa_system_sgpr_workgroup_id_x 1
		.amdhsa_system_sgpr_workgroup_id_y 0
		.amdhsa_system_sgpr_workgroup_id_z 0
		.amdhsa_system_sgpr_workgroup_info 0
		.amdhsa_system_vgpr_workitem_id 0
		.amdhsa_next_free_vgpr 22
		.amdhsa_next_free_sgpr 61
		.amdhsa_accum_offset 24
		.amdhsa_reserve_vcc 1
		.amdhsa_float_round_mode_32 0
		.amdhsa_float_round_mode_16_64 0
		.amdhsa_float_denorm_mode_32 3
		.amdhsa_float_denorm_mode_16_64 3
		.amdhsa_dx10_clamp 1
		.amdhsa_ieee_mode 1
		.amdhsa_fp16_overflow 0
		.amdhsa_tg_split 0
		.amdhsa_exception_fp_ieee_invalid_op 0
		.amdhsa_exception_fp_denorm_src 0
		.amdhsa_exception_fp_ieee_div_zero 0
		.amdhsa_exception_fp_ieee_overflow 0
		.amdhsa_exception_fp_ieee_underflow 0
		.amdhsa_exception_fp_ieee_inexact 0
		.amdhsa_exception_int_div_zero 0
	.end_amdhsa_kernel
	.section	.text._ZN9rocsparseL41csrgemm_numeric_fill_block_per_row_kernelILj1024ELj64ELj32768ELj137ELj64Eii21rocsparse_complex_numIfEEEvT5_PKS3_S5_NS_24const_host_device_scalarIT6_EEPKT4_S5_PKS7_SB_S5_SD_S8_SB_S5_SD_SB_S5_PS7_21rocsparse_index_base_SF_SF_SF_bbb,"axG",@progbits,_ZN9rocsparseL41csrgemm_numeric_fill_block_per_row_kernelILj1024ELj64ELj32768ELj137ELj64Eii21rocsparse_complex_numIfEEEvT5_PKS3_S5_NS_24const_host_device_scalarIT6_EEPKT4_S5_PKS7_SB_S5_SD_S8_SB_S5_SD_SB_S5_PS7_21rocsparse_index_base_SF_SF_SF_bbb,comdat
.Lfunc_end57:
	.size	_ZN9rocsparseL41csrgemm_numeric_fill_block_per_row_kernelILj1024ELj64ELj32768ELj137ELj64Eii21rocsparse_complex_numIfEEEvT5_PKS3_S5_NS_24const_host_device_scalarIT6_EEPKT4_S5_PKS7_SB_S5_SD_S8_SB_S5_SD_SB_S5_PS7_21rocsparse_index_base_SF_SF_SF_bbb, .Lfunc_end57-_ZN9rocsparseL41csrgemm_numeric_fill_block_per_row_kernelILj1024ELj64ELj32768ELj137ELj64Eii21rocsparse_complex_numIfEEEvT5_PKS3_S5_NS_24const_host_device_scalarIT6_EEPKT4_S5_PKS7_SB_S5_SD_S8_SB_S5_SD_SB_S5_PS7_21rocsparse_index_base_SF_SF_SF_bbb
                                        ; -- End function
	.set _ZN9rocsparseL41csrgemm_numeric_fill_block_per_row_kernelILj1024ELj64ELj32768ELj137ELj64Eii21rocsparse_complex_numIfEEEvT5_PKS3_S5_NS_24const_host_device_scalarIT6_EEPKT4_S5_PKS7_SB_S5_SD_S8_SB_S5_SD_SB_S5_PS7_21rocsparse_index_base_SF_SF_SF_bbb.num_vgpr, 22
	.set _ZN9rocsparseL41csrgemm_numeric_fill_block_per_row_kernelILj1024ELj64ELj32768ELj137ELj64Eii21rocsparse_complex_numIfEEEvT5_PKS3_S5_NS_24const_host_device_scalarIT6_EEPKT4_S5_PKS7_SB_S5_SD_S8_SB_S5_SD_SB_S5_PS7_21rocsparse_index_base_SF_SF_SF_bbb.num_agpr, 0
	.set _ZN9rocsparseL41csrgemm_numeric_fill_block_per_row_kernelILj1024ELj64ELj32768ELj137ELj64Eii21rocsparse_complex_numIfEEEvT5_PKS3_S5_NS_24const_host_device_scalarIT6_EEPKT4_S5_PKS7_SB_S5_SD_S8_SB_S5_SD_SB_S5_PS7_21rocsparse_index_base_SF_SF_SF_bbb.numbered_sgpr, 61
	.set _ZN9rocsparseL41csrgemm_numeric_fill_block_per_row_kernelILj1024ELj64ELj32768ELj137ELj64Eii21rocsparse_complex_numIfEEEvT5_PKS3_S5_NS_24const_host_device_scalarIT6_EEPKT4_S5_PKS7_SB_S5_SD_S8_SB_S5_SD_SB_S5_PS7_21rocsparse_index_base_SF_SF_SF_bbb.num_named_barrier, 0
	.set _ZN9rocsparseL41csrgemm_numeric_fill_block_per_row_kernelILj1024ELj64ELj32768ELj137ELj64Eii21rocsparse_complex_numIfEEEvT5_PKS3_S5_NS_24const_host_device_scalarIT6_EEPKT4_S5_PKS7_SB_S5_SD_S8_SB_S5_SD_SB_S5_PS7_21rocsparse_index_base_SF_SF_SF_bbb.private_seg_size, 0
	.set _ZN9rocsparseL41csrgemm_numeric_fill_block_per_row_kernelILj1024ELj64ELj32768ELj137ELj64Eii21rocsparse_complex_numIfEEEvT5_PKS3_S5_NS_24const_host_device_scalarIT6_EEPKT4_S5_PKS7_SB_S5_SD_S8_SB_S5_SD_SB_S5_PS7_21rocsparse_index_base_SF_SF_SF_bbb.uses_vcc, 1
	.set _ZN9rocsparseL41csrgemm_numeric_fill_block_per_row_kernelILj1024ELj64ELj32768ELj137ELj64Eii21rocsparse_complex_numIfEEEvT5_PKS3_S5_NS_24const_host_device_scalarIT6_EEPKT4_S5_PKS7_SB_S5_SD_S8_SB_S5_SD_SB_S5_PS7_21rocsparse_index_base_SF_SF_SF_bbb.uses_flat_scratch, 0
	.set _ZN9rocsparseL41csrgemm_numeric_fill_block_per_row_kernelILj1024ELj64ELj32768ELj137ELj64Eii21rocsparse_complex_numIfEEEvT5_PKS3_S5_NS_24const_host_device_scalarIT6_EEPKT4_S5_PKS7_SB_S5_SD_S8_SB_S5_SD_SB_S5_PS7_21rocsparse_index_base_SF_SF_SF_bbb.has_dyn_sized_stack, 0
	.set _ZN9rocsparseL41csrgemm_numeric_fill_block_per_row_kernelILj1024ELj64ELj32768ELj137ELj64Eii21rocsparse_complex_numIfEEEvT5_PKS3_S5_NS_24const_host_device_scalarIT6_EEPKT4_S5_PKS7_SB_S5_SD_S8_SB_S5_SD_SB_S5_PS7_21rocsparse_index_base_SF_SF_SF_bbb.has_recursion, 0
	.set _ZN9rocsparseL41csrgemm_numeric_fill_block_per_row_kernelILj1024ELj64ELj32768ELj137ELj64Eii21rocsparse_complex_numIfEEEvT5_PKS3_S5_NS_24const_host_device_scalarIT6_EEPKT4_S5_PKS7_SB_S5_SD_S8_SB_S5_SD_SB_S5_PS7_21rocsparse_index_base_SF_SF_SF_bbb.has_indirect_call, 0
	.section	.AMDGPU.csdata,"",@progbits
; Kernel info:
; codeLenInByte = 3540
; TotalNumSgprs: 67
; NumVgprs: 22
; NumAgprs: 0
; TotalNumVgprs: 22
; ScratchSize: 0
; MemoryBound: 0
; FloatMode: 240
; IeeeMode: 1
; LDSByteSize: 0 bytes/workgroup (compile time only)
; SGPRBlocks: 8
; VGPRBlocks: 2
; NumSGPRsForWavesPerEU: 67
; NumVGPRsForWavesPerEU: 22
; AccumOffset: 24
; Occupancy: 8
; WaveLimiterHint : 1
; COMPUTE_PGM_RSRC2:SCRATCH_EN: 0
; COMPUTE_PGM_RSRC2:USER_SGPR: 2
; COMPUTE_PGM_RSRC2:TRAP_HANDLER: 0
; COMPUTE_PGM_RSRC2:TGID_X_EN: 1
; COMPUTE_PGM_RSRC2:TGID_Y_EN: 0
; COMPUTE_PGM_RSRC2:TGID_Z_EN: 0
; COMPUTE_PGM_RSRC2:TIDIG_COMP_CNT: 0
; COMPUTE_PGM_RSRC3_GFX90A:ACCUM_OFFSET: 5
; COMPUTE_PGM_RSRC3_GFX90A:TG_SPLIT: 0
	.section	.text._ZN9rocsparseL51csrgemm_numeric_fill_block_per_row_multipass_kernelILj512ELj16ELj2048ELj32Eii21rocsparse_complex_numIfEEEvT4_PKS3_S5_NS_24const_host_device_scalarIT5_EEPKT3_S5_PKS7_SB_S5_SD_S8_SB_S5_SD_SB_S5_PS7_PS9_21rocsparse_index_base_SG_SG_SG_bbb,"axG",@progbits,_ZN9rocsparseL51csrgemm_numeric_fill_block_per_row_multipass_kernelILj512ELj16ELj2048ELj32Eii21rocsparse_complex_numIfEEEvT4_PKS3_S5_NS_24const_host_device_scalarIT5_EEPKT3_S5_PKS7_SB_S5_SD_S8_SB_S5_SD_SB_S5_PS7_PS9_21rocsparse_index_base_SG_SG_SG_bbb,comdat
	.globl	_ZN9rocsparseL51csrgemm_numeric_fill_block_per_row_multipass_kernelILj512ELj16ELj2048ELj32Eii21rocsparse_complex_numIfEEEvT4_PKS3_S5_NS_24const_host_device_scalarIT5_EEPKT3_S5_PKS7_SB_S5_SD_S8_SB_S5_SD_SB_S5_PS7_PS9_21rocsparse_index_base_SG_SG_SG_bbb ; -- Begin function _ZN9rocsparseL51csrgemm_numeric_fill_block_per_row_multipass_kernelILj512ELj16ELj2048ELj32Eii21rocsparse_complex_numIfEEEvT4_PKS3_S5_NS_24const_host_device_scalarIT5_EEPKT3_S5_PKS7_SB_S5_SD_S8_SB_S5_SD_SB_S5_PS7_PS9_21rocsparse_index_base_SG_SG_SG_bbb
	.p2align	8
	.type	_ZN9rocsparseL51csrgemm_numeric_fill_block_per_row_multipass_kernelILj512ELj16ELj2048ELj32Eii21rocsparse_complex_numIfEEEvT4_PKS3_S5_NS_24const_host_device_scalarIT5_EEPKT3_S5_PKS7_SB_S5_SD_S8_SB_S5_SD_SB_S5_PS7_PS9_21rocsparse_index_base_SG_SG_SG_bbb,@function
_ZN9rocsparseL51csrgemm_numeric_fill_block_per_row_multipass_kernelILj512ELj16ELj2048ELj32Eii21rocsparse_complex_numIfEEEvT4_PKS3_S5_NS_24const_host_device_scalarIT5_EEPKT3_S5_PKS7_SB_S5_SD_S8_SB_S5_SD_SB_S5_PS7_PS9_21rocsparse_index_base_SG_SG_SG_bbb: ; @_ZN9rocsparseL51csrgemm_numeric_fill_block_per_row_multipass_kernelILj512ELj16ELj2048ELj32Eii21rocsparse_complex_numIfEEEvT4_PKS3_S5_NS_24const_host_device_scalarIT5_EEPKT3_S5_PKS7_SB_S5_SD_S8_SB_S5_SD_SB_S5_PS7_PS9_21rocsparse_index_base_SG_SG_SG_bbb
; %bb.0:
	s_load_dwordx8 s[44:51], s[0:1], 0x80
	s_load_dword s3, s[0:1], 0xa0
	s_load_dwordx2 s[12:13], s[0:1], 0x70
	s_load_dwordx4 s[68:71], s[0:1], 0x60
	s_load_dwordx8 s[52:59], s[0:1], 0x40
	s_load_dwordx4 s[8:11], s[0:1], 0x8
	s_load_dwordx8 s[60:67], s[0:1], 0x20
	s_waitcnt lgkmcnt(0)
	s_bitcmp1_b32 s3, 0
	s_cselect_b64 s[6:7], -1, 0
	s_bitcmp1_b32 s3, 16
	s_cselect_b64 s[4:5], -1, 0
	s_xor_b64 s[14:15], s[4:5], -1
	s_mov_b32 s73, 0
	s_bitcmp0_b32 s3, 0
	s_mov_b32 s33, 0
	s_cbranch_scc1 .LBB58_5
; %bb.1:
	s_load_dwordx2 s[72:73], s[0:1], 0x18
	v_cndmask_b32_e64 v1, 0, 1, s[14:15]
	v_cmp_ne_u32_e64 s[4:5], 1, v1
	s_andn2_b64 vcc, exec, s[14:15]
	s_waitcnt lgkmcnt(0)
	s_mov_b32 s33, s72
	s_cbranch_vccnz .LBB58_3
; %bb.2:
	s_load_dword s33, s[72:73], 0x0
.LBB58_3:
	s_and_b64 vcc, exec, s[4:5]
	s_cbranch_vccnz .LBB58_5
; %bb.4:
	s_load_dword s73, s[72:73], 0x4
.LBB58_5:
	s_bitcmp1_b32 s3, 8
	s_cselect_b64 s[38:39], -1, 0
	s_bfe_u32 s3, s3, 0x10008
	s_mov_b32 s72, 0
	s_cmp_eq_u32 s3, 0
	s_mov_b32 s90, 0
	s_cbranch_scc1 .LBB58_11
; %bb.6:
	v_cndmask_b32_e64 v1, 0, 1, s[14:15]
	v_cmp_ne_u32_e64 s[4:5], 1, v1
	s_andn2_b64 vcc, exec, s[14:15]
	s_mov_b32 s72, s56
	s_cbranch_vccnz .LBB58_8
; %bb.7:
	s_load_dword s72, s[56:57], 0x0
.LBB58_8:
	s_and_b64 vcc, exec, s[4:5]
	s_cbranch_vccnz .LBB58_10
; %bb.9:
	s_load_dword s57, s[56:57], 0x4
.LBB58_10:
	s_waitcnt lgkmcnt(0)
	s_mov_b32 s90, s57
.LBB58_11:
	s_load_dword s3, s[8:9], 0x0
	s_mov_b32 s57, 0
	v_cndmask_b32_e64 v1, 0, 1, s[6:7]
	s_mov_b32 s8, 0
	s_waitcnt lgkmcnt(0)
	s_add_i32 s56, s3, s2
	s_lshl_b64 s[2:3], s[56:57], 2
	s_add_u32 s2, s10, s2
	s_addc_u32 s3, s11, s3
	s_load_dword s4, s[2:3], 0x0
	v_cmp_ne_u32_e64 s[2:3], 1, v1
	s_andn2_b64 vcc, exec, s[6:7]
	s_cbranch_vccz .LBB58_14
; %bb.12:
	s_and_b64 vcc, exec, s[2:3]
	s_cbranch_vccz .LBB58_15
.LBB58_13:
	s_load_dword s56, s[0:1], 0x0
	s_waitcnt lgkmcnt(0)
	s_cmp_lt_i32 s56, 1
	s_cbranch_scc0 .LBB58_16
	s_branch .LBB58_69
.LBB58_14:
	s_waitcnt lgkmcnt(0)
	s_ashr_i32 s5, s4, 31
	s_lshl_b64 s[8:9], s[4:5], 2
	s_add_u32 s8, s60, s8
	s_addc_u32 s9, s61, s9
	s_load_dword s5, s[8:9], 0x0
	s_waitcnt lgkmcnt(0)
	s_sub_i32 s8, s5, s48
	s_and_b64 vcc, exec, s[2:3]
	s_cbranch_vccnz .LBB58_13
.LBB58_15:
	s_waitcnt lgkmcnt(0)
	s_ashr_i32 s5, s4, 31
	s_lshl_b64 s[2:3], s[4:5], 2
	s_add_u32 s2, s60, s2
	s_addc_u32 s3, s61, s3
	s_load_dword s2, s[2:3], 0x4
	s_waitcnt lgkmcnt(0)
	s_sub_i32 s57, s2, s48
	s_load_dword s56, s[0:1], 0x0
	s_waitcnt lgkmcnt(0)
	s_cmp_lt_i32 s56, 1
	s_cbranch_scc1 .LBB58_69
.LBB58_16:
	s_ashr_i32 s5, s4, 31
	s_lshl_b64 s[4:5], s[4:5], 2
	s_add_u32 s0, s12, s4
	s_addc_u32 s1, s13, s5
	s_load_dword s2, s[0:1], 0x0
	v_lshrrev_b32_e32 v1, 4, v0
	v_add_u32_e32 v13, s8, v1
	v_mbcnt_lo_u32_b32 v1, -1, 0
	v_mbcnt_hi_u32_b32 v1, -1, v1
	s_waitcnt lgkmcnt(0)
	s_sub_i32 s40, s2, s50
	v_cmp_gt_i32_e32 vcc, s57, v13
	s_add_u32 s58, s58, s4
	v_sub_u32_e32 v1, 63, v1
	s_movk_i32 s4, 0x1ff
	s_movk_i32 s10, 0x60
	;; [unrolled: 1-line block ×14, first 2 shown]
	v_and_b32_e32 v12, 15, v0
	v_cmp_eq_u32_e64 s[0:1], 0, v0
	s_addc_u32 s59, s59, s5
	v_subrev_u32_e32 v14, s51, v0
	v_mov_b32_e32 v2, 0
	v_lshrrev_b64 v[4:5], v1, -1
	v_lshrrev_b32_e32 v1, 3, v0
	v_cmp_eq_u32_e64 s[4:5], s4, v0
	s_and_b64 s[60:61], s[6:7], vcc
	v_cmp_gt_u32_e64 s[6:7], 32, v0
	v_cmp_gt_u32_e64 s[8:9], 64, v0
	;; [unrolled: 1-line block ×15, first 2 shown]
	v_or_b32_e32 v16, 0xfffffe00, v0
	v_lshlrev_b32_e32 v17, 3, v0
	v_cndmask_b32_e64 v0, 0, 1, s[38:39]
	v_cmp_eq_u32_e64 s[2:3], 15, v12
	v_and_b32_e32 v15, 60, v1
	v_mov_b32_e32 v20, 0x800
	v_mov_b32_e32 v18, s40
	;; [unrolled: 1-line block ×3, first 2 shown]
	s_movk_i32 s50, 0x5ff
	v_mov_b32_e32 v25, s56
	v_mov_b32_e32 v19, 1
	v_cmp_ne_u32_e64 s[38:39], 1, v0
	v_mov_b32_e32 v21, v2
	s_branch .LBB58_18
.LBB58_17:                              ;   in Loop: Header=BB58_18 Depth=1
	s_or_b64 exec, exec, s[40:41]
	ds_read_b32 v21, v2 offset:18432
	s_waitcnt lgkmcnt(0)
	s_barrier
	v_cmp_le_i32_e32 vcc, s56, v21
	v_add_u32_e32 v20, 0x800, v21
	s_cbranch_vccnz .LBB58_69
.LBB58_18:                              ; =>This Loop Header: Depth=1
                                        ;     Child Loop BB58_19 Depth 2
                                        ;     Child Loop BB58_25 Depth 2
                                        ;       Child Loop BB58_31 Depth 3
                                        ;     Child Loop BB58_48 Depth 2
                                        ;     Child Loop BB58_60 Depth 2
	;; [unrolled: 1-line block ×3, first 2 shown]
	s_mov_b64 s[40:41], 0
	v_mov_b32_e32 v0, v17
	v_mov_b32_e32 v1, v16
.LBB58_19:                              ;   Parent Loop BB58_18 Depth=1
                                        ; =>  This Inner Loop Header: Depth=2
	ds_write_b8 v1, v2 offset:16896
	ds_write_b64 v0, v[2:3]
	v_add_u32_e32 v1, 0x200, v1
	v_cmp_lt_u32_e32 vcc, s50, v1
	s_or_b64 s[40:41], vcc, s[40:41]
	v_add_u32_e32 v0, 0x1000, v0
	s_andn2_b64 exec, exec, s[40:41]
	s_cbranch_execnz .LBB58_19
; %bb.20:                               ;   in Loop: Header=BB58_18 Depth=1
	s_or_b64 exec, exec, s[40:41]
	s_and_saveexec_b64 s[40:41], s[0:1]
; %bb.21:                               ;   in Loop: Header=BB58_18 Depth=1
	ds_write_b32 v2, v25 offset:18432
; %bb.22:                               ;   in Loop: Header=BB58_18 Depth=1
	s_or_b64 exec, exec, s[40:41]
	v_mov_b32_e32 v22, s56
	s_waitcnt lgkmcnt(0)
	s_barrier
	s_and_saveexec_b64 s[74:75], s[60:61]
	s_cbranch_execz .LBB58_44
; %bb.23:                               ;   in Loop: Header=BB58_18 Depth=1
	s_mov_b64 s[76:77], 0
	v_cmp_ne_u32_e64 s[40:41], 0, v21
	v_mov_b32_e32 v22, s56
	v_mov_b32_e32 v0, v13
	s_branch .LBB58_25
.LBB58_24:                              ;   in Loop: Header=BB58_25 Depth=2
	s_or_b64 exec, exec, s[42:43]
	v_add_u32_e32 v0, 32, v0
	v_cmp_le_i32_e32 vcc, s57, v0
	s_or_b64 s[76:77], vcc, s[76:77]
	s_andn2_b64 exec, exec, s[76:77]
	s_cbranch_execz .LBB58_43
.LBB58_25:                              ;   Parent Loop BB58_18 Depth=1
                                        ; =>  This Loop Header: Depth=2
                                        ;       Child Loop BB58_31 Depth 3
	v_ashrrev_i32_e32 v1, 31, v0
	v_lshl_add_u64 v[6:7], v[0:1], 2, s[62:63]
	global_load_dword v10, v[6:7], off
	v_lshl_add_u64 v[6:7], v[0:1], 3, s[64:65]
	global_load_dwordx2 v[8:9], v[6:7], off
	s_and_b64 vcc, exec, s[40:41]
	v_lshl_add_u64 v[6:7], v[0:1], 2, s[46:47]
	s_waitcnt vmcnt(1)
	v_subrev_u32_e32 v10, s48, v10
	v_ashrrev_i32_e32 v11, 31, v10
	s_cbranch_vccz .LBB58_42
; %bb.26:                               ;   in Loop: Header=BB58_25 Depth=2
	global_load_dword v1, v[6:7], off
	s_cbranch_execnz .LBB58_28
.LBB58_27:                              ;   in Loop: Header=BB58_25 Depth=2
	v_lshl_add_u64 v[26:27], v[10:11], 2, s[66:67]
	global_load_dword v1, v[26:27], off
	s_waitcnt vmcnt(0)
	v_subrev_u32_e32 v1, s49, v1
.LBB58_28:                              ;   in Loop: Header=BB58_25 Depth=2
	v_lshl_add_u64 v[10:11], v[10:11], 2, s[66:67]
	global_load_dword v10, v[10:11], off offset:4
	s_waitcnt vmcnt(1)
	v_add_u32_e32 v1, v1, v12
	s_waitcnt vmcnt(0)
	v_subrev_u32_e32 v10, s49, v10
	v_cmp_lt_i32_e32 vcc, v1, v10
	s_and_saveexec_b64 s[78:79], vcc
	s_cbranch_execz .LBB58_40
; %bb.29:                               ;   in Loop: Header=BB58_25 Depth=2
	v_mul_f32_e64 v11, v9, -s73
	v_mul_f32_e32 v23, s33, v9
	v_fmac_f32_e32 v11, s33, v8
	v_fmac_f32_e32 v23, s73, v8
	s_mov_b64 s[82:83], 0
	v_mov_b32_e32 v9, v1
                                        ; implicit-def: $sgpr80_sgpr81
                                        ; implicit-def: $sgpr84_sgpr85
	s_branch .LBB58_31
.LBB58_30:                              ;   in Loop: Header=BB58_31 Depth=3
	s_or_b64 exec, exec, s[88:89]
	s_and_b64 s[42:43], exec, s[86:87]
	s_or_b64 s[82:83], s[42:43], s[82:83]
	s_andn2_b64 s[42:43], s[80:81], exec
	s_and_b64 s[80:81], s[84:85], exec
	s_or_b64 s[80:81], s[42:43], s[80:81]
	s_andn2_b64 exec, exec, s[82:83]
	s_cbranch_execz .LBB58_37
.LBB58_31:                              ;   Parent Loop BB58_18 Depth=1
                                        ;     Parent Loop BB58_25 Depth=2
                                        ; =>    This Inner Loop Header: Depth=3
	v_mov_b32_e32 v8, v9
	v_ashrrev_i32_e32 v9, 31, v8
	v_lshl_add_u64 v[26:27], v[8:9], 2, s[52:53]
	global_load_dword v24, v[26:27], off
	s_waitcnt vmcnt(0)
	v_subrev_u32_e32 v24, s49, v24
	v_cmp_lt_i32_e32 vcc, v24, v21
	v_cmp_ge_i32_e64 s[42:43], v24, v20
	s_or_b64 s[86:87], vcc, s[42:43]
	s_mov_b64 s[42:43], 0
	s_and_saveexec_b64 s[88:89], s[86:87]
	s_xor_b64 s[86:87], exec, s[88:89]
; %bb.32:                               ;   in Loop: Header=BB58_31 Depth=3
	v_cmp_lt_i32_e32 vcc, v24, v20
	s_and_b64 s[42:43], vcc, exec
; %bb.33:                               ;   in Loop: Header=BB58_31 Depth=3
	s_andn2_saveexec_b64 s[86:87], s[86:87]
	s_cbranch_execz .LBB58_35
; %bb.34:                               ;   in Loop: Header=BB58_31 Depth=3
	v_lshl_add_u64 v[26:27], v[8:9], 3, s[54:55]
	global_load_dwordx2 v[26:27], v[26:27], off
	v_sub_u32_e32 v9, v24, v21
	ds_write_b8 v9, v19 offset:16384
	v_lshlrev_b32_e32 v9, 3, v9
	s_or_b64 s[42:43], s[42:43], exec
	s_waitcnt vmcnt(0)
	v_mul_f32_e64 v28, v27, -v23
	v_mul_f32_e32 v27, v11, v27
	v_fmac_f32_e32 v28, v11, v26
	v_fmac_f32_e32 v27, v23, v26
	ds_add_f32 v9, v28
	ds_add_f32 v9, v27 offset:4
.LBB58_35:                              ;   in Loop: Header=BB58_31 Depth=3
	s_or_b64 exec, exec, s[86:87]
	s_mov_b64 s[86:87], -1
	s_or_b64 s[84:85], s[84:85], exec
                                        ; implicit-def: $vgpr9
	s_and_saveexec_b64 s[88:89], s[42:43]
	s_cbranch_execz .LBB58_30
; %bb.36:                               ;   in Loop: Header=BB58_31 Depth=3
	v_add_u32_e32 v9, 16, v8
	v_cmp_ge_i32_e32 vcc, v9, v10
	s_andn2_b64 s[84:85], s[84:85], exec
	s_orn2_b64 s[86:87], vcc, exec
	s_branch .LBB58_30
.LBB58_37:                              ;   in Loop: Header=BB58_25 Depth=2
	s_or_b64 exec, exec, s[82:83]
	s_and_saveexec_b64 s[42:43], s[80:81]
	s_xor_b64 s[42:43], exec, s[42:43]
; %bb.38:                               ;   in Loop: Header=BB58_25 Depth=2
	v_min_i32_e32 v22, v24, v22
	v_mov_b32_e32 v1, v8
; %bb.39:                               ;   in Loop: Header=BB58_25 Depth=2
	s_or_b64 exec, exec, s[42:43]
.LBB58_40:                              ;   in Loop: Header=BB58_25 Depth=2
	s_or_b64 exec, exec, s[78:79]
	v_mov_b32_dpp v8, v1 row_shr:1 row_mask:0xf bank_mask:0xf
	v_min_i32_e32 v1, v8, v1
	s_nop 1
	v_mov_b32_dpp v8, v1 row_shr:2 row_mask:0xf bank_mask:0xf
	v_min_i32_e32 v1, v8, v1
	s_nop 1
	;; [unrolled: 3-line block ×3, first 2 shown]
	v_mov_b32_dpp v8, v1 row_shr:8 row_mask:0xf bank_mask:0xc
	s_and_saveexec_b64 s[42:43], s[2:3]
	s_cbranch_execz .LBB58_24
; %bb.41:                               ;   in Loop: Header=BB58_25 Depth=2
	v_min_i32_e32 v1, v8, v1
	global_store_dword v[6:7], v1, off
	s_branch .LBB58_24
.LBB58_42:                              ;   in Loop: Header=BB58_25 Depth=2
                                        ; implicit-def: $vgpr1
	s_branch .LBB58_27
.LBB58_43:                              ;   in Loop: Header=BB58_18 Depth=1
	s_or_b64 exec, exec, s[76:77]
.LBB58_44:                              ;   in Loop: Header=BB58_18 Depth=1
	s_or_b64 exec, exec, s[74:75]
	s_and_b64 vcc, exec, s[38:39]
	s_cbranch_vccnz .LBB58_58
; %bb.45:                               ;   in Loop: Header=BB58_18 Depth=1
	s_load_dwordx2 s[40:41], s[58:59], 0x0
	s_waitcnt lgkmcnt(0)
	s_sub_i32 s84, s41, s51
	v_add_u32_e32 v0, s40, v14
	v_cmp_gt_i32_e32 vcc, s84, v0
	s_and_saveexec_b64 s[42:43], vcc
	s_cbranch_execz .LBB58_57
; %bb.46:                               ;   in Loop: Header=BB58_18 Depth=1
	s_mov_b64 s[74:75], 0
                                        ; implicit-def: $sgpr76_sgpr77
                                        ; implicit-def: $sgpr78_sgpr79
	s_branch .LBB58_48
.LBB58_47:                              ;   in Loop: Header=BB58_48 Depth=2
	s_or_b64 exec, exec, s[82:83]
	s_and_b64 s[40:41], exec, s[80:81]
	s_or_b64 s[74:75], s[40:41], s[74:75]
	s_andn2_b64 s[40:41], s[76:77], exec
	s_and_b64 s[76:77], s[78:79], exec
	s_or_b64 s[76:77], s[40:41], s[76:77]
	s_andn2_b64 exec, exec, s[74:75]
	s_cbranch_execz .LBB58_54
.LBB58_48:                              ;   Parent Loop BB58_18 Depth=1
                                        ; =>  This Inner Loop Header: Depth=2
	v_ashrrev_i32_e32 v1, 31, v0
	v_lshl_add_u64 v[6:7], v[0:1], 2, s[68:69]
	global_load_dword v6, v[6:7], off
	s_waitcnt vmcnt(0)
	v_subrev_u32_e32 v6, s51, v6
	v_cmp_lt_i32_e32 vcc, v6, v21
	v_cmp_ge_i32_e64 s[40:41], v6, v20
	s_or_b64 s[80:81], vcc, s[40:41]
	s_mov_b64 s[40:41], 0
	s_and_saveexec_b64 s[82:83], s[80:81]
	s_xor_b64 s[80:81], exec, s[82:83]
; %bb.49:                               ;   in Loop: Header=BB58_48 Depth=2
	v_cmp_lt_i32_e32 vcc, v6, v20
	s_and_b64 s[40:41], vcc, exec
; %bb.50:                               ;   in Loop: Header=BB58_48 Depth=2
	s_andn2_saveexec_b64 s[80:81], s[80:81]
	s_cbranch_execz .LBB58_52
; %bb.51:                               ;   in Loop: Header=BB58_48 Depth=2
	v_lshl_add_u64 v[8:9], v[0:1], 3, s[70:71]
	global_load_dwordx2 v[8:9], v[8:9], off
	v_sub_u32_e32 v1, v6, v21
	ds_write_b8 v1, v19 offset:16384
	v_lshlrev_b32_e32 v1, 3, v1
	s_or_b64 s[40:41], s[40:41], exec
	s_waitcnt vmcnt(0)
	v_mul_f32_e64 v7, v9, -s90
	v_mul_f32_e32 v9, s72, v9
	v_fmac_f32_e32 v7, s72, v8
	v_fmac_f32_e32 v9, s90, v8
	ds_add_f32 v1, v7
	ds_add_f32 v1, v9 offset:4
.LBB58_52:                              ;   in Loop: Header=BB58_48 Depth=2
	s_or_b64 exec, exec, s[80:81]
	s_mov_b64 s[80:81], -1
	s_or_b64 s[78:79], s[78:79], exec
	s_and_saveexec_b64 s[82:83], s[40:41]
	s_cbranch_execz .LBB58_47
; %bb.53:                               ;   in Loop: Header=BB58_48 Depth=2
	v_add_u32_e32 v0, 0x200, v0
	v_cmp_le_i32_e32 vcc, s84, v0
	s_andn2_b64 s[78:79], s[78:79], exec
	s_orn2_b64 s[80:81], vcc, exec
	s_branch .LBB58_47
.LBB58_54:                              ;   in Loop: Header=BB58_18 Depth=1
	s_or_b64 exec, exec, s[74:75]
	s_and_saveexec_b64 s[40:41], s[76:77]
	s_xor_b64 s[40:41], exec, s[40:41]
; %bb.55:                               ;   in Loop: Header=BB58_18 Depth=1
	v_min_i32_e32 v22, v6, v22
; %bb.56:                               ;   in Loop: Header=BB58_18 Depth=1
	s_or_b64 exec, exec, s[40:41]
.LBB58_57:                              ;   in Loop: Header=BB58_18 Depth=1
	s_or_b64 exec, exec, s[42:43]
.LBB58_58:                              ;   in Loop: Header=BB58_18 Depth=1
	v_mov_b32_dpp v0, v22 row_shr:1 row_mask:0xf bank_mask:0xf
	v_min_i32_e32 v0, v0, v22
	s_nop 1
	v_mov_b32_dpp v1, v0 row_shr:2 row_mask:0xf bank_mask:0xf
	v_min_i32_e32 v0, v1, v0
	s_nop 1
	;; [unrolled: 3-line block ×3, first 2 shown]
	v_mov_b32_dpp v1, v0 row_shr:8 row_mask:0xf bank_mask:0xc
	s_and_saveexec_b64 s[40:41], s[2:3]
	s_cbranch_execz .LBB58_63
; %bb.59:                               ;   in Loop: Header=BB58_18 Depth=1
	s_mov_b64 s[42:43], exec
	v_min_i32_e32 v0, v1, v0
	s_brev_b32 s74, -2
.LBB58_60:                              ;   Parent Loop BB58_18 Depth=1
                                        ; =>  This Inner Loop Header: Depth=2
	s_ff1_i32_b64 s75, s[42:43]
	v_readlane_b32 s78, v0, s75
	s_lshl_b64 s[76:77], 1, s75
	s_min_i32 s74, s74, s78
	s_andn2_b64 s[42:43], s[42:43], s[76:77]
	s_cmp_lg_u64 s[42:43], 0
	s_cbranch_scc1 .LBB58_60
; %bb.61:                               ;   in Loop: Header=BB58_18 Depth=1
	v_mbcnt_lo_u32_b32 v0, exec_lo, 0
	v_mbcnt_hi_u32_b32 v0, exec_hi, v0
	v_cmp_eq_u32_e32 vcc, 0, v0
	s_and_saveexec_b64 s[42:43], vcc
	s_xor_b64 s[42:43], exec, s[42:43]
; %bb.62:                               ;   in Loop: Header=BB58_18 Depth=1
	v_mov_b32_e32 v0, s74
	ds_min_i32 v2, v0 offset:18432
.LBB58_63:                              ;   in Loop: Header=BB58_18 Depth=1
	s_or_b64 exec, exec, s[40:41]
	s_mov_b64 s[40:41], 0
	v_mov_b32_e32 v6, v17
	v_mov_b32_e32 v7, v16
	s_waitcnt lgkmcnt(0)
	s_barrier
	s_branch .LBB58_65
.LBB58_64:                              ;   in Loop: Header=BB58_65 Depth=2
	s_or_b64 exec, exec, s[42:43]
	s_waitcnt lgkmcnt(0)
	s_barrier
	ds_read_b32 v0, v2 offset:60
	v_add_u32_e32 v7, 0x200, v7
	v_cmp_lt_u32_e32 vcc, s50, v7
	s_or_b64 s[40:41], vcc, s[40:41]
	v_add_u32_e32 v6, 0x1000, v6
	s_waitcnt lgkmcnt(0)
	v_add_u32_e32 v18, v0, v18
	s_andn2_b64 exec, exec, s[40:41]
	s_cbranch_execz .LBB58_17
.LBB58_65:                              ;   Parent Loop BB58_18 Depth=1
                                        ; =>  This Inner Loop Header: Depth=2
	ds_read_u8 v24, v7 offset:16896
	ds_read_b64 v[0:1], v6
	s_waitcnt lgkmcnt(0)
	s_barrier
	v_cmp_ne_u16_e32 vcc, 0, v24
	s_bcnt1_i32_b64 s42, vcc
	s_nop 0
	v_and_b32_e32 v8, vcc_lo, v4
	v_bcnt_u32_b32 v21, v8, 0
	v_mov_b32_e32 v8, s42
	ds_write_b32 v15, v8
	s_waitcnt lgkmcnt(0)
	s_barrier
	ds_read_b128 v[8:11], v2
	v_and_b32_e32 v20, vcc_hi, v5
	v_bcnt_u32_b32 v33, v20, v21
	ds_read_b128 v[20:23], v2 offset:16
	ds_read_b128 v[26:29], v2 offset:32
	ds_read_b96 v[30:32], v2 offset:48
	s_waitcnt lgkmcnt(3)
	v_cndmask_b32_e64 v8, v8, 0, s[6:7]
	v_add_u32_e32 v8, v8, v33
	v_cndmask_b32_e64 v9, v9, 0, s[8:9]
	v_cndmask_b32_e64 v10, v10, 0, s[10:11]
	v_add3_u32 v8, v8, v9, v10
	v_cndmask_b32_e64 v9, v11, 0, s[12:13]
	s_waitcnt lgkmcnt(2)
	v_cndmask_b32_e64 v10, v20, 0, s[14:15]
	v_add3_u32 v8, v8, v9, v10
	v_cndmask_b32_e64 v9, v21, 0, s[16:17]
	v_cndmask_b32_e64 v10, v22, 0, s[18:19]
	v_add3_u32 v8, v8, v9, v10
	v_cndmask_b32_e64 v9, v23, 0, s[20:21]
	s_waitcnt lgkmcnt(1)
	v_cndmask_b32_e64 v10, v26, 0, s[22:23]
	v_add3_u32 v8, v8, v9, v10
	;; [unrolled: 7-line block ×3, first 2 shown]
	v_cndmask_b32_e64 v9, v31, 0, s[34:35]
	v_cndmask_b32_e64 v10, v32, 0, s[36:37]
	v_add3_u32 v8, v8, v9, v10
	v_and_b32_e32 v9, 1, v24
	v_cmp_eq_u32_e32 vcc, 1, v9
	s_and_saveexec_b64 s[42:43], vcc
	s_cbranch_execz .LBB58_67
; %bb.66:                               ;   in Loop: Header=BB58_65 Depth=2
	v_add_u32_e32 v10, v8, v18
	v_ashrrev_i32_e32 v11, 31, v10
	v_lshl_add_u64 v[10:11], v[10:11], 3, s[44:45]
	global_store_dwordx2 v[10:11], v[0:1], off offset:-8
.LBB58_67:                              ;   in Loop: Header=BB58_65 Depth=2
	s_or_b64 exec, exec, s[42:43]
	s_and_saveexec_b64 s[42:43], s[4:5]
	s_cbranch_execz .LBB58_64
; %bb.68:                               ;   in Loop: Header=BB58_65 Depth=2
	ds_write_b32 v2, v8 offset:60
	s_branch .LBB58_64
.LBB58_69:
	s_endpgm
	.section	.rodata,"a",@progbits
	.p2align	6, 0x0
	.amdhsa_kernel _ZN9rocsparseL51csrgemm_numeric_fill_block_per_row_multipass_kernelILj512ELj16ELj2048ELj32Eii21rocsparse_complex_numIfEEEvT4_PKS3_S5_NS_24const_host_device_scalarIT5_EEPKT3_S5_PKS7_SB_S5_SD_S8_SB_S5_SD_SB_S5_PS7_PS9_21rocsparse_index_base_SG_SG_SG_bbb
		.amdhsa_group_segment_fixed_size 18436
		.amdhsa_private_segment_fixed_size 0
		.amdhsa_kernarg_size 164
		.amdhsa_user_sgpr_count 2
		.amdhsa_user_sgpr_dispatch_ptr 0
		.amdhsa_user_sgpr_queue_ptr 0
		.amdhsa_user_sgpr_kernarg_segment_ptr 1
		.amdhsa_user_sgpr_dispatch_id 0
		.amdhsa_user_sgpr_kernarg_preload_length 0
		.amdhsa_user_sgpr_kernarg_preload_offset 0
		.amdhsa_user_sgpr_private_segment_size 0
		.amdhsa_uses_dynamic_stack 0
		.amdhsa_enable_private_segment 0
		.amdhsa_system_sgpr_workgroup_id_x 1
		.amdhsa_system_sgpr_workgroup_id_y 0
		.amdhsa_system_sgpr_workgroup_id_z 0
		.amdhsa_system_sgpr_workgroup_info 0
		.amdhsa_system_vgpr_workitem_id 0
		.amdhsa_next_free_vgpr 34
		.amdhsa_next_free_sgpr 91
		.amdhsa_accum_offset 36
		.amdhsa_reserve_vcc 1
		.amdhsa_float_round_mode_32 0
		.amdhsa_float_round_mode_16_64 0
		.amdhsa_float_denorm_mode_32 3
		.amdhsa_float_denorm_mode_16_64 3
		.amdhsa_dx10_clamp 1
		.amdhsa_ieee_mode 1
		.amdhsa_fp16_overflow 0
		.amdhsa_tg_split 0
		.amdhsa_exception_fp_ieee_invalid_op 0
		.amdhsa_exception_fp_denorm_src 0
		.amdhsa_exception_fp_ieee_div_zero 0
		.amdhsa_exception_fp_ieee_overflow 0
		.amdhsa_exception_fp_ieee_underflow 0
		.amdhsa_exception_fp_ieee_inexact 0
		.amdhsa_exception_int_div_zero 0
	.end_amdhsa_kernel
	.section	.text._ZN9rocsparseL51csrgemm_numeric_fill_block_per_row_multipass_kernelILj512ELj16ELj2048ELj32Eii21rocsparse_complex_numIfEEEvT4_PKS3_S5_NS_24const_host_device_scalarIT5_EEPKT3_S5_PKS7_SB_S5_SD_S8_SB_S5_SD_SB_S5_PS7_PS9_21rocsparse_index_base_SG_SG_SG_bbb,"axG",@progbits,_ZN9rocsparseL51csrgemm_numeric_fill_block_per_row_multipass_kernelILj512ELj16ELj2048ELj32Eii21rocsparse_complex_numIfEEEvT4_PKS3_S5_NS_24const_host_device_scalarIT5_EEPKT3_S5_PKS7_SB_S5_SD_S8_SB_S5_SD_SB_S5_PS7_PS9_21rocsparse_index_base_SG_SG_SG_bbb,comdat
.Lfunc_end58:
	.size	_ZN9rocsparseL51csrgemm_numeric_fill_block_per_row_multipass_kernelILj512ELj16ELj2048ELj32Eii21rocsparse_complex_numIfEEEvT4_PKS3_S5_NS_24const_host_device_scalarIT5_EEPKT3_S5_PKS7_SB_S5_SD_S8_SB_S5_SD_SB_S5_PS7_PS9_21rocsparse_index_base_SG_SG_SG_bbb, .Lfunc_end58-_ZN9rocsparseL51csrgemm_numeric_fill_block_per_row_multipass_kernelILj512ELj16ELj2048ELj32Eii21rocsparse_complex_numIfEEEvT4_PKS3_S5_NS_24const_host_device_scalarIT5_EEPKT3_S5_PKS7_SB_S5_SD_S8_SB_S5_SD_SB_S5_PS7_PS9_21rocsparse_index_base_SG_SG_SG_bbb
                                        ; -- End function
	.set _ZN9rocsparseL51csrgemm_numeric_fill_block_per_row_multipass_kernelILj512ELj16ELj2048ELj32Eii21rocsparse_complex_numIfEEEvT4_PKS3_S5_NS_24const_host_device_scalarIT5_EEPKT3_S5_PKS7_SB_S5_SD_S8_SB_S5_SD_SB_S5_PS7_PS9_21rocsparse_index_base_SG_SG_SG_bbb.num_vgpr, 34
	.set _ZN9rocsparseL51csrgemm_numeric_fill_block_per_row_multipass_kernelILj512ELj16ELj2048ELj32Eii21rocsparse_complex_numIfEEEvT4_PKS3_S5_NS_24const_host_device_scalarIT5_EEPKT3_S5_PKS7_SB_S5_SD_S8_SB_S5_SD_SB_S5_PS7_PS9_21rocsparse_index_base_SG_SG_SG_bbb.num_agpr, 0
	.set _ZN9rocsparseL51csrgemm_numeric_fill_block_per_row_multipass_kernelILj512ELj16ELj2048ELj32Eii21rocsparse_complex_numIfEEEvT4_PKS3_S5_NS_24const_host_device_scalarIT5_EEPKT3_S5_PKS7_SB_S5_SD_S8_SB_S5_SD_SB_S5_PS7_PS9_21rocsparse_index_base_SG_SG_SG_bbb.numbered_sgpr, 91
	.set _ZN9rocsparseL51csrgemm_numeric_fill_block_per_row_multipass_kernelILj512ELj16ELj2048ELj32Eii21rocsparse_complex_numIfEEEvT4_PKS3_S5_NS_24const_host_device_scalarIT5_EEPKT3_S5_PKS7_SB_S5_SD_S8_SB_S5_SD_SB_S5_PS7_PS9_21rocsparse_index_base_SG_SG_SG_bbb.num_named_barrier, 0
	.set _ZN9rocsparseL51csrgemm_numeric_fill_block_per_row_multipass_kernelILj512ELj16ELj2048ELj32Eii21rocsparse_complex_numIfEEEvT4_PKS3_S5_NS_24const_host_device_scalarIT5_EEPKT3_S5_PKS7_SB_S5_SD_S8_SB_S5_SD_SB_S5_PS7_PS9_21rocsparse_index_base_SG_SG_SG_bbb.private_seg_size, 0
	.set _ZN9rocsparseL51csrgemm_numeric_fill_block_per_row_multipass_kernelILj512ELj16ELj2048ELj32Eii21rocsparse_complex_numIfEEEvT4_PKS3_S5_NS_24const_host_device_scalarIT5_EEPKT3_S5_PKS7_SB_S5_SD_S8_SB_S5_SD_SB_S5_PS7_PS9_21rocsparse_index_base_SG_SG_SG_bbb.uses_vcc, 1
	.set _ZN9rocsparseL51csrgemm_numeric_fill_block_per_row_multipass_kernelILj512ELj16ELj2048ELj32Eii21rocsparse_complex_numIfEEEvT4_PKS3_S5_NS_24const_host_device_scalarIT5_EEPKT3_S5_PKS7_SB_S5_SD_S8_SB_S5_SD_SB_S5_PS7_PS9_21rocsparse_index_base_SG_SG_SG_bbb.uses_flat_scratch, 0
	.set _ZN9rocsparseL51csrgemm_numeric_fill_block_per_row_multipass_kernelILj512ELj16ELj2048ELj32Eii21rocsparse_complex_numIfEEEvT4_PKS3_S5_NS_24const_host_device_scalarIT5_EEPKT3_S5_PKS7_SB_S5_SD_S8_SB_S5_SD_SB_S5_PS7_PS9_21rocsparse_index_base_SG_SG_SG_bbb.has_dyn_sized_stack, 0
	.set _ZN9rocsparseL51csrgemm_numeric_fill_block_per_row_multipass_kernelILj512ELj16ELj2048ELj32Eii21rocsparse_complex_numIfEEEvT4_PKS3_S5_NS_24const_host_device_scalarIT5_EEPKT3_S5_PKS7_SB_S5_SD_S8_SB_S5_SD_SB_S5_PS7_PS9_21rocsparse_index_base_SG_SG_SG_bbb.has_recursion, 0
	.set _ZN9rocsparseL51csrgemm_numeric_fill_block_per_row_multipass_kernelILj512ELj16ELj2048ELj32Eii21rocsparse_complex_numIfEEEvT4_PKS3_S5_NS_24const_host_device_scalarIT5_EEPKT3_S5_PKS7_SB_S5_SD_S8_SB_S5_SD_SB_S5_PS7_PS9_21rocsparse_index_base_SG_SG_SG_bbb.has_indirect_call, 0
	.section	.AMDGPU.csdata,"",@progbits
; Kernel info:
; codeLenInByte = 2432
; TotalNumSgprs: 97
; NumVgprs: 34
; NumAgprs: 0
; TotalNumVgprs: 34
; ScratchSize: 0
; MemoryBound: 0
; FloatMode: 240
; IeeeMode: 1
; LDSByteSize: 18436 bytes/workgroup (compile time only)
; SGPRBlocks: 12
; VGPRBlocks: 4
; NumSGPRsForWavesPerEU: 97
; NumVGPRsForWavesPerEU: 34
; AccumOffset: 36
; Occupancy: 8
; WaveLimiterHint : 1
; COMPUTE_PGM_RSRC2:SCRATCH_EN: 0
; COMPUTE_PGM_RSRC2:USER_SGPR: 2
; COMPUTE_PGM_RSRC2:TRAP_HANDLER: 0
; COMPUTE_PGM_RSRC2:TGID_X_EN: 1
; COMPUTE_PGM_RSRC2:TGID_Y_EN: 0
; COMPUTE_PGM_RSRC2:TGID_Z_EN: 0
; COMPUTE_PGM_RSRC2:TIDIG_COMP_CNT: 0
; COMPUTE_PGM_RSRC3_GFX90A:ACCUM_OFFSET: 8
; COMPUTE_PGM_RSRC3_GFX90A:TG_SPLIT: 0
	.section	.text._ZN9rocsparseL51csrgemm_numeric_fill_block_per_row_multipass_kernelILj512ELj16ELj2048ELj64Eii21rocsparse_complex_numIfEEEvT4_PKS3_S5_NS_24const_host_device_scalarIT5_EEPKT3_S5_PKS7_SB_S5_SD_S8_SB_S5_SD_SB_S5_PS7_PS9_21rocsparse_index_base_SG_SG_SG_bbb,"axG",@progbits,_ZN9rocsparseL51csrgemm_numeric_fill_block_per_row_multipass_kernelILj512ELj16ELj2048ELj64Eii21rocsparse_complex_numIfEEEvT4_PKS3_S5_NS_24const_host_device_scalarIT5_EEPKT3_S5_PKS7_SB_S5_SD_S8_SB_S5_SD_SB_S5_PS7_PS9_21rocsparse_index_base_SG_SG_SG_bbb,comdat
	.globl	_ZN9rocsparseL51csrgemm_numeric_fill_block_per_row_multipass_kernelILj512ELj16ELj2048ELj64Eii21rocsparse_complex_numIfEEEvT4_PKS3_S5_NS_24const_host_device_scalarIT5_EEPKT3_S5_PKS7_SB_S5_SD_S8_SB_S5_SD_SB_S5_PS7_PS9_21rocsparse_index_base_SG_SG_SG_bbb ; -- Begin function _ZN9rocsparseL51csrgemm_numeric_fill_block_per_row_multipass_kernelILj512ELj16ELj2048ELj64Eii21rocsparse_complex_numIfEEEvT4_PKS3_S5_NS_24const_host_device_scalarIT5_EEPKT3_S5_PKS7_SB_S5_SD_S8_SB_S5_SD_SB_S5_PS7_PS9_21rocsparse_index_base_SG_SG_SG_bbb
	.p2align	8
	.type	_ZN9rocsparseL51csrgemm_numeric_fill_block_per_row_multipass_kernelILj512ELj16ELj2048ELj64Eii21rocsparse_complex_numIfEEEvT4_PKS3_S5_NS_24const_host_device_scalarIT5_EEPKT3_S5_PKS7_SB_S5_SD_S8_SB_S5_SD_SB_S5_PS7_PS9_21rocsparse_index_base_SG_SG_SG_bbb,@function
_ZN9rocsparseL51csrgemm_numeric_fill_block_per_row_multipass_kernelILj512ELj16ELj2048ELj64Eii21rocsparse_complex_numIfEEEvT4_PKS3_S5_NS_24const_host_device_scalarIT5_EEPKT3_S5_PKS7_SB_S5_SD_S8_SB_S5_SD_SB_S5_PS7_PS9_21rocsparse_index_base_SG_SG_SG_bbb: ; @_ZN9rocsparseL51csrgemm_numeric_fill_block_per_row_multipass_kernelILj512ELj16ELj2048ELj64Eii21rocsparse_complex_numIfEEEvT4_PKS3_S5_NS_24const_host_device_scalarIT5_EEPKT3_S5_PKS7_SB_S5_SD_S8_SB_S5_SD_SB_S5_PS7_PS9_21rocsparse_index_base_SG_SG_SG_bbb
; %bb.0:
	s_load_dwordx8 s[36:43], s[0:1], 0x80
	s_load_dword s3, s[0:1], 0xa0
	s_load_dwordx2 s[12:13], s[0:1], 0x70
	s_load_dwordx4 s[52:55], s[0:1], 0x60
	s_load_dwordx8 s[44:51], s[0:1], 0x40
	s_load_dwordx4 s[8:11], s[0:1], 0x8
	s_load_dwordx8 s[24:31], s[0:1], 0x20
	s_waitcnt lgkmcnt(0)
	s_bitcmp1_b32 s3, 0
	s_cselect_b64 s[6:7], -1, 0
	s_bitcmp1_b32 s3, 16
	s_cselect_b64 s[4:5], -1, 0
	s_xor_b64 s[14:15], s[4:5], -1
	s_mov_b32 s35, 0
	s_bitcmp0_b32 s3, 0
	s_mov_b32 s33, 0
	s_cbranch_scc1 .LBB59_5
; %bb.1:
	s_load_dwordx2 s[34:35], s[0:1], 0x18
	v_cndmask_b32_e64 v1, 0, 1, s[14:15]
	v_cmp_ne_u32_e64 s[4:5], 1, v1
	s_andn2_b64 vcc, exec, s[14:15]
	s_waitcnt lgkmcnt(0)
	s_mov_b32 s33, s34
	s_cbranch_vccnz .LBB59_3
; %bb.2:
	s_load_dword s33, s[34:35], 0x0
.LBB59_3:
	s_and_b64 vcc, exec, s[4:5]
	s_cbranch_vccnz .LBB59_5
; %bb.4:
	s_load_dword s35, s[34:35], 0x4
.LBB59_5:
	s_bitcmp1_b32 s3, 8
	s_cselect_b64 s[20:21], -1, 0
	s_bfe_u32 s3, s3, 0x10008
	s_mov_b32 s34, 0
	s_cmp_eq_u32 s3, 0
	s_mov_b32 s74, 0
	s_cbranch_scc1 .LBB59_11
; %bb.6:
	v_cndmask_b32_e64 v1, 0, 1, s[14:15]
	v_cmp_ne_u32_e64 s[4:5], 1, v1
	s_andn2_b64 vcc, exec, s[14:15]
	s_mov_b32 s34, s48
	s_cbranch_vccnz .LBB59_8
; %bb.7:
	s_load_dword s34, s[48:49], 0x0
.LBB59_8:
	s_and_b64 vcc, exec, s[4:5]
	s_cbranch_vccnz .LBB59_10
; %bb.9:
	s_load_dword s49, s[48:49], 0x4
.LBB59_10:
	s_waitcnt lgkmcnt(0)
	s_mov_b32 s74, s49
.LBB59_11:
	s_load_dword s3, s[8:9], 0x0
	s_mov_b32 s49, 0
	v_cndmask_b32_e64 v1, 0, 1, s[6:7]
	s_mov_b32 s8, 0
	s_waitcnt lgkmcnt(0)
	s_add_i32 s48, s3, s2
	s_lshl_b64 s[2:3], s[48:49], 2
	s_add_u32 s2, s10, s2
	s_addc_u32 s3, s11, s3
	s_load_dword s4, s[2:3], 0x0
	v_cmp_ne_u32_e64 s[2:3], 1, v1
	s_andn2_b64 vcc, exec, s[6:7]
	s_cbranch_vccz .LBB59_14
; %bb.12:
	s_and_b64 vcc, exec, s[2:3]
	s_cbranch_vccz .LBB59_15
.LBB59_13:
	s_load_dword s48, s[0:1], 0x0
	s_waitcnt lgkmcnt(0)
	s_cmp_lt_i32 s48, 1
	s_cbranch_scc0 .LBB59_16
	s_branch .LBB59_69
.LBB59_14:
	s_waitcnt lgkmcnt(0)
	s_ashr_i32 s5, s4, 31
	s_lshl_b64 s[8:9], s[4:5], 2
	s_add_u32 s8, s24, s8
	s_addc_u32 s9, s25, s9
	s_load_dword s5, s[8:9], 0x0
	s_waitcnt lgkmcnt(0)
	s_sub_i32 s8, s5, s40
	s_and_b64 vcc, exec, s[2:3]
	s_cbranch_vccnz .LBB59_13
.LBB59_15:
	s_waitcnt lgkmcnt(0)
	s_ashr_i32 s5, s4, 31
	s_lshl_b64 s[2:3], s[4:5], 2
	s_add_u32 s2, s24, s2
	s_addc_u32 s3, s25, s3
	s_load_dword s2, s[2:3], 0x4
	s_waitcnt lgkmcnt(0)
	s_sub_i32 s49, s2, s40
	s_load_dword s48, s[0:1], 0x0
	s_waitcnt lgkmcnt(0)
	s_cmp_lt_i32 s48, 1
	s_cbranch_scc1 .LBB59_69
.LBB59_16:
	s_ashr_i32 s5, s4, 31
	s_lshl_b64 s[4:5], s[4:5], 2
	s_add_u32 s0, s12, s4
	s_addc_u32 s1, s13, s5
	s_load_dword s2, s[0:1], 0x0
	v_lshrrev_b32_e32 v1, 4, v0
	v_add_u32_e32 v13, s8, v1
	v_mbcnt_lo_u32_b32 v3, -1, 0
	v_cmp_gt_i32_e32 vcc, s49, v13
	s_waitcnt lgkmcnt(0)
	s_sub_i32 s22, s2, s42
	s_add_u32 s50, s50, s4
	v_mbcnt_hi_u32_b32 v3, -1, v3
	s_movk_i32 s4, 0x1ff
	s_movk_i32 s8, 0x80
	;; [unrolled: 1-line block ×7, first 2 shown]
	v_and_b32_e32 v12, 15, v0
	v_cmp_eq_u32_e64 s[0:1], 0, v0
	s_addc_u32 s51, s51, s5
	v_subrev_u32_e32 v14, s43, v0
	v_mov_b32_e32 v2, 0
	v_sub_u32_e32 v3, 63, v3
	v_cmp_eq_u32_e64 s[4:5], s4, v0
	s_and_b64 s[56:57], s[6:7], vcc
	v_cmp_gt_u32_e64 s[6:7], 64, v0
	v_cmp_gt_u32_e64 s[8:9], s8, v0
	;; [unrolled: 1-line block ×7, first 2 shown]
	v_or_b32_e32 v16, 0xfffffe00, v0
	v_lshlrev_b32_e32 v17, 3, v0
	v_cndmask_b32_e64 v0, 0, 1, s[20:21]
	v_cmp_eq_u32_e64 s[2:3], 15, v12
	v_lshrrev_b64 v[4:5], v3, -1
	v_and_b32_e32 v15, 28, v1
	v_mov_b32_e32 v20, 0x800
	v_mov_b32_e32 v18, s22
	;; [unrolled: 1-line block ×3, first 2 shown]
	s_movk_i32 s42, 0x5ff
	v_mov_b32_e32 v25, s48
	v_mov_b32_e32 v19, 1
	v_cmp_ne_u32_e64 s[20:21], 1, v0
	v_mov_b32_e32 v21, v2
	s_branch .LBB59_18
.LBB59_17:                              ;   in Loop: Header=BB59_18 Depth=1
	s_or_b64 exec, exec, s[22:23]
	ds_read_b32 v21, v2 offset:18432
	s_waitcnt lgkmcnt(0)
	s_barrier
	v_cmp_le_i32_e32 vcc, s48, v21
	v_add_u32_e32 v20, 0x800, v21
	s_cbranch_vccnz .LBB59_69
.LBB59_18:                              ; =>This Loop Header: Depth=1
                                        ;     Child Loop BB59_19 Depth 2
                                        ;     Child Loop BB59_25 Depth 2
                                        ;       Child Loop BB59_31 Depth 3
                                        ;     Child Loop BB59_48 Depth 2
                                        ;     Child Loop BB59_60 Depth 2
	;; [unrolled: 1-line block ×3, first 2 shown]
	s_mov_b64 s[22:23], 0
	v_mov_b32_e32 v0, v17
	v_mov_b32_e32 v1, v16
.LBB59_19:                              ;   Parent Loop BB59_18 Depth=1
                                        ; =>  This Inner Loop Header: Depth=2
	ds_write_b8 v1, v2 offset:16896
	ds_write_b64 v0, v[2:3]
	v_add_u32_e32 v1, 0x200, v1
	v_cmp_lt_u32_e32 vcc, s42, v1
	s_or_b64 s[22:23], vcc, s[22:23]
	v_add_u32_e32 v0, 0x1000, v0
	s_andn2_b64 exec, exec, s[22:23]
	s_cbranch_execnz .LBB59_19
; %bb.20:                               ;   in Loop: Header=BB59_18 Depth=1
	s_or_b64 exec, exec, s[22:23]
	s_and_saveexec_b64 s[22:23], s[0:1]
; %bb.21:                               ;   in Loop: Header=BB59_18 Depth=1
	ds_write_b32 v2, v25 offset:18432
; %bb.22:                               ;   in Loop: Header=BB59_18 Depth=1
	s_or_b64 exec, exec, s[22:23]
	v_mov_b32_e32 v22, s48
	s_waitcnt lgkmcnt(0)
	s_barrier
	s_and_saveexec_b64 s[58:59], s[56:57]
	s_cbranch_execz .LBB59_44
; %bb.23:                               ;   in Loop: Header=BB59_18 Depth=1
	s_mov_b64 s[60:61], 0
	v_cmp_ne_u32_e64 s[22:23], 0, v21
	v_mov_b32_e32 v22, s48
	v_mov_b32_e32 v0, v13
	s_branch .LBB59_25
.LBB59_24:                              ;   in Loop: Header=BB59_25 Depth=2
	s_or_b64 exec, exec, s[24:25]
	v_add_u32_e32 v0, 32, v0
	v_cmp_le_i32_e32 vcc, s49, v0
	s_or_b64 s[60:61], vcc, s[60:61]
	s_andn2_b64 exec, exec, s[60:61]
	s_cbranch_execz .LBB59_43
.LBB59_25:                              ;   Parent Loop BB59_18 Depth=1
                                        ; =>  This Loop Header: Depth=2
                                        ;       Child Loop BB59_31 Depth 3
	v_ashrrev_i32_e32 v1, 31, v0
	v_lshl_add_u64 v[6:7], v[0:1], 2, s[26:27]
	global_load_dword v10, v[6:7], off
	v_lshl_add_u64 v[6:7], v[0:1], 3, s[28:29]
	global_load_dwordx2 v[8:9], v[6:7], off
	s_and_b64 vcc, exec, s[22:23]
	v_lshl_add_u64 v[6:7], v[0:1], 2, s[38:39]
	s_waitcnt vmcnt(1)
	v_subrev_u32_e32 v10, s40, v10
	v_ashrrev_i32_e32 v11, 31, v10
	s_cbranch_vccz .LBB59_42
; %bb.26:                               ;   in Loop: Header=BB59_25 Depth=2
	global_load_dword v1, v[6:7], off
	s_cbranch_execnz .LBB59_28
.LBB59_27:                              ;   in Loop: Header=BB59_25 Depth=2
	v_lshl_add_u64 v[26:27], v[10:11], 2, s[30:31]
	global_load_dword v1, v[26:27], off
	s_waitcnt vmcnt(0)
	v_subrev_u32_e32 v1, s41, v1
.LBB59_28:                              ;   in Loop: Header=BB59_25 Depth=2
	v_lshl_add_u64 v[10:11], v[10:11], 2, s[30:31]
	global_load_dword v10, v[10:11], off offset:4
	s_waitcnt vmcnt(1)
	v_add_u32_e32 v1, v1, v12
	s_waitcnt vmcnt(0)
	v_subrev_u32_e32 v10, s41, v10
	v_cmp_lt_i32_e32 vcc, v1, v10
	s_and_saveexec_b64 s[62:63], vcc
	s_cbranch_execz .LBB59_40
; %bb.29:                               ;   in Loop: Header=BB59_25 Depth=2
	v_mul_f32_e64 v11, v9, -s35
	v_mul_f32_e32 v23, s33, v9
	v_fmac_f32_e32 v11, s33, v8
	v_fmac_f32_e32 v23, s35, v8
	s_mov_b64 s[66:67], 0
	v_mov_b32_e32 v9, v1
                                        ; implicit-def: $sgpr64_sgpr65
                                        ; implicit-def: $sgpr68_sgpr69
	s_branch .LBB59_31
.LBB59_30:                              ;   in Loop: Header=BB59_31 Depth=3
	s_or_b64 exec, exec, s[72:73]
	s_and_b64 s[24:25], exec, s[70:71]
	s_or_b64 s[66:67], s[24:25], s[66:67]
	s_andn2_b64 s[24:25], s[64:65], exec
	s_and_b64 s[64:65], s[68:69], exec
	s_or_b64 s[64:65], s[24:25], s[64:65]
	s_andn2_b64 exec, exec, s[66:67]
	s_cbranch_execz .LBB59_37
.LBB59_31:                              ;   Parent Loop BB59_18 Depth=1
                                        ;     Parent Loop BB59_25 Depth=2
                                        ; =>    This Inner Loop Header: Depth=3
	v_mov_b32_e32 v8, v9
	v_ashrrev_i32_e32 v9, 31, v8
	v_lshl_add_u64 v[26:27], v[8:9], 2, s[44:45]
	global_load_dword v24, v[26:27], off
	s_waitcnt vmcnt(0)
	v_subrev_u32_e32 v24, s41, v24
	v_cmp_lt_i32_e32 vcc, v24, v21
	v_cmp_ge_i32_e64 s[24:25], v24, v20
	s_or_b64 s[70:71], vcc, s[24:25]
	s_mov_b64 s[24:25], 0
	s_and_saveexec_b64 s[72:73], s[70:71]
	s_xor_b64 s[70:71], exec, s[72:73]
; %bb.32:                               ;   in Loop: Header=BB59_31 Depth=3
	v_cmp_lt_i32_e32 vcc, v24, v20
	s_and_b64 s[24:25], vcc, exec
; %bb.33:                               ;   in Loop: Header=BB59_31 Depth=3
	s_andn2_saveexec_b64 s[70:71], s[70:71]
	s_cbranch_execz .LBB59_35
; %bb.34:                               ;   in Loop: Header=BB59_31 Depth=3
	v_lshl_add_u64 v[26:27], v[8:9], 3, s[46:47]
	global_load_dwordx2 v[26:27], v[26:27], off
	v_sub_u32_e32 v9, v24, v21
	ds_write_b8 v9, v19 offset:16384
	v_lshlrev_b32_e32 v9, 3, v9
	s_or_b64 s[24:25], s[24:25], exec
	s_waitcnt vmcnt(0)
	v_mul_f32_e64 v28, v27, -v23
	v_mul_f32_e32 v27, v11, v27
	v_fmac_f32_e32 v28, v11, v26
	v_fmac_f32_e32 v27, v23, v26
	ds_add_f32 v9, v28
	ds_add_f32 v9, v27 offset:4
.LBB59_35:                              ;   in Loop: Header=BB59_31 Depth=3
	s_or_b64 exec, exec, s[70:71]
	s_mov_b64 s[70:71], -1
	s_or_b64 s[68:69], s[68:69], exec
                                        ; implicit-def: $vgpr9
	s_and_saveexec_b64 s[72:73], s[24:25]
	s_cbranch_execz .LBB59_30
; %bb.36:                               ;   in Loop: Header=BB59_31 Depth=3
	v_add_u32_e32 v9, 16, v8
	v_cmp_ge_i32_e32 vcc, v9, v10
	s_andn2_b64 s[68:69], s[68:69], exec
	s_orn2_b64 s[70:71], vcc, exec
	s_branch .LBB59_30
.LBB59_37:                              ;   in Loop: Header=BB59_25 Depth=2
	s_or_b64 exec, exec, s[66:67]
	s_and_saveexec_b64 s[24:25], s[64:65]
	s_xor_b64 s[24:25], exec, s[24:25]
; %bb.38:                               ;   in Loop: Header=BB59_25 Depth=2
	v_min_i32_e32 v22, v24, v22
	v_mov_b32_e32 v1, v8
; %bb.39:                               ;   in Loop: Header=BB59_25 Depth=2
	s_or_b64 exec, exec, s[24:25]
.LBB59_40:                              ;   in Loop: Header=BB59_25 Depth=2
	s_or_b64 exec, exec, s[62:63]
	v_mov_b32_dpp v8, v1 row_shr:1 row_mask:0xf bank_mask:0xf
	v_min_i32_e32 v1, v8, v1
	s_nop 1
	v_mov_b32_dpp v8, v1 row_shr:2 row_mask:0xf bank_mask:0xf
	v_min_i32_e32 v1, v8, v1
	s_nop 1
	;; [unrolled: 3-line block ×3, first 2 shown]
	v_mov_b32_dpp v8, v1 row_shr:8 row_mask:0xf bank_mask:0xc
	s_and_saveexec_b64 s[24:25], s[2:3]
	s_cbranch_execz .LBB59_24
; %bb.41:                               ;   in Loop: Header=BB59_25 Depth=2
	v_min_i32_e32 v1, v8, v1
	global_store_dword v[6:7], v1, off
	s_branch .LBB59_24
.LBB59_42:                              ;   in Loop: Header=BB59_25 Depth=2
                                        ; implicit-def: $vgpr1
	s_branch .LBB59_27
.LBB59_43:                              ;   in Loop: Header=BB59_18 Depth=1
	s_or_b64 exec, exec, s[60:61]
.LBB59_44:                              ;   in Loop: Header=BB59_18 Depth=1
	s_or_b64 exec, exec, s[58:59]
	s_and_b64 vcc, exec, s[20:21]
	s_cbranch_vccnz .LBB59_58
; %bb.45:                               ;   in Loop: Header=BB59_18 Depth=1
	s_load_dwordx2 s[22:23], s[50:51], 0x0
	s_waitcnt lgkmcnt(0)
	s_sub_i32 s68, s23, s43
	v_add_u32_e32 v0, s22, v14
	v_cmp_gt_i32_e32 vcc, s68, v0
	s_and_saveexec_b64 s[24:25], vcc
	s_cbranch_execz .LBB59_57
; %bb.46:                               ;   in Loop: Header=BB59_18 Depth=1
	s_mov_b64 s[58:59], 0
                                        ; implicit-def: $sgpr60_sgpr61
                                        ; implicit-def: $sgpr62_sgpr63
	s_branch .LBB59_48
.LBB59_47:                              ;   in Loop: Header=BB59_48 Depth=2
	s_or_b64 exec, exec, s[66:67]
	s_and_b64 s[22:23], exec, s[64:65]
	s_or_b64 s[58:59], s[22:23], s[58:59]
	s_andn2_b64 s[22:23], s[60:61], exec
	s_and_b64 s[60:61], s[62:63], exec
	s_or_b64 s[60:61], s[22:23], s[60:61]
	s_andn2_b64 exec, exec, s[58:59]
	s_cbranch_execz .LBB59_54
.LBB59_48:                              ;   Parent Loop BB59_18 Depth=1
                                        ; =>  This Inner Loop Header: Depth=2
	v_ashrrev_i32_e32 v1, 31, v0
	v_lshl_add_u64 v[6:7], v[0:1], 2, s[52:53]
	global_load_dword v6, v[6:7], off
	s_waitcnt vmcnt(0)
	v_subrev_u32_e32 v6, s43, v6
	v_cmp_lt_i32_e32 vcc, v6, v21
	v_cmp_ge_i32_e64 s[22:23], v6, v20
	s_or_b64 s[64:65], vcc, s[22:23]
	s_mov_b64 s[22:23], 0
	s_and_saveexec_b64 s[66:67], s[64:65]
	s_xor_b64 s[64:65], exec, s[66:67]
; %bb.49:                               ;   in Loop: Header=BB59_48 Depth=2
	v_cmp_lt_i32_e32 vcc, v6, v20
	s_and_b64 s[22:23], vcc, exec
; %bb.50:                               ;   in Loop: Header=BB59_48 Depth=2
	s_andn2_saveexec_b64 s[64:65], s[64:65]
	s_cbranch_execz .LBB59_52
; %bb.51:                               ;   in Loop: Header=BB59_48 Depth=2
	v_lshl_add_u64 v[8:9], v[0:1], 3, s[54:55]
	global_load_dwordx2 v[8:9], v[8:9], off
	v_sub_u32_e32 v1, v6, v21
	ds_write_b8 v1, v19 offset:16384
	v_lshlrev_b32_e32 v1, 3, v1
	s_or_b64 s[22:23], s[22:23], exec
	s_waitcnt vmcnt(0)
	v_mul_f32_e64 v7, v9, -s74
	v_mul_f32_e32 v9, s34, v9
	v_fmac_f32_e32 v7, s34, v8
	v_fmac_f32_e32 v9, s74, v8
	ds_add_f32 v1, v7
	ds_add_f32 v1, v9 offset:4
.LBB59_52:                              ;   in Loop: Header=BB59_48 Depth=2
	s_or_b64 exec, exec, s[64:65]
	s_mov_b64 s[64:65], -1
	s_or_b64 s[62:63], s[62:63], exec
	s_and_saveexec_b64 s[66:67], s[22:23]
	s_cbranch_execz .LBB59_47
; %bb.53:                               ;   in Loop: Header=BB59_48 Depth=2
	v_add_u32_e32 v0, 0x200, v0
	v_cmp_le_i32_e32 vcc, s68, v0
	s_andn2_b64 s[62:63], s[62:63], exec
	s_orn2_b64 s[64:65], vcc, exec
	s_branch .LBB59_47
.LBB59_54:                              ;   in Loop: Header=BB59_18 Depth=1
	s_or_b64 exec, exec, s[58:59]
	s_and_saveexec_b64 s[22:23], s[60:61]
	s_xor_b64 s[22:23], exec, s[22:23]
; %bb.55:                               ;   in Loop: Header=BB59_18 Depth=1
	v_min_i32_e32 v22, v6, v22
; %bb.56:                               ;   in Loop: Header=BB59_18 Depth=1
	s_or_b64 exec, exec, s[22:23]
.LBB59_57:                              ;   in Loop: Header=BB59_18 Depth=1
	s_or_b64 exec, exec, s[24:25]
.LBB59_58:                              ;   in Loop: Header=BB59_18 Depth=1
	v_mov_b32_dpp v0, v22 row_shr:1 row_mask:0xf bank_mask:0xf
	v_min_i32_e32 v0, v0, v22
	s_nop 1
	v_mov_b32_dpp v1, v0 row_shr:2 row_mask:0xf bank_mask:0xf
	v_min_i32_e32 v0, v1, v0
	s_nop 1
	;; [unrolled: 3-line block ×3, first 2 shown]
	v_mov_b32_dpp v1, v0 row_shr:8 row_mask:0xf bank_mask:0xc
	s_and_saveexec_b64 s[22:23], s[2:3]
	s_cbranch_execz .LBB59_63
; %bb.59:                               ;   in Loop: Header=BB59_18 Depth=1
	s_mov_b64 s[24:25], exec
	v_min_i32_e32 v0, v1, v0
	s_brev_b32 s58, -2
.LBB59_60:                              ;   Parent Loop BB59_18 Depth=1
                                        ; =>  This Inner Loop Header: Depth=2
	s_ff1_i32_b64 s59, s[24:25]
	v_readlane_b32 s62, v0, s59
	s_lshl_b64 s[60:61], 1, s59
	s_min_i32 s58, s58, s62
	s_andn2_b64 s[24:25], s[24:25], s[60:61]
	s_cmp_lg_u64 s[24:25], 0
	s_cbranch_scc1 .LBB59_60
; %bb.61:                               ;   in Loop: Header=BB59_18 Depth=1
	v_mbcnt_lo_u32_b32 v0, exec_lo, 0
	v_mbcnt_hi_u32_b32 v0, exec_hi, v0
	v_cmp_eq_u32_e32 vcc, 0, v0
	s_and_saveexec_b64 s[24:25], vcc
	s_xor_b64 s[24:25], exec, s[24:25]
; %bb.62:                               ;   in Loop: Header=BB59_18 Depth=1
	v_mov_b32_e32 v0, s58
	ds_min_i32 v2, v0 offset:18432
.LBB59_63:                              ;   in Loop: Header=BB59_18 Depth=1
	s_or_b64 exec, exec, s[22:23]
	s_mov_b64 s[22:23], 0
	v_mov_b32_e32 v6, v17
	v_mov_b32_e32 v7, v16
	s_waitcnt lgkmcnt(0)
	s_barrier
	s_branch .LBB59_65
.LBB59_64:                              ;   in Loop: Header=BB59_65 Depth=2
	s_or_b64 exec, exec, s[24:25]
	s_waitcnt lgkmcnt(0)
	s_barrier
	ds_read_b32 v0, v2 offset:28
	v_add_u32_e32 v7, 0x200, v7
	v_cmp_lt_u32_e32 vcc, s42, v7
	s_or_b64 s[22:23], vcc, s[22:23]
	v_add_u32_e32 v6, 0x1000, v6
	s_waitcnt lgkmcnt(0)
	v_add_u32_e32 v18, v0, v18
	s_andn2_b64 exec, exec, s[22:23]
	s_cbranch_execz .LBB59_17
.LBB59_65:                              ;   Parent Loop BB59_18 Depth=1
                                        ; =>  This Inner Loop Header: Depth=2
	ds_read_u8 v23, v7 offset:16896
	ds_read_b64 v[0:1], v6
	s_waitcnt lgkmcnt(0)
	s_barrier
	v_cmp_ne_u16_e32 vcc, 0, v23
	s_bcnt1_i32_b64 s24, vcc
	v_mov_b32_e32 v8, s24
	ds_write_b32 v15, v8
	s_waitcnt lgkmcnt(0)
	s_barrier
	ds_read_b128 v[8:11], v2
	v_and_b32_e32 v21, vcc_lo, v4
	v_and_b32_e32 v20, vcc_hi, v5
	v_bcnt_u32_b32 v21, v21, 0
	v_bcnt_u32_b32 v24, v20, v21
	ds_read_b96 v[20:22], v2 offset:16
	s_waitcnt lgkmcnt(1)
	v_cndmask_b32_e64 v8, v8, 0, s[6:7]
	v_add_u32_e32 v8, v8, v24
	v_cndmask_b32_e64 v9, v9, 0, s[8:9]
	v_cndmask_b32_e64 v10, v10, 0, s[10:11]
	v_add3_u32 v8, v8, v9, v10
	v_cndmask_b32_e64 v9, v11, 0, s[12:13]
	s_waitcnt lgkmcnt(0)
	v_cndmask_b32_e64 v10, v20, 0, s[14:15]
	v_add3_u32 v8, v8, v9, v10
	v_cndmask_b32_e64 v9, v21, 0, s[16:17]
	v_cndmask_b32_e64 v10, v22, 0, s[18:19]
	v_add3_u32 v8, v8, v9, v10
	v_and_b32_e32 v9, 1, v23
	v_cmp_eq_u32_e32 vcc, 1, v9
	s_and_saveexec_b64 s[24:25], vcc
	s_cbranch_execz .LBB59_67
; %bb.66:                               ;   in Loop: Header=BB59_65 Depth=2
	v_add_u32_e32 v10, v8, v18
	v_ashrrev_i32_e32 v11, 31, v10
	v_lshl_add_u64 v[10:11], v[10:11], 3, s[36:37]
	global_store_dwordx2 v[10:11], v[0:1], off offset:-8
.LBB59_67:                              ;   in Loop: Header=BB59_65 Depth=2
	s_or_b64 exec, exec, s[24:25]
	s_and_saveexec_b64 s[24:25], s[4:5]
	s_cbranch_execz .LBB59_64
; %bb.68:                               ;   in Loop: Header=BB59_65 Depth=2
	ds_write_b32 v2, v8 offset:28
	s_branch .LBB59_64
.LBB59_69:
	s_endpgm
	.section	.rodata,"a",@progbits
	.p2align	6, 0x0
	.amdhsa_kernel _ZN9rocsparseL51csrgemm_numeric_fill_block_per_row_multipass_kernelILj512ELj16ELj2048ELj64Eii21rocsparse_complex_numIfEEEvT4_PKS3_S5_NS_24const_host_device_scalarIT5_EEPKT3_S5_PKS7_SB_S5_SD_S8_SB_S5_SD_SB_S5_PS7_PS9_21rocsparse_index_base_SG_SG_SG_bbb
		.amdhsa_group_segment_fixed_size 18436
		.amdhsa_private_segment_fixed_size 0
		.amdhsa_kernarg_size 164
		.amdhsa_user_sgpr_count 2
		.amdhsa_user_sgpr_dispatch_ptr 0
		.amdhsa_user_sgpr_queue_ptr 0
		.amdhsa_user_sgpr_kernarg_segment_ptr 1
		.amdhsa_user_sgpr_dispatch_id 0
		.amdhsa_user_sgpr_kernarg_preload_length 0
		.amdhsa_user_sgpr_kernarg_preload_offset 0
		.amdhsa_user_sgpr_private_segment_size 0
		.amdhsa_uses_dynamic_stack 0
		.amdhsa_enable_private_segment 0
		.amdhsa_system_sgpr_workgroup_id_x 1
		.amdhsa_system_sgpr_workgroup_id_y 0
		.amdhsa_system_sgpr_workgroup_id_z 0
		.amdhsa_system_sgpr_workgroup_info 0
		.amdhsa_system_vgpr_workitem_id 0
		.amdhsa_next_free_vgpr 29
		.amdhsa_next_free_sgpr 75
		.amdhsa_accum_offset 32
		.amdhsa_reserve_vcc 1
		.amdhsa_float_round_mode_32 0
		.amdhsa_float_round_mode_16_64 0
		.amdhsa_float_denorm_mode_32 3
		.amdhsa_float_denorm_mode_16_64 3
		.amdhsa_dx10_clamp 1
		.amdhsa_ieee_mode 1
		.amdhsa_fp16_overflow 0
		.amdhsa_tg_split 0
		.amdhsa_exception_fp_ieee_invalid_op 0
		.amdhsa_exception_fp_denorm_src 0
		.amdhsa_exception_fp_ieee_div_zero 0
		.amdhsa_exception_fp_ieee_overflow 0
		.amdhsa_exception_fp_ieee_underflow 0
		.amdhsa_exception_fp_ieee_inexact 0
		.amdhsa_exception_int_div_zero 0
	.end_amdhsa_kernel
	.section	.text._ZN9rocsparseL51csrgemm_numeric_fill_block_per_row_multipass_kernelILj512ELj16ELj2048ELj64Eii21rocsparse_complex_numIfEEEvT4_PKS3_S5_NS_24const_host_device_scalarIT5_EEPKT3_S5_PKS7_SB_S5_SD_S8_SB_S5_SD_SB_S5_PS7_PS9_21rocsparse_index_base_SG_SG_SG_bbb,"axG",@progbits,_ZN9rocsparseL51csrgemm_numeric_fill_block_per_row_multipass_kernelILj512ELj16ELj2048ELj64Eii21rocsparse_complex_numIfEEEvT4_PKS3_S5_NS_24const_host_device_scalarIT5_EEPKT3_S5_PKS7_SB_S5_SD_S8_SB_S5_SD_SB_S5_PS7_PS9_21rocsparse_index_base_SG_SG_SG_bbb,comdat
.Lfunc_end59:
	.size	_ZN9rocsparseL51csrgemm_numeric_fill_block_per_row_multipass_kernelILj512ELj16ELj2048ELj64Eii21rocsparse_complex_numIfEEEvT4_PKS3_S5_NS_24const_host_device_scalarIT5_EEPKT3_S5_PKS7_SB_S5_SD_S8_SB_S5_SD_SB_S5_PS7_PS9_21rocsparse_index_base_SG_SG_SG_bbb, .Lfunc_end59-_ZN9rocsparseL51csrgemm_numeric_fill_block_per_row_multipass_kernelILj512ELj16ELj2048ELj64Eii21rocsparse_complex_numIfEEEvT4_PKS3_S5_NS_24const_host_device_scalarIT5_EEPKT3_S5_PKS7_SB_S5_SD_S8_SB_S5_SD_SB_S5_PS7_PS9_21rocsparse_index_base_SG_SG_SG_bbb
                                        ; -- End function
	.set _ZN9rocsparseL51csrgemm_numeric_fill_block_per_row_multipass_kernelILj512ELj16ELj2048ELj64Eii21rocsparse_complex_numIfEEEvT4_PKS3_S5_NS_24const_host_device_scalarIT5_EEPKT3_S5_PKS7_SB_S5_SD_S8_SB_S5_SD_SB_S5_PS7_PS9_21rocsparse_index_base_SG_SG_SG_bbb.num_vgpr, 29
	.set _ZN9rocsparseL51csrgemm_numeric_fill_block_per_row_multipass_kernelILj512ELj16ELj2048ELj64Eii21rocsparse_complex_numIfEEEvT4_PKS3_S5_NS_24const_host_device_scalarIT5_EEPKT3_S5_PKS7_SB_S5_SD_S8_SB_S5_SD_SB_S5_PS7_PS9_21rocsparse_index_base_SG_SG_SG_bbb.num_agpr, 0
	.set _ZN9rocsparseL51csrgemm_numeric_fill_block_per_row_multipass_kernelILj512ELj16ELj2048ELj64Eii21rocsparse_complex_numIfEEEvT4_PKS3_S5_NS_24const_host_device_scalarIT5_EEPKT3_S5_PKS7_SB_S5_SD_S8_SB_S5_SD_SB_S5_PS7_PS9_21rocsparse_index_base_SG_SG_SG_bbb.numbered_sgpr, 75
	.set _ZN9rocsparseL51csrgemm_numeric_fill_block_per_row_multipass_kernelILj512ELj16ELj2048ELj64Eii21rocsparse_complex_numIfEEEvT4_PKS3_S5_NS_24const_host_device_scalarIT5_EEPKT3_S5_PKS7_SB_S5_SD_S8_SB_S5_SD_SB_S5_PS7_PS9_21rocsparse_index_base_SG_SG_SG_bbb.num_named_barrier, 0
	.set _ZN9rocsparseL51csrgemm_numeric_fill_block_per_row_multipass_kernelILj512ELj16ELj2048ELj64Eii21rocsparse_complex_numIfEEEvT4_PKS3_S5_NS_24const_host_device_scalarIT5_EEPKT3_S5_PKS7_SB_S5_SD_S8_SB_S5_SD_SB_S5_PS7_PS9_21rocsparse_index_base_SG_SG_SG_bbb.private_seg_size, 0
	.set _ZN9rocsparseL51csrgemm_numeric_fill_block_per_row_multipass_kernelILj512ELj16ELj2048ELj64Eii21rocsparse_complex_numIfEEEvT4_PKS3_S5_NS_24const_host_device_scalarIT5_EEPKT3_S5_PKS7_SB_S5_SD_S8_SB_S5_SD_SB_S5_PS7_PS9_21rocsparse_index_base_SG_SG_SG_bbb.uses_vcc, 1
	.set _ZN9rocsparseL51csrgemm_numeric_fill_block_per_row_multipass_kernelILj512ELj16ELj2048ELj64Eii21rocsparse_complex_numIfEEEvT4_PKS3_S5_NS_24const_host_device_scalarIT5_EEPKT3_S5_PKS7_SB_S5_SD_S8_SB_S5_SD_SB_S5_PS7_PS9_21rocsparse_index_base_SG_SG_SG_bbb.uses_flat_scratch, 0
	.set _ZN9rocsparseL51csrgemm_numeric_fill_block_per_row_multipass_kernelILj512ELj16ELj2048ELj64Eii21rocsparse_complex_numIfEEEvT4_PKS3_S5_NS_24const_host_device_scalarIT5_EEPKT3_S5_PKS7_SB_S5_SD_S8_SB_S5_SD_SB_S5_PS7_PS9_21rocsparse_index_base_SG_SG_SG_bbb.has_dyn_sized_stack, 0
	.set _ZN9rocsparseL51csrgemm_numeric_fill_block_per_row_multipass_kernelILj512ELj16ELj2048ELj64Eii21rocsparse_complex_numIfEEEvT4_PKS3_S5_NS_24const_host_device_scalarIT5_EEPKT3_S5_PKS7_SB_S5_SD_S8_SB_S5_SD_SB_S5_PS7_PS9_21rocsparse_index_base_SG_SG_SG_bbb.has_recursion, 0
	.set _ZN9rocsparseL51csrgemm_numeric_fill_block_per_row_multipass_kernelILj512ELj16ELj2048ELj64Eii21rocsparse_complex_numIfEEEvT4_PKS3_S5_NS_24const_host_device_scalarIT5_EEPKT3_S5_PKS7_SB_S5_SD_S8_SB_S5_SD_SB_S5_PS7_PS9_21rocsparse_index_base_SG_SG_SG_bbb.has_indirect_call, 0
	.section	.AMDGPU.csdata,"",@progbits
; Kernel info:
; codeLenInByte = 2212
; TotalNumSgprs: 81
; NumVgprs: 29
; NumAgprs: 0
; TotalNumVgprs: 29
; ScratchSize: 0
; MemoryBound: 0
; FloatMode: 240
; IeeeMode: 1
; LDSByteSize: 18436 bytes/workgroup (compile time only)
; SGPRBlocks: 10
; VGPRBlocks: 3
; NumSGPRsForWavesPerEU: 81
; NumVGPRsForWavesPerEU: 29
; AccumOffset: 32
; Occupancy: 8
; WaveLimiterHint : 1
; COMPUTE_PGM_RSRC2:SCRATCH_EN: 0
; COMPUTE_PGM_RSRC2:USER_SGPR: 2
; COMPUTE_PGM_RSRC2:TRAP_HANDLER: 0
; COMPUTE_PGM_RSRC2:TGID_X_EN: 1
; COMPUTE_PGM_RSRC2:TGID_Y_EN: 0
; COMPUTE_PGM_RSRC2:TGID_Z_EN: 0
; COMPUTE_PGM_RSRC2:TIDIG_COMP_CNT: 0
; COMPUTE_PGM_RSRC3_GFX90A:ACCUM_OFFSET: 7
; COMPUTE_PGM_RSRC3_GFX90A:TG_SPLIT: 0
	.section	.text._ZN9rocsparseL38csrgemm_numeric_fill_wf_per_row_kernelILj256ELj8ELj16ELj137Eii21rocsparse_complex_numIdEEEvT4_S3_PKS3_S5_NS_24const_host_device_scalarIT5_EEPKT3_S5_PKS7_SB_S5_SD_S8_SB_S5_SD_SB_S5_PS7_21rocsparse_index_base_SF_SF_SF_bbb,"axG",@progbits,_ZN9rocsparseL38csrgemm_numeric_fill_wf_per_row_kernelILj256ELj8ELj16ELj137Eii21rocsparse_complex_numIdEEEvT4_S3_PKS3_S5_NS_24const_host_device_scalarIT5_EEPKT3_S5_PKS7_SB_S5_SD_S8_SB_S5_SD_SB_S5_PS7_21rocsparse_index_base_SF_SF_SF_bbb,comdat
	.globl	_ZN9rocsparseL38csrgemm_numeric_fill_wf_per_row_kernelILj256ELj8ELj16ELj137Eii21rocsparse_complex_numIdEEEvT4_S3_PKS3_S5_NS_24const_host_device_scalarIT5_EEPKT3_S5_PKS7_SB_S5_SD_S8_SB_S5_SD_SB_S5_PS7_21rocsparse_index_base_SF_SF_SF_bbb ; -- Begin function _ZN9rocsparseL38csrgemm_numeric_fill_wf_per_row_kernelILj256ELj8ELj16ELj137Eii21rocsparse_complex_numIdEEEvT4_S3_PKS3_S5_NS_24const_host_device_scalarIT5_EEPKT3_S5_PKS7_SB_S5_SD_S8_SB_S5_SD_SB_S5_PS7_21rocsparse_index_base_SF_SF_SF_bbb
	.p2align	8
	.type	_ZN9rocsparseL38csrgemm_numeric_fill_wf_per_row_kernelILj256ELj8ELj16ELj137Eii21rocsparse_complex_numIdEEEvT4_S3_PKS3_S5_NS_24const_host_device_scalarIT5_EEPKT3_S5_PKS7_SB_S5_SD_S8_SB_S5_SD_SB_S5_PS7_21rocsparse_index_base_SF_SF_SF_bbb,@function
_ZN9rocsparseL38csrgemm_numeric_fill_wf_per_row_kernelILj256ELj8ELj16ELj137Eii21rocsparse_complex_numIdEEEvT4_S3_PKS3_S5_NS_24const_host_device_scalarIT5_EEPKT3_S5_PKS7_SB_S5_SD_S8_SB_S5_SD_SB_S5_PS7_21rocsparse_index_base_SF_SF_SF_bbb: ; @_ZN9rocsparseL38csrgemm_numeric_fill_wf_per_row_kernelILj256ELj8ELj16ELj137Eii21rocsparse_complex_numIdEEEvT4_S3_PKS3_S5_NS_24const_host_device_scalarIT5_EEPKT3_S5_PKS7_SB_S5_SD_S8_SB_S5_SD_SB_S5_PS7_21rocsparse_index_base_SF_SF_SF_bbb
; %bb.0:
	s_load_dword s3, s[0:1], 0xa8
	s_load_dwordx4 s[24:27], s[0:1], 0x98
	s_load_dwordx4 s[8:11], s[0:1], 0x18
	s_load_dwordx4 s[40:43], s[0:1], 0x58
	v_mov_b64_e32 v[4:5], 0
	s_waitcnt lgkmcnt(0)
	s_bitcmp1_b32 s3, 0
	s_cselect_b64 s[44:45], -1, 0
	s_bitcmp1_b32 s3, 16
	s_cselect_b64 s[46:47], -1, 0
	s_xor_b64 s[4:5], s[46:47], -1
	v_mov_b64_e32 v[2:3], s[8:9]
	v_cndmask_b32_e64 v1, 0, 1, s[4:5]
	scratch_store_dwordx2 off, v[2:3], off
	v_mov_b64_e32 v[2:3], s[40:41]
	s_bitcmp0_b32 s3, 0
	v_cmp_ne_u32_e64 s[4:5], 1, v1
	v_mov_b64_e32 v[10:11], 0
	v_mov_b64_e32 v[12:13], 0
	scratch_store_dwordx2 off, v[2:3], off offset:8
	s_cbranch_scc1 .LBB60_3
; %bb.1:
	s_mov_b64 s[6:7], src_private_base
	s_and_b64 s[12:13], s[46:47], exec
	s_cselect_b32 s6, s7, s9
	s_cselect_b32 s7, 0, s8
	v_mov_b32_e32 v2, s7
	v_mov_b32_e32 v3, s6
	flat_load_dwordx2 v[10:11], v[2:3]
	s_and_b64 vcc, exec, s[4:5]
	v_mov_b64_e32 v[12:13], s[10:11]
	s_cbranch_vccnz .LBB60_3
; %bb.2:
	v_mov_b64_e32 v[2:3], s[8:9]
	flat_load_dwordx2 v[12:13], v[2:3] offset:8
.LBB60_3:
	s_load_dwordx2 s[6:7], s[0:1], 0x90
	s_load_dwordx8 s[8:15], s[0:1], 0x68
	s_load_dwordx4 s[28:31], s[0:1], 0x48
	s_load_dwordx4 s[36:39], s[0:1], 0x8
	s_load_dwordx8 s[16:23], s[0:1], 0x28
	s_bitcmp1_b32 s3, 8
	s_cselect_b64 s[34:35], -1, 0
	s_bfe_u32 s3, s3, 0x10008
	s_cmp_eq_u32 s3, 0
	v_mov_b64_e32 v[6:7], 0
	s_cbranch_scc1 .LBB60_6
; %bb.4:
	s_mov_b64 s[48:49], src_private_base
	s_and_b64 s[46:47], s[46:47], exec
	s_cselect_b32 s3, s49, s41
	s_cselect_b32 s33, 8, s40
	v_mov_b32_e32 v2, s33
	v_mov_b32_e32 v3, s3
	flat_load_dwordx2 v[6:7], v[2:3]
	s_and_b64 vcc, exec, s[4:5]
	v_mov_b64_e32 v[4:5], s[42:43]
	s_cbranch_vccnz .LBB60_6
; %bb.5:
	v_mov_b64_e32 v[2:3], s[40:41]
	flat_load_dwordx2 v[4:5], v[2:3] offset:8
.LBB60_6:
	s_load_dwordx2 s[0:1], s[0:1], 0x0
	v_and_b32_e32 v27, 7, v0
	v_lshrrev_b32_e32 v0, 3, v0
	v_lshlrev_b32_e32 v1, 4, v27
	v_lshl_or_b32 v23, v0, 8, v1
	v_lshlrev_b32_e32 v1, 6, v0
	v_lshlrev_b32_e32 v2, 2, v27
	s_movk_i32 s3, 0x2000
	v_or_b32_e32 v22, -8, v27
	v_or3_b32 v24, v1, v2, s3
	v_mov_b32_e32 v14, 0
	s_mov_b64 s[4:5], 0
	s_waitcnt lgkmcnt(0)
	v_mov_b32_e32 v8, s1
	v_mov_b32_e32 v15, v14
	;; [unrolled: 1-line block ×7, first 2 shown]
.LBB60_7:                               ; =>This Inner Loop Header: Depth=1
	v_add_co_u32_e32 v3, vcc, 8, v3
	s_xor_b64 s[40:41], vcc, -1
	s_and_b64 s[40:41], exec, s[40:41]
	ds_write_b32 v1, v8
	ds_write_b128 v2, v[14:17]
	v_add_u32_e32 v2, 0x80, v2
	s_or_b64 s[4:5], s[40:41], s[4:5]
	v_add_u32_e32 v1, 32, v1
	s_andn2_b64 exec, exec, s[4:5]
	s_cbranch_execnz .LBB60_7
; %bb.8:
	s_or_b64 exec, exec, s[4:5]
	s_lshl_b32 s2, s2, 5
	s_and_b32 s2, s2, 0x1fffffe0
	v_or_b32_e32 v8, s2, v0
	v_cmp_gt_i32_e32 vcc, s0, v8
	s_waitcnt lgkmcnt(0)
	s_and_saveexec_b64 s[2:3], vcc
	s_cbranch_execz .LBB60_48
; %bb.9:
	s_cmp_eq_u64 s[38:39], 0
	s_cbranch_scc1 .LBB60_11
; %bb.10:
	s_load_dword s0, s[36:37], 0x0
	s_waitcnt lgkmcnt(0)
	v_add_u32_e32 v2, s0, v8
	v_ashrrev_i32_e32 v3, 31, v2
	v_lshl_add_u64 v[2:3], v[2:3], 2, s[38:39]
	global_load_dword v8, v[2:3], off
.LBB60_11:
	v_mov_b32_e32 v1, 0x2000
	v_lshl_or_b32 v25, v0, 6, v1
	v_lshlrev_b32_e32 v26, 8, v0
	s_andn2_b64 vcc, exec, s[44:45]
	s_waitcnt vmcnt(0)
	v_ashrrev_i32_e32 v9, 31, v8
	s_cbranch_vccnz .LBB60_29
; %bb.12:
	v_lshl_add_u64 v[0:1], v[8:9], 2, s[16:17]
	global_load_dwordx2 v[0:1], v[0:1], off
	v_subrev_u32_e32 v2, s24, v27
	s_waitcnt vmcnt(0)
	v_subrev_u32_e32 v28, s24, v1
	v_add_u32_e32 v14, v0, v2
	v_cmp_lt_i32_e32 vcc, v14, v28
	s_and_saveexec_b64 s[2:3], vcc
	s_cbranch_execz .LBB60_28
; %bb.13:
	s_mov_b64 s[4:5], 0
	s_branch .LBB60_15
.LBB60_14:                              ;   in Loop: Header=BB60_15 Depth=1
	s_or_b64 exec, exec, s[16:17]
	v_add_u32_e32 v14, 8, v14
	v_cmp_ge_i32_e32 vcc, v14, v28
	s_or_b64 s[4:5], vcc, s[4:5]
	s_andn2_b64 exec, exec, s[4:5]
	s_cbranch_execz .LBB60_28
.LBB60_15:                              ; =>This Loop Header: Depth=1
                                        ;     Child Loop BB60_19 Depth 2
                                        ;       Child Loop BB60_22 Depth 3
	v_ashrrev_i32_e32 v15, 31, v14
	v_lshl_add_u64 v[0:1], v[14:15], 2, s[18:19]
	global_load_dword v0, v[0:1], off
	s_waitcnt vmcnt(0)
	v_subrev_u32_e32 v0, s24, v0
	v_ashrrev_i32_e32 v1, 31, v0
	v_lshl_add_u64 v[0:1], v[0:1], 2, s[22:23]
	global_load_dwordx2 v[0:1], v[0:1], off
	s_waitcnt vmcnt(0)
	v_cmp_lt_i32_e32 vcc, v0, v1
	s_and_saveexec_b64 s[16:17], vcc
	s_cbranch_execz .LBB60_14
; %bb.16:                               ;   in Loop: Header=BB60_15 Depth=1
	v_lshl_add_u64 v[2:3], v[14:15], 4, s[20:21]
	global_load_dwordx4 v[30:33], v[2:3], off
	v_subrev_u32_e32 v15, s25, v1
	v_subrev_u32_e32 v16, s25, v0
	s_mov_b64 s[36:37], 0
	s_waitcnt vmcnt(0)
	v_mul_f64 v[18:19], v[32:33], -v[12:13]
	v_mul_f64 v[20:21], v[10:11], v[32:33]
	v_fmac_f64_e32 v[18:19], v[10:11], v[30:31]
	v_fmac_f64_e32 v[20:21], v[12:13], v[30:31]
	s_branch .LBB60_19
.LBB60_17:                              ;   in Loop: Header=BB60_19 Depth=2
	s_or_b64 exec, exec, s[40:41]
.LBB60_18:                              ;   in Loop: Header=BB60_19 Depth=2
	s_or_b64 exec, exec, s[38:39]
	s_waitcnt vmcnt(0)
	v_mul_f64 v[30:31], v[2:3], -v[20:21]
	v_mul_f64 v[2:3], v[18:19], v[2:3]
	v_fmac_f64_e32 v[30:31], v[18:19], v[0:1]
	v_fmac_f64_e32 v[2:3], v[20:21], v[0:1]
	v_lshl_add_u32 v0, v17, 4, v26
	ds_add_f64 v0, v[30:31]
	ds_add_f64 v0, v[2:3] offset:8
	v_add_u32_e32 v16, 1, v16
	v_cmp_ge_i32_e32 vcc, v16, v15
	s_or_b64 s[36:37], vcc, s[36:37]
	s_andn2_b64 exec, exec, s[36:37]
	s_cbranch_execz .LBB60_14
.LBB60_19:                              ;   Parent Loop BB60_15 Depth=1
                                        ; =>  This Loop Header: Depth=2
                                        ;       Child Loop BB60_22 Depth 3
	v_ashrrev_i32_e32 v17, 31, v16
	v_lshl_add_u64 v[0:1], v[16:17], 2, s[28:29]
	global_load_dword v29, v[0:1], off
	v_lshl_add_u64 v[0:1], v[16:17], 4, s[30:31]
	global_load_dwordx4 v[0:3], v[0:1], off
	s_waitcnt vmcnt(1)
	v_subrev_u32_e32 v29, s25, v29
	v_lshl_add_u32 v17, v29, 3, v29
	v_and_b32_e32 v17, 15, v17
	v_lshl_add_u32 v30, v17, 2, v25
	ds_read_b32 v31, v30
	s_waitcnt lgkmcnt(0)
	v_cmp_ne_u32_e32 vcc, v31, v29
	s_and_saveexec_b64 s[38:39], vcc
	s_cbranch_execz .LBB60_18
; %bb.20:                               ;   in Loop: Header=BB60_19 Depth=2
	s_mov_b64 s[40:41], 0
	s_branch .LBB60_22
.LBB60_21:                              ;   in Loop: Header=BB60_22 Depth=3
	s_or_b64 exec, exec, s[46:47]
	s_and_b64 s[42:43], exec, s[44:45]
	s_or_b64 s[40:41], s[42:43], s[40:41]
	s_andn2_b64 exec, exec, s[40:41]
	s_cbranch_execz .LBB60_17
.LBB60_22:                              ;   Parent Loop BB60_15 Depth=1
                                        ;     Parent Loop BB60_19 Depth=2
                                        ; =>    This Inner Loop Header: Depth=3
	v_cmp_ne_u32_e32 vcc, s1, v31
	s_mov_b64 s[42:43], 0
	s_and_saveexec_b64 s[44:45], vcc
	s_xor_b64 s[44:45], exec, s[44:45]
	s_cbranch_execz .LBB60_24
; %bb.23:                               ;   in Loop: Header=BB60_22 Depth=3
	v_add_u32_e32 v17, 1, v17
	s_mov_b64 s[42:43], exec
	v_and_b32_e32 v17, 15, v17
                                        ; implicit-def: $vgpr30
	s_andn2_saveexec_b64 s[44:45], s[44:45]
	s_cbranch_execz .LBB60_26
	s_branch .LBB60_25
.LBB60_24:                              ;   in Loop: Header=BB60_22 Depth=3
	s_andn2_saveexec_b64 s[44:45], s[44:45]
	s_cbranch_execz .LBB60_26
.LBB60_25:                              ;   in Loop: Header=BB60_22 Depth=3
	v_mov_b32_e32 v31, s1
	ds_cmpst_rtn_b32 v30, v30, v31, v29
	s_andn2_b64 s[42:43], s[42:43], exec
	s_waitcnt lgkmcnt(0)
	v_cmp_ne_u32_e32 vcc, s1, v30
	s_and_b64 s[46:47], vcc, exec
	s_or_b64 s[42:43], s[42:43], s[46:47]
.LBB60_26:                              ;   in Loop: Header=BB60_22 Depth=3
	s_or_b64 exec, exec, s[44:45]
	s_mov_b64 s[44:45], -1
                                        ; implicit-def: $vgpr30
                                        ; implicit-def: $vgpr31
	s_and_saveexec_b64 s[46:47], s[42:43]
	s_cbranch_execz .LBB60_21
; %bb.27:                               ;   in Loop: Header=BB60_22 Depth=3
	v_lshl_add_u32 v30, v17, 2, v25
	ds_read_b32 v31, v30
	s_waitcnt lgkmcnt(0)
	v_cmp_eq_u32_e32 vcc, v31, v29
	s_orn2_b64 s[44:45], vcc, exec
	s_branch .LBB60_21
.LBB60_28:
	s_or_b64 exec, exec, s[2:3]
.LBB60_29:
	s_andn2_b64 vcc, exec, s[34:35]
	s_cbranch_vccnz .LBB60_44
; %bb.30:
	v_lshl_add_u64 v[0:1], v[8:9], 2, s[8:9]
	global_load_dwordx2 v[0:1], v[0:1], off
	v_subrev_u32_e32 v2, s27, v27
	s_waitcnt vmcnt(0)
	v_subrev_u32_e32 v12, s27, v1
	v_add_u32_e32 v10, v0, v2
	v_cmp_lt_i32_e32 vcc, v10, v12
	s_and_saveexec_b64 s[2:3], vcc
	s_cbranch_execz .LBB60_43
; %bb.31:
	s_mov_b64 s[4:5], 0
	s_branch .LBB60_34
.LBB60_32:                              ;   in Loop: Header=BB60_34 Depth=1
	s_or_b64 exec, exec, s[16:17]
.LBB60_33:                              ;   in Loop: Header=BB60_34 Depth=1
	s_or_b64 exec, exec, s[8:9]
	s_waitcnt vmcnt(0)
	v_mul_f64 v[14:15], v[2:3], -v[4:5]
	v_mul_f64 v[2:3], v[6:7], v[2:3]
	v_fmac_f64_e32 v[14:15], v[6:7], v[0:1]
	v_fmac_f64_e32 v[2:3], v[4:5], v[0:1]
	v_lshl_add_u32 v0, v11, 4, v26
	ds_add_f64 v0, v[14:15]
	ds_add_f64 v0, v[2:3] offset:8
	v_add_u32_e32 v10, 8, v10
	v_cmp_ge_i32_e32 vcc, v10, v12
	s_or_b64 s[4:5], vcc, s[4:5]
	s_andn2_b64 exec, exec, s[4:5]
	s_cbranch_execz .LBB60_43
.LBB60_34:                              ; =>This Loop Header: Depth=1
                                        ;     Child Loop BB60_37 Depth 2
	v_ashrrev_i32_e32 v11, 31, v10
	v_lshl_add_u64 v[0:1], v[10:11], 2, s[10:11]
	global_load_dword v13, v[0:1], off
	v_lshl_add_u64 v[0:1], v[10:11], 4, s[12:13]
	global_load_dwordx4 v[0:3], v[0:1], off
	s_waitcnt vmcnt(1)
	v_subrev_u32_e32 v13, s27, v13
	v_lshl_add_u32 v11, v13, 3, v13
	v_and_b32_e32 v11, 15, v11
	v_lshl_add_u32 v14, v11, 2, v25
	ds_read_b32 v15, v14
	s_waitcnt lgkmcnt(0)
	v_cmp_ne_u32_e32 vcc, v15, v13
	s_and_saveexec_b64 s[8:9], vcc
	s_cbranch_execz .LBB60_33
; %bb.35:                               ;   in Loop: Header=BB60_34 Depth=1
	s_mov_b64 s[16:17], 0
	s_branch .LBB60_37
.LBB60_36:                              ;   in Loop: Header=BB60_37 Depth=2
	s_or_b64 exec, exec, s[22:23]
	s_and_b64 s[18:19], exec, s[20:21]
	s_or_b64 s[16:17], s[18:19], s[16:17]
	s_andn2_b64 exec, exec, s[16:17]
	s_cbranch_execz .LBB60_32
.LBB60_37:                              ;   Parent Loop BB60_34 Depth=1
                                        ; =>  This Inner Loop Header: Depth=2
	v_cmp_ne_u32_e32 vcc, s1, v15
	s_mov_b64 s[18:19], 0
	s_and_saveexec_b64 s[20:21], vcc
	s_xor_b64 s[20:21], exec, s[20:21]
	s_cbranch_execz .LBB60_39
; %bb.38:                               ;   in Loop: Header=BB60_37 Depth=2
	v_add_u32_e32 v11, 1, v11
	s_mov_b64 s[18:19], exec
	v_and_b32_e32 v11, 15, v11
                                        ; implicit-def: $vgpr14
	s_andn2_saveexec_b64 s[20:21], s[20:21]
	s_cbranch_execz .LBB60_41
	s_branch .LBB60_40
.LBB60_39:                              ;   in Loop: Header=BB60_37 Depth=2
	s_andn2_saveexec_b64 s[20:21], s[20:21]
	s_cbranch_execz .LBB60_41
.LBB60_40:                              ;   in Loop: Header=BB60_37 Depth=2
	v_mov_b32_e32 v15, s1
	ds_cmpst_rtn_b32 v14, v14, v15, v13
	s_andn2_b64 s[18:19], s[18:19], exec
	s_waitcnt lgkmcnt(0)
	v_cmp_ne_u32_e32 vcc, s1, v14
	s_and_b64 s[22:23], vcc, exec
	s_or_b64 s[18:19], s[18:19], s[22:23]
.LBB60_41:                              ;   in Loop: Header=BB60_37 Depth=2
	s_or_b64 exec, exec, s[20:21]
	s_mov_b64 s[20:21], -1
                                        ; implicit-def: $vgpr14
                                        ; implicit-def: $vgpr15
	s_and_saveexec_b64 s[22:23], s[18:19]
	s_cbranch_execz .LBB60_36
; %bb.42:                               ;   in Loop: Header=BB60_37 Depth=2
	v_lshl_add_u32 v14, v11, 2, v25
	ds_read_b32 v15, v14
	s_waitcnt lgkmcnt(0)
	v_cmp_eq_u32_e32 vcc, v15, v13
	s_orn2_b64 s[20:21], vcc, exec
	s_branch .LBB60_36
.LBB60_43:
	s_or_b64 exec, exec, s[2:3]
.LBB60_44:
	v_lshl_add_u64 v[0:1], v[8:9], 2, s[14:15]
	s_waitcnt lgkmcnt(0)
	global_load_dword v0, v[0:1], off
	s_mov_b64 s[2:3], 0
	s_waitcnt vmcnt(0)
	v_subrev_u32_e32 v0, s26, v0
	s_branch .LBB60_46
.LBB60_45:                              ;   in Loop: Header=BB60_46 Depth=1
	s_or_b64 exec, exec, s[4:5]
	v_add_co_u32_e32 v22, vcc, 8, v22
	s_xor_b64 s[4:5], vcc, -1
	s_and_b64 s[4:5], exec, s[4:5]
	v_add_u32_e32 v23, 0x80, v23
	s_or_b64 s[2:3], s[4:5], s[2:3]
	v_add_u32_e32 v24, 32, v24
	s_andn2_b64 exec, exec, s[2:3]
	s_cbranch_execz .LBB60_48
.LBB60_46:                              ; =>This Inner Loop Header: Depth=1
	ds_read_b32 v1, v24
	s_waitcnt lgkmcnt(0)
	v_cmp_gt_i32_e32 vcc, s1, v1
	s_and_saveexec_b64 s[4:5], vcc
	s_cbranch_execz .LBB60_45
; %bb.47:                               ;   in Loop: Header=BB60_46 Depth=1
	ds_read_b128 v[2:5], v25
	ds_read_b128 v[6:9], v25 offset:16
	ds_read_b128 v[10:13], v25 offset:32
	;; [unrolled: 1-line block ×3, first 2 shown]
	s_waitcnt lgkmcnt(3)
	v_cmp_gt_i32_e32 vcc, v1, v2
	s_nop 1
	v_cndmask_b32_e64 v2, 0, 1, vcc
	v_cmp_gt_i32_e32 vcc, v1, v3
	s_nop 1
	v_addc_co_u32_e32 v2, vcc, v0, v2, vcc
	v_cmp_gt_i32_e32 vcc, v1, v4
	s_nop 1
	v_cndmask_b32_e64 v3, 0, 1, vcc
	v_cmp_gt_i32_e32 vcc, v1, v5
	s_nop 1
	v_addc_co_u32_e32 v2, vcc, v2, v3, vcc
	s_waitcnt lgkmcnt(2)
	v_cmp_gt_i32_e32 vcc, v1, v6
	s_nop 1
	v_cndmask_b32_e64 v3, 0, 1, vcc
	v_cmp_gt_i32_e32 vcc, v1, v7
	s_nop 1
	v_addc_co_u32_e32 v2, vcc, v2, v3, vcc
	v_cmp_gt_i32_e32 vcc, v1, v8
	s_nop 1
	v_cndmask_b32_e64 v3, 0, 1, vcc
	v_cmp_gt_i32_e32 vcc, v1, v9
	s_nop 1
	v_addc_co_u32_e32 v2, vcc, v2, v3, vcc
	;; [unrolled: 13-line block ×3, first 2 shown]
	s_waitcnt lgkmcnt(0)
	v_cmp_gt_i32_e32 vcc, v1, v14
	s_nop 1
	v_cndmask_b32_e64 v3, 0, 1, vcc
	v_cmp_gt_i32_e32 vcc, v1, v15
	s_nop 1
	v_addc_co_u32_e32 v6, vcc, v2, v3, vcc
	v_cmp_gt_i32_e32 vcc, v1, v16
	ds_read2_b64 v[2:5], v23 offset1:1
	s_nop 0
	v_cndmask_b32_e64 v7, 0, 1, vcc
	v_cmp_gt_i32_e32 vcc, v1, v17
	s_nop 1
	v_addc_co_u32_e32 v6, vcc, v6, v7, vcc
	v_ashrrev_i32_e32 v7, 31, v6
	v_lshl_add_u64 v[6:7], v[6:7], 4, s[6:7]
	s_waitcnt lgkmcnt(0)
	global_store_dwordx4 v[6:7], v[2:5], off
	s_branch .LBB60_45
.LBB60_48:
	s_endpgm
	.section	.rodata,"a",@progbits
	.p2align	6, 0x0
	.amdhsa_kernel _ZN9rocsparseL38csrgemm_numeric_fill_wf_per_row_kernelILj256ELj8ELj16ELj137Eii21rocsparse_complex_numIdEEEvT4_S3_PKS3_S5_NS_24const_host_device_scalarIT5_EEPKT3_S5_PKS7_SB_S5_SD_S8_SB_S5_SD_SB_S5_PS7_21rocsparse_index_base_SF_SF_SF_bbb
		.amdhsa_group_segment_fixed_size 10240
		.amdhsa_private_segment_fixed_size 24
		.amdhsa_kernarg_size 172
		.amdhsa_user_sgpr_count 2
		.amdhsa_user_sgpr_dispatch_ptr 0
		.amdhsa_user_sgpr_queue_ptr 0
		.amdhsa_user_sgpr_kernarg_segment_ptr 1
		.amdhsa_user_sgpr_dispatch_id 0
		.amdhsa_user_sgpr_kernarg_preload_length 0
		.amdhsa_user_sgpr_kernarg_preload_offset 0
		.amdhsa_user_sgpr_private_segment_size 0
		.amdhsa_uses_dynamic_stack 0
		.amdhsa_enable_private_segment 1
		.amdhsa_system_sgpr_workgroup_id_x 1
		.amdhsa_system_sgpr_workgroup_id_y 0
		.amdhsa_system_sgpr_workgroup_id_z 0
		.amdhsa_system_sgpr_workgroup_info 0
		.amdhsa_system_vgpr_workitem_id 0
		.amdhsa_next_free_vgpr 34
		.amdhsa_next_free_sgpr 50
		.amdhsa_accum_offset 36
		.amdhsa_reserve_vcc 1
		.amdhsa_float_round_mode_32 0
		.amdhsa_float_round_mode_16_64 0
		.amdhsa_float_denorm_mode_32 3
		.amdhsa_float_denorm_mode_16_64 3
		.amdhsa_dx10_clamp 1
		.amdhsa_ieee_mode 1
		.amdhsa_fp16_overflow 0
		.amdhsa_tg_split 0
		.amdhsa_exception_fp_ieee_invalid_op 0
		.amdhsa_exception_fp_denorm_src 0
		.amdhsa_exception_fp_ieee_div_zero 0
		.amdhsa_exception_fp_ieee_overflow 0
		.amdhsa_exception_fp_ieee_underflow 0
		.amdhsa_exception_fp_ieee_inexact 0
		.amdhsa_exception_int_div_zero 0
	.end_amdhsa_kernel
	.section	.text._ZN9rocsparseL38csrgemm_numeric_fill_wf_per_row_kernelILj256ELj8ELj16ELj137Eii21rocsparse_complex_numIdEEEvT4_S3_PKS3_S5_NS_24const_host_device_scalarIT5_EEPKT3_S5_PKS7_SB_S5_SD_S8_SB_S5_SD_SB_S5_PS7_21rocsparse_index_base_SF_SF_SF_bbb,"axG",@progbits,_ZN9rocsparseL38csrgemm_numeric_fill_wf_per_row_kernelILj256ELj8ELj16ELj137Eii21rocsparse_complex_numIdEEEvT4_S3_PKS3_S5_NS_24const_host_device_scalarIT5_EEPKT3_S5_PKS7_SB_S5_SD_S8_SB_S5_SD_SB_S5_PS7_21rocsparse_index_base_SF_SF_SF_bbb,comdat
.Lfunc_end60:
	.size	_ZN9rocsparseL38csrgemm_numeric_fill_wf_per_row_kernelILj256ELj8ELj16ELj137Eii21rocsparse_complex_numIdEEEvT4_S3_PKS3_S5_NS_24const_host_device_scalarIT5_EEPKT3_S5_PKS7_SB_S5_SD_S8_SB_S5_SD_SB_S5_PS7_21rocsparse_index_base_SF_SF_SF_bbb, .Lfunc_end60-_ZN9rocsparseL38csrgemm_numeric_fill_wf_per_row_kernelILj256ELj8ELj16ELj137Eii21rocsparse_complex_numIdEEEvT4_S3_PKS3_S5_NS_24const_host_device_scalarIT5_EEPKT3_S5_PKS7_SB_S5_SD_S8_SB_S5_SD_SB_S5_PS7_21rocsparse_index_base_SF_SF_SF_bbb
                                        ; -- End function
	.set _ZN9rocsparseL38csrgemm_numeric_fill_wf_per_row_kernelILj256ELj8ELj16ELj137Eii21rocsparse_complex_numIdEEEvT4_S3_PKS3_S5_NS_24const_host_device_scalarIT5_EEPKT3_S5_PKS7_SB_S5_SD_S8_SB_S5_SD_SB_S5_PS7_21rocsparse_index_base_SF_SF_SF_bbb.num_vgpr, 34
	.set _ZN9rocsparseL38csrgemm_numeric_fill_wf_per_row_kernelILj256ELj8ELj16ELj137Eii21rocsparse_complex_numIdEEEvT4_S3_PKS3_S5_NS_24const_host_device_scalarIT5_EEPKT3_S5_PKS7_SB_S5_SD_S8_SB_S5_SD_SB_S5_PS7_21rocsparse_index_base_SF_SF_SF_bbb.num_agpr, 0
	.set _ZN9rocsparseL38csrgemm_numeric_fill_wf_per_row_kernelILj256ELj8ELj16ELj137Eii21rocsparse_complex_numIdEEEvT4_S3_PKS3_S5_NS_24const_host_device_scalarIT5_EEPKT3_S5_PKS7_SB_S5_SD_S8_SB_S5_SD_SB_S5_PS7_21rocsparse_index_base_SF_SF_SF_bbb.numbered_sgpr, 50
	.set _ZN9rocsparseL38csrgemm_numeric_fill_wf_per_row_kernelILj256ELj8ELj16ELj137Eii21rocsparse_complex_numIdEEEvT4_S3_PKS3_S5_NS_24const_host_device_scalarIT5_EEPKT3_S5_PKS7_SB_S5_SD_S8_SB_S5_SD_SB_S5_PS7_21rocsparse_index_base_SF_SF_SF_bbb.num_named_barrier, 0
	.set _ZN9rocsparseL38csrgemm_numeric_fill_wf_per_row_kernelILj256ELj8ELj16ELj137Eii21rocsparse_complex_numIdEEEvT4_S3_PKS3_S5_NS_24const_host_device_scalarIT5_EEPKT3_S5_PKS7_SB_S5_SD_S8_SB_S5_SD_SB_S5_PS7_21rocsparse_index_base_SF_SF_SF_bbb.private_seg_size, 24
	.set _ZN9rocsparseL38csrgemm_numeric_fill_wf_per_row_kernelILj256ELj8ELj16ELj137Eii21rocsparse_complex_numIdEEEvT4_S3_PKS3_S5_NS_24const_host_device_scalarIT5_EEPKT3_S5_PKS7_SB_S5_SD_S8_SB_S5_SD_SB_S5_PS7_21rocsparse_index_base_SF_SF_SF_bbb.uses_vcc, 1
	.set _ZN9rocsparseL38csrgemm_numeric_fill_wf_per_row_kernelILj256ELj8ELj16ELj137Eii21rocsparse_complex_numIdEEEvT4_S3_PKS3_S5_NS_24const_host_device_scalarIT5_EEPKT3_S5_PKS7_SB_S5_SD_S8_SB_S5_SD_SB_S5_PS7_21rocsparse_index_base_SF_SF_SF_bbb.uses_flat_scratch, 0
	.set _ZN9rocsparseL38csrgemm_numeric_fill_wf_per_row_kernelILj256ELj8ELj16ELj137Eii21rocsparse_complex_numIdEEEvT4_S3_PKS3_S5_NS_24const_host_device_scalarIT5_EEPKT3_S5_PKS7_SB_S5_SD_S8_SB_S5_SD_SB_S5_PS7_21rocsparse_index_base_SF_SF_SF_bbb.has_dyn_sized_stack, 0
	.set _ZN9rocsparseL38csrgemm_numeric_fill_wf_per_row_kernelILj256ELj8ELj16ELj137Eii21rocsparse_complex_numIdEEEvT4_S3_PKS3_S5_NS_24const_host_device_scalarIT5_EEPKT3_S5_PKS7_SB_S5_SD_S8_SB_S5_SD_SB_S5_PS7_21rocsparse_index_base_SF_SF_SF_bbb.has_recursion, 0
	.set _ZN9rocsparseL38csrgemm_numeric_fill_wf_per_row_kernelILj256ELj8ELj16ELj137Eii21rocsparse_complex_numIdEEEvT4_S3_PKS3_S5_NS_24const_host_device_scalarIT5_EEPKT3_S5_PKS7_SB_S5_SD_S8_SB_S5_SD_SB_S5_PS7_21rocsparse_index_base_SF_SF_SF_bbb.has_indirect_call, 0
	.section	.AMDGPU.csdata,"",@progbits
; Kernel info:
; codeLenInByte = 1892
; TotalNumSgprs: 56
; NumVgprs: 34
; NumAgprs: 0
; TotalNumVgprs: 34
; ScratchSize: 24
; MemoryBound: 0
; FloatMode: 240
; IeeeMode: 1
; LDSByteSize: 10240 bytes/workgroup (compile time only)
; SGPRBlocks: 6
; VGPRBlocks: 4
; NumSGPRsForWavesPerEU: 56
; NumVGPRsForWavesPerEU: 34
; AccumOffset: 36
; Occupancy: 8
; WaveLimiterHint : 1
; COMPUTE_PGM_RSRC2:SCRATCH_EN: 1
; COMPUTE_PGM_RSRC2:USER_SGPR: 2
; COMPUTE_PGM_RSRC2:TRAP_HANDLER: 0
; COMPUTE_PGM_RSRC2:TGID_X_EN: 1
; COMPUTE_PGM_RSRC2:TGID_Y_EN: 0
; COMPUTE_PGM_RSRC2:TGID_Z_EN: 0
; COMPUTE_PGM_RSRC2:TIDIG_COMP_CNT: 0
; COMPUTE_PGM_RSRC3_GFX90A:ACCUM_OFFSET: 8
; COMPUTE_PGM_RSRC3_GFX90A:TG_SPLIT: 0
	.section	.text._ZN9rocsparseL38csrgemm_numeric_fill_wf_per_row_kernelILj256ELj16ELj32ELj137Eii21rocsparse_complex_numIdEEEvT4_S3_PKS3_S5_NS_24const_host_device_scalarIT5_EEPKT3_S5_PKS7_SB_S5_SD_S8_SB_S5_SD_SB_S5_PS7_21rocsparse_index_base_SF_SF_SF_bbb,"axG",@progbits,_ZN9rocsparseL38csrgemm_numeric_fill_wf_per_row_kernelILj256ELj16ELj32ELj137Eii21rocsparse_complex_numIdEEEvT4_S3_PKS3_S5_NS_24const_host_device_scalarIT5_EEPKT3_S5_PKS7_SB_S5_SD_S8_SB_S5_SD_SB_S5_PS7_21rocsparse_index_base_SF_SF_SF_bbb,comdat
	.globl	_ZN9rocsparseL38csrgemm_numeric_fill_wf_per_row_kernelILj256ELj16ELj32ELj137Eii21rocsparse_complex_numIdEEEvT4_S3_PKS3_S5_NS_24const_host_device_scalarIT5_EEPKT3_S5_PKS7_SB_S5_SD_S8_SB_S5_SD_SB_S5_PS7_21rocsparse_index_base_SF_SF_SF_bbb ; -- Begin function _ZN9rocsparseL38csrgemm_numeric_fill_wf_per_row_kernelILj256ELj16ELj32ELj137Eii21rocsparse_complex_numIdEEEvT4_S3_PKS3_S5_NS_24const_host_device_scalarIT5_EEPKT3_S5_PKS7_SB_S5_SD_S8_SB_S5_SD_SB_S5_PS7_21rocsparse_index_base_SF_SF_SF_bbb
	.p2align	8
	.type	_ZN9rocsparseL38csrgemm_numeric_fill_wf_per_row_kernelILj256ELj16ELj32ELj137Eii21rocsparse_complex_numIdEEEvT4_S3_PKS3_S5_NS_24const_host_device_scalarIT5_EEPKT3_S5_PKS7_SB_S5_SD_S8_SB_S5_SD_SB_S5_PS7_21rocsparse_index_base_SF_SF_SF_bbb,@function
_ZN9rocsparseL38csrgemm_numeric_fill_wf_per_row_kernelILj256ELj16ELj32ELj137Eii21rocsparse_complex_numIdEEEvT4_S3_PKS3_S5_NS_24const_host_device_scalarIT5_EEPKT3_S5_PKS7_SB_S5_SD_S8_SB_S5_SD_SB_S5_PS7_21rocsparse_index_base_SF_SF_SF_bbb: ; @_ZN9rocsparseL38csrgemm_numeric_fill_wf_per_row_kernelILj256ELj16ELj32ELj137Eii21rocsparse_complex_numIdEEEvT4_S3_PKS3_S5_NS_24const_host_device_scalarIT5_EEPKT3_S5_PKS7_SB_S5_SD_S8_SB_S5_SD_SB_S5_PS7_21rocsparse_index_base_SF_SF_SF_bbb
; %bb.0:
	s_load_dword s3, s[0:1], 0xa8
	s_load_dwordx4 s[24:27], s[0:1], 0x98
	s_load_dwordx4 s[8:11], s[0:1], 0x18
	s_load_dwordx4 s[40:43], s[0:1], 0x58
	v_mov_b64_e32 v[4:5], 0
	s_waitcnt lgkmcnt(0)
	s_bitcmp1_b32 s3, 0
	s_cselect_b64 s[44:45], -1, 0
	s_bitcmp1_b32 s3, 16
	s_cselect_b64 s[46:47], -1, 0
	s_xor_b64 s[4:5], s[46:47], -1
	v_mov_b64_e32 v[2:3], s[8:9]
	v_cndmask_b32_e64 v1, 0, 1, s[4:5]
	scratch_store_dwordx2 off, v[2:3], off
	v_mov_b64_e32 v[2:3], s[40:41]
	s_bitcmp0_b32 s3, 0
	v_cmp_ne_u32_e64 s[4:5], 1, v1
	v_mov_b64_e32 v[10:11], 0
	v_mov_b64_e32 v[12:13], 0
	scratch_store_dwordx2 off, v[2:3], off offset:8
	s_cbranch_scc1 .LBB61_3
; %bb.1:
	s_mov_b64 s[6:7], src_private_base
	s_and_b64 s[12:13], s[46:47], exec
	s_cselect_b32 s6, s7, s9
	s_cselect_b32 s7, 0, s8
	v_mov_b32_e32 v2, s7
	v_mov_b32_e32 v3, s6
	flat_load_dwordx2 v[10:11], v[2:3]
	s_and_b64 vcc, exec, s[4:5]
	v_mov_b64_e32 v[12:13], s[10:11]
	s_cbranch_vccnz .LBB61_3
; %bb.2:
	v_mov_b64_e32 v[2:3], s[8:9]
	flat_load_dwordx2 v[12:13], v[2:3] offset:8
.LBB61_3:
	s_load_dwordx2 s[6:7], s[0:1], 0x90
	s_load_dwordx8 s[8:15], s[0:1], 0x68
	s_load_dwordx4 s[28:31], s[0:1], 0x48
	s_load_dwordx4 s[36:39], s[0:1], 0x8
	s_load_dwordx8 s[16:23], s[0:1], 0x28
	s_bitcmp1_b32 s3, 8
	s_cselect_b64 s[34:35], -1, 0
	s_bfe_u32 s3, s3, 0x10008
	s_cmp_eq_u32 s3, 0
	v_mov_b64_e32 v[6:7], 0
	s_cbranch_scc1 .LBB61_6
; %bb.4:
	s_mov_b64 s[48:49], src_private_base
	s_and_b64 s[46:47], s[46:47], exec
	s_cselect_b32 s3, s49, s41
	s_cselect_b32 s33, 8, s40
	v_mov_b32_e32 v2, s33
	v_mov_b32_e32 v3, s3
	flat_load_dwordx2 v[6:7], v[2:3]
	s_and_b64 vcc, exec, s[4:5]
	v_mov_b64_e32 v[4:5], s[42:43]
	s_cbranch_vccnz .LBB61_6
; %bb.5:
	v_mov_b64_e32 v[2:3], s[40:41]
	flat_load_dwordx2 v[4:5], v[2:3] offset:8
.LBB61_6:
	s_load_dwordx2 s[0:1], s[0:1], 0x0
	v_and_b32_e32 v27, 15, v0
	v_lshrrev_b32_e32 v0, 4, v0
	v_lshlrev_b32_e32 v1, 4, v27
	v_lshl_or_b32 v23, v0, 9, v1
	v_lshlrev_b32_e32 v1, 7, v0
	v_lshlrev_b32_e32 v2, 2, v27
	s_movk_i32 s3, 0x2000
	v_or_b32_e32 v22, -16, v27
	v_or3_b32 v24, v1, v2, s3
	v_mov_b32_e32 v14, 0
	s_mov_b64 s[4:5], 0
	s_waitcnt lgkmcnt(0)
	v_mov_b32_e32 v8, s1
	v_mov_b32_e32 v15, v14
	v_mov_b32_e32 v16, v14
	v_mov_b32_e32 v17, v14
	v_mov_b32_e32 v1, v24
	v_mov_b32_e32 v2, v23
	v_mov_b32_e32 v3, v22
.LBB61_7:                               ; =>This Inner Loop Header: Depth=1
	v_add_co_u32_e32 v3, vcc, 16, v3
	s_xor_b64 s[40:41], vcc, -1
	s_and_b64 s[40:41], exec, s[40:41]
	ds_write_b32 v1, v8
	ds_write_b128 v2, v[14:17]
	v_add_u32_e32 v2, 0x100, v2
	s_or_b64 s[4:5], s[40:41], s[4:5]
	v_add_u32_e32 v1, 64, v1
	s_andn2_b64 exec, exec, s[4:5]
	s_cbranch_execnz .LBB61_7
; %bb.8:
	s_or_b64 exec, exec, s[4:5]
	s_lshl_b32 s2, s2, 4
	s_and_b32 s2, s2, 0xffffff0
	v_or_b32_e32 v8, s2, v0
	v_cmp_gt_i32_e32 vcc, s0, v8
	s_waitcnt lgkmcnt(0)
	s_and_saveexec_b64 s[2:3], vcc
	s_cbranch_execz .LBB61_48
; %bb.9:
	s_cmp_eq_u64 s[38:39], 0
	s_cbranch_scc1 .LBB61_11
; %bb.10:
	s_load_dword s0, s[36:37], 0x0
	s_waitcnt lgkmcnt(0)
	v_add_u32_e32 v2, s0, v8
	v_ashrrev_i32_e32 v3, 31, v2
	v_lshl_add_u64 v[2:3], v[2:3], 2, s[38:39]
	global_load_dword v8, v[2:3], off
.LBB61_11:
	v_mov_b32_e32 v1, 0x2000
	v_lshl_or_b32 v25, v0, 7, v1
	v_lshlrev_b32_e32 v26, 9, v0
	s_andn2_b64 vcc, exec, s[44:45]
	s_waitcnt vmcnt(0)
	v_ashrrev_i32_e32 v9, 31, v8
	s_cbranch_vccnz .LBB61_29
; %bb.12:
	v_lshl_add_u64 v[0:1], v[8:9], 2, s[16:17]
	global_load_dwordx2 v[0:1], v[0:1], off
	v_subrev_u32_e32 v2, s24, v27
	s_waitcnt vmcnt(0)
	v_subrev_u32_e32 v28, s24, v1
	v_add_u32_e32 v14, v0, v2
	v_cmp_lt_i32_e32 vcc, v14, v28
	s_and_saveexec_b64 s[2:3], vcc
	s_cbranch_execz .LBB61_28
; %bb.13:
	s_mov_b64 s[4:5], 0
	s_branch .LBB61_15
.LBB61_14:                              ;   in Loop: Header=BB61_15 Depth=1
	s_or_b64 exec, exec, s[16:17]
	v_add_u32_e32 v14, 16, v14
	v_cmp_ge_i32_e32 vcc, v14, v28
	s_or_b64 s[4:5], vcc, s[4:5]
	s_andn2_b64 exec, exec, s[4:5]
	s_cbranch_execz .LBB61_28
.LBB61_15:                              ; =>This Loop Header: Depth=1
                                        ;     Child Loop BB61_19 Depth 2
                                        ;       Child Loop BB61_22 Depth 3
	v_ashrrev_i32_e32 v15, 31, v14
	v_lshl_add_u64 v[0:1], v[14:15], 2, s[18:19]
	global_load_dword v0, v[0:1], off
	s_waitcnt vmcnt(0)
	v_subrev_u32_e32 v0, s24, v0
	v_ashrrev_i32_e32 v1, 31, v0
	v_lshl_add_u64 v[0:1], v[0:1], 2, s[22:23]
	global_load_dwordx2 v[0:1], v[0:1], off
	s_waitcnt vmcnt(0)
	v_cmp_lt_i32_e32 vcc, v0, v1
	s_and_saveexec_b64 s[16:17], vcc
	s_cbranch_execz .LBB61_14
; %bb.16:                               ;   in Loop: Header=BB61_15 Depth=1
	v_lshl_add_u64 v[2:3], v[14:15], 4, s[20:21]
	global_load_dwordx4 v[30:33], v[2:3], off
	v_subrev_u32_e32 v15, s25, v1
	v_subrev_u32_e32 v16, s25, v0
	s_mov_b64 s[36:37], 0
	s_waitcnt vmcnt(0)
	v_mul_f64 v[18:19], v[32:33], -v[12:13]
	v_mul_f64 v[20:21], v[10:11], v[32:33]
	v_fmac_f64_e32 v[18:19], v[10:11], v[30:31]
	v_fmac_f64_e32 v[20:21], v[12:13], v[30:31]
	s_branch .LBB61_19
.LBB61_17:                              ;   in Loop: Header=BB61_19 Depth=2
	s_or_b64 exec, exec, s[40:41]
.LBB61_18:                              ;   in Loop: Header=BB61_19 Depth=2
	s_or_b64 exec, exec, s[38:39]
	s_waitcnt vmcnt(0)
	v_mul_f64 v[30:31], v[2:3], -v[20:21]
	v_mul_f64 v[2:3], v[18:19], v[2:3]
	v_fmac_f64_e32 v[30:31], v[18:19], v[0:1]
	v_fmac_f64_e32 v[2:3], v[20:21], v[0:1]
	v_lshl_add_u32 v0, v17, 4, v26
	ds_add_f64 v0, v[30:31]
	ds_add_f64 v0, v[2:3] offset:8
	v_add_u32_e32 v16, 1, v16
	v_cmp_ge_i32_e32 vcc, v16, v15
	s_or_b64 s[36:37], vcc, s[36:37]
	s_andn2_b64 exec, exec, s[36:37]
	s_cbranch_execz .LBB61_14
.LBB61_19:                              ;   Parent Loop BB61_15 Depth=1
                                        ; =>  This Loop Header: Depth=2
                                        ;       Child Loop BB61_22 Depth 3
	v_ashrrev_i32_e32 v17, 31, v16
	v_lshl_add_u64 v[0:1], v[16:17], 2, s[28:29]
	global_load_dword v29, v[0:1], off
	v_lshl_add_u64 v[0:1], v[16:17], 4, s[30:31]
	global_load_dwordx4 v[0:3], v[0:1], off
	s_waitcnt vmcnt(1)
	v_subrev_u32_e32 v29, s25, v29
	v_lshl_add_u32 v17, v29, 3, v29
	v_and_b32_e32 v17, 31, v17
	v_lshl_add_u32 v30, v17, 2, v25
	ds_read_b32 v31, v30
	s_waitcnt lgkmcnt(0)
	v_cmp_ne_u32_e32 vcc, v31, v29
	s_and_saveexec_b64 s[38:39], vcc
	s_cbranch_execz .LBB61_18
; %bb.20:                               ;   in Loop: Header=BB61_19 Depth=2
	s_mov_b64 s[40:41], 0
	s_branch .LBB61_22
.LBB61_21:                              ;   in Loop: Header=BB61_22 Depth=3
	s_or_b64 exec, exec, s[46:47]
	s_and_b64 s[42:43], exec, s[44:45]
	s_or_b64 s[40:41], s[42:43], s[40:41]
	s_andn2_b64 exec, exec, s[40:41]
	s_cbranch_execz .LBB61_17
.LBB61_22:                              ;   Parent Loop BB61_15 Depth=1
                                        ;     Parent Loop BB61_19 Depth=2
                                        ; =>    This Inner Loop Header: Depth=3
	v_cmp_ne_u32_e32 vcc, s1, v31
	s_mov_b64 s[42:43], 0
	s_and_saveexec_b64 s[44:45], vcc
	s_xor_b64 s[44:45], exec, s[44:45]
	s_cbranch_execz .LBB61_24
; %bb.23:                               ;   in Loop: Header=BB61_22 Depth=3
	v_add_u32_e32 v17, 1, v17
	s_mov_b64 s[42:43], exec
	v_and_b32_e32 v17, 31, v17
                                        ; implicit-def: $vgpr30
	s_andn2_saveexec_b64 s[44:45], s[44:45]
	s_cbranch_execz .LBB61_26
	s_branch .LBB61_25
.LBB61_24:                              ;   in Loop: Header=BB61_22 Depth=3
	s_andn2_saveexec_b64 s[44:45], s[44:45]
	s_cbranch_execz .LBB61_26
.LBB61_25:                              ;   in Loop: Header=BB61_22 Depth=3
	v_mov_b32_e32 v31, s1
	ds_cmpst_rtn_b32 v30, v30, v31, v29
	s_andn2_b64 s[42:43], s[42:43], exec
	s_waitcnt lgkmcnt(0)
	v_cmp_ne_u32_e32 vcc, s1, v30
	s_and_b64 s[46:47], vcc, exec
	s_or_b64 s[42:43], s[42:43], s[46:47]
.LBB61_26:                              ;   in Loop: Header=BB61_22 Depth=3
	s_or_b64 exec, exec, s[44:45]
	s_mov_b64 s[44:45], -1
                                        ; implicit-def: $vgpr30
                                        ; implicit-def: $vgpr31
	s_and_saveexec_b64 s[46:47], s[42:43]
	s_cbranch_execz .LBB61_21
; %bb.27:                               ;   in Loop: Header=BB61_22 Depth=3
	v_lshl_add_u32 v30, v17, 2, v25
	ds_read_b32 v31, v30
	s_waitcnt lgkmcnt(0)
	v_cmp_eq_u32_e32 vcc, v31, v29
	s_orn2_b64 s[44:45], vcc, exec
	s_branch .LBB61_21
.LBB61_28:
	s_or_b64 exec, exec, s[2:3]
.LBB61_29:
	s_andn2_b64 vcc, exec, s[34:35]
	s_cbranch_vccnz .LBB61_44
; %bb.30:
	v_lshl_add_u64 v[0:1], v[8:9], 2, s[8:9]
	global_load_dwordx2 v[0:1], v[0:1], off
	v_subrev_u32_e32 v2, s27, v27
	s_waitcnt vmcnt(0)
	v_subrev_u32_e32 v12, s27, v1
	v_add_u32_e32 v10, v0, v2
	v_cmp_lt_i32_e32 vcc, v10, v12
	s_and_saveexec_b64 s[2:3], vcc
	s_cbranch_execz .LBB61_43
; %bb.31:
	s_mov_b64 s[4:5], 0
	s_branch .LBB61_34
.LBB61_32:                              ;   in Loop: Header=BB61_34 Depth=1
	s_or_b64 exec, exec, s[16:17]
.LBB61_33:                              ;   in Loop: Header=BB61_34 Depth=1
	s_or_b64 exec, exec, s[8:9]
	s_waitcnt vmcnt(0)
	v_mul_f64 v[14:15], v[2:3], -v[4:5]
	v_mul_f64 v[2:3], v[6:7], v[2:3]
	v_fmac_f64_e32 v[14:15], v[6:7], v[0:1]
	v_fmac_f64_e32 v[2:3], v[4:5], v[0:1]
	v_lshl_add_u32 v0, v11, 4, v26
	ds_add_f64 v0, v[14:15]
	ds_add_f64 v0, v[2:3] offset:8
	v_add_u32_e32 v10, 16, v10
	v_cmp_ge_i32_e32 vcc, v10, v12
	s_or_b64 s[4:5], vcc, s[4:5]
	s_andn2_b64 exec, exec, s[4:5]
	s_cbranch_execz .LBB61_43
.LBB61_34:                              ; =>This Loop Header: Depth=1
                                        ;     Child Loop BB61_37 Depth 2
	v_ashrrev_i32_e32 v11, 31, v10
	v_lshl_add_u64 v[0:1], v[10:11], 2, s[10:11]
	global_load_dword v13, v[0:1], off
	v_lshl_add_u64 v[0:1], v[10:11], 4, s[12:13]
	global_load_dwordx4 v[0:3], v[0:1], off
	s_waitcnt vmcnt(1)
	v_subrev_u32_e32 v13, s27, v13
	v_lshl_add_u32 v11, v13, 3, v13
	v_and_b32_e32 v11, 31, v11
	v_lshl_add_u32 v14, v11, 2, v25
	ds_read_b32 v15, v14
	s_waitcnt lgkmcnt(0)
	v_cmp_ne_u32_e32 vcc, v15, v13
	s_and_saveexec_b64 s[8:9], vcc
	s_cbranch_execz .LBB61_33
; %bb.35:                               ;   in Loop: Header=BB61_34 Depth=1
	s_mov_b64 s[16:17], 0
	s_branch .LBB61_37
.LBB61_36:                              ;   in Loop: Header=BB61_37 Depth=2
	s_or_b64 exec, exec, s[22:23]
	s_and_b64 s[18:19], exec, s[20:21]
	s_or_b64 s[16:17], s[18:19], s[16:17]
	s_andn2_b64 exec, exec, s[16:17]
	s_cbranch_execz .LBB61_32
.LBB61_37:                              ;   Parent Loop BB61_34 Depth=1
                                        ; =>  This Inner Loop Header: Depth=2
	v_cmp_ne_u32_e32 vcc, s1, v15
	s_mov_b64 s[18:19], 0
	s_and_saveexec_b64 s[20:21], vcc
	s_xor_b64 s[20:21], exec, s[20:21]
	s_cbranch_execz .LBB61_39
; %bb.38:                               ;   in Loop: Header=BB61_37 Depth=2
	v_add_u32_e32 v11, 1, v11
	s_mov_b64 s[18:19], exec
	v_and_b32_e32 v11, 31, v11
                                        ; implicit-def: $vgpr14
	s_andn2_saveexec_b64 s[20:21], s[20:21]
	s_cbranch_execz .LBB61_41
	s_branch .LBB61_40
.LBB61_39:                              ;   in Loop: Header=BB61_37 Depth=2
	s_andn2_saveexec_b64 s[20:21], s[20:21]
	s_cbranch_execz .LBB61_41
.LBB61_40:                              ;   in Loop: Header=BB61_37 Depth=2
	v_mov_b32_e32 v15, s1
	ds_cmpst_rtn_b32 v14, v14, v15, v13
	s_andn2_b64 s[18:19], s[18:19], exec
	s_waitcnt lgkmcnt(0)
	v_cmp_ne_u32_e32 vcc, s1, v14
	s_and_b64 s[22:23], vcc, exec
	s_or_b64 s[18:19], s[18:19], s[22:23]
.LBB61_41:                              ;   in Loop: Header=BB61_37 Depth=2
	s_or_b64 exec, exec, s[20:21]
	s_mov_b64 s[20:21], -1
                                        ; implicit-def: $vgpr14
                                        ; implicit-def: $vgpr15
	s_and_saveexec_b64 s[22:23], s[18:19]
	s_cbranch_execz .LBB61_36
; %bb.42:                               ;   in Loop: Header=BB61_37 Depth=2
	v_lshl_add_u32 v14, v11, 2, v25
	ds_read_b32 v15, v14
	s_waitcnt lgkmcnt(0)
	v_cmp_eq_u32_e32 vcc, v15, v13
	s_orn2_b64 s[20:21], vcc, exec
	s_branch .LBB61_36
.LBB61_43:
	s_or_b64 exec, exec, s[2:3]
.LBB61_44:
	v_lshl_add_u64 v[0:1], v[8:9], 2, s[14:15]
	s_waitcnt lgkmcnt(0)
	global_load_dword v0, v[0:1], off
	s_mov_b64 s[2:3], 0
	s_waitcnt vmcnt(0)
	v_subrev_u32_e32 v0, s26, v0
	s_branch .LBB61_46
.LBB61_45:                              ;   in Loop: Header=BB61_46 Depth=1
	s_or_b64 exec, exec, s[4:5]
	v_add_co_u32_e32 v22, vcc, 16, v22
	s_xor_b64 s[4:5], vcc, -1
	s_and_b64 s[4:5], exec, s[4:5]
	v_add_u32_e32 v23, 0x100, v23
	s_or_b64 s[2:3], s[4:5], s[2:3]
	v_add_u32_e32 v24, 64, v24
	s_andn2_b64 exec, exec, s[2:3]
	s_cbranch_execz .LBB61_48
.LBB61_46:                              ; =>This Inner Loop Header: Depth=1
	ds_read_b32 v1, v24
	s_waitcnt lgkmcnt(0)
	v_cmp_gt_i32_e32 vcc, s1, v1
	s_and_saveexec_b64 s[4:5], vcc
	s_cbranch_execz .LBB61_45
; %bb.47:                               ;   in Loop: Header=BB61_46 Depth=1
	ds_read_b128 v[2:5], v25
	ds_read_b128 v[6:9], v25 offset:16
	ds_read_b128 v[10:13], v25 offset:32
	;; [unrolled: 1-line block ×3, first 2 shown]
	s_waitcnt lgkmcnt(3)
	v_cmp_gt_i32_e32 vcc, v1, v2
	s_nop 1
	v_cndmask_b32_e64 v2, 0, 1, vcc
	v_cmp_gt_i32_e32 vcc, v1, v3
	s_nop 1
	v_addc_co_u32_e32 v2, vcc, v0, v2, vcc
	v_cmp_gt_i32_e32 vcc, v1, v4
	s_nop 1
	v_cndmask_b32_e64 v3, 0, 1, vcc
	v_cmp_gt_i32_e32 vcc, v1, v5
	s_nop 1
	v_addc_co_u32_e32 v2, vcc, v2, v3, vcc
	s_waitcnt lgkmcnt(2)
	v_cmp_gt_i32_e32 vcc, v1, v6
	s_nop 1
	v_cndmask_b32_e64 v3, 0, 1, vcc
	v_cmp_gt_i32_e32 vcc, v1, v7
	s_nop 1
	v_addc_co_u32_e32 v2, vcc, v2, v3, vcc
	v_cmp_gt_i32_e32 vcc, v1, v8
	s_nop 1
	v_cndmask_b32_e64 v3, 0, 1, vcc
	v_cmp_gt_i32_e32 vcc, v1, v9
	s_nop 1
	v_addc_co_u32_e32 v2, vcc, v2, v3, vcc
	;; [unrolled: 13-line block ×3, first 2 shown]
	s_waitcnt lgkmcnt(0)
	v_cmp_gt_i32_e32 vcc, v1, v14
	s_nop 1
	v_cndmask_b32_e64 v3, 0, 1, vcc
	v_cmp_gt_i32_e32 vcc, v1, v15
	s_nop 1
	v_addc_co_u32_e32 v6, vcc, v2, v3, vcc
	ds_read_b128 v[2:5], v25 offset:64
	v_cmp_gt_i32_e32 vcc, v1, v16
	s_nop 1
	v_cndmask_b32_e64 v7, 0, 1, vcc
	v_cmp_gt_i32_e32 vcc, v1, v17
	s_nop 1
	v_addc_co_u32_e32 v10, vcc, v6, v7, vcc
	ds_read_b128 v[6:9], v25 offset:80
	s_waitcnt lgkmcnt(1)
	v_cmp_gt_i32_e32 vcc, v1, v2
	s_nop 1
	v_cndmask_b32_e64 v2, 0, 1, vcc
	v_cmp_gt_i32_e32 vcc, v1, v3
	s_nop 1
	v_addc_co_u32_e32 v2, vcc, v10, v2, vcc
	v_cmp_gt_i32_e32 vcc, v1, v4
	s_nop 1
	v_cndmask_b32_e64 v3, 0, 1, vcc
	v_cmp_gt_i32_e32 vcc, v1, v5
	s_nop 1
	v_addc_co_u32_e32 v2, vcc, v2, v3, vcc
	s_waitcnt lgkmcnt(0)
	v_cmp_gt_i32_e32 vcc, v1, v6
	s_nop 1
	v_cndmask_b32_e64 v3, 0, 1, vcc
	v_cmp_gt_i32_e32 vcc, v1, v7
	s_nop 1
	v_addc_co_u32_e32 v6, vcc, v2, v3, vcc
	ds_read_b128 v[2:5], v25 offset:96
	v_cmp_gt_i32_e32 vcc, v1, v8
	s_nop 1
	v_cndmask_b32_e64 v7, 0, 1, vcc
	v_cmp_gt_i32_e32 vcc, v1, v9
	s_nop 1
	v_addc_co_u32_e32 v10, vcc, v6, v7, vcc
	ds_read_b128 v[6:9], v25 offset:112
	s_waitcnt lgkmcnt(1)
	v_cmp_gt_i32_e32 vcc, v1, v2
	s_nop 1
	v_cndmask_b32_e64 v2, 0, 1, vcc
	v_cmp_gt_i32_e32 vcc, v1, v3
	s_nop 1
	v_addc_co_u32_e32 v2, vcc, v10, v2, vcc
	v_cmp_gt_i32_e32 vcc, v1, v4
	s_nop 1
	v_cndmask_b32_e64 v3, 0, 1, vcc
	v_cmp_gt_i32_e32 vcc, v1, v5
	s_nop 1
	v_addc_co_u32_e32 v2, vcc, v2, v3, vcc
	s_waitcnt lgkmcnt(0)
	v_cmp_gt_i32_e32 vcc, v1, v6
	s_nop 1
	v_cndmask_b32_e64 v3, 0, 1, vcc
	v_cmp_gt_i32_e32 vcc, v1, v7
	s_nop 1
	v_addc_co_u32_e32 v6, vcc, v2, v3, vcc
	v_cmp_gt_i32_e32 vcc, v1, v8
	ds_read2_b64 v[2:5], v23 offset1:1
	s_nop 0
	v_cndmask_b32_e64 v7, 0, 1, vcc
	v_cmp_gt_i32_e32 vcc, v1, v9
	s_nop 1
	v_addc_co_u32_e32 v6, vcc, v6, v7, vcc
	v_ashrrev_i32_e32 v7, 31, v6
	v_lshl_add_u64 v[6:7], v[6:7], 4, s[6:7]
	s_waitcnt lgkmcnt(0)
	global_store_dwordx4 v[6:7], v[2:5], off
	s_branch .LBB61_45
.LBB61_48:
	s_endpgm
	.section	.rodata,"a",@progbits
	.p2align	6, 0x0
	.amdhsa_kernel _ZN9rocsparseL38csrgemm_numeric_fill_wf_per_row_kernelILj256ELj16ELj32ELj137Eii21rocsparse_complex_numIdEEEvT4_S3_PKS3_S5_NS_24const_host_device_scalarIT5_EEPKT3_S5_PKS7_SB_S5_SD_S8_SB_S5_SD_SB_S5_PS7_21rocsparse_index_base_SF_SF_SF_bbb
		.amdhsa_group_segment_fixed_size 10240
		.amdhsa_private_segment_fixed_size 24
		.amdhsa_kernarg_size 172
		.amdhsa_user_sgpr_count 2
		.amdhsa_user_sgpr_dispatch_ptr 0
		.amdhsa_user_sgpr_queue_ptr 0
		.amdhsa_user_sgpr_kernarg_segment_ptr 1
		.amdhsa_user_sgpr_dispatch_id 0
		.amdhsa_user_sgpr_kernarg_preload_length 0
		.amdhsa_user_sgpr_kernarg_preload_offset 0
		.amdhsa_user_sgpr_private_segment_size 0
		.amdhsa_uses_dynamic_stack 0
		.amdhsa_enable_private_segment 1
		.amdhsa_system_sgpr_workgroup_id_x 1
		.amdhsa_system_sgpr_workgroup_id_y 0
		.amdhsa_system_sgpr_workgroup_id_z 0
		.amdhsa_system_sgpr_workgroup_info 0
		.amdhsa_system_vgpr_workitem_id 0
		.amdhsa_next_free_vgpr 34
		.amdhsa_next_free_sgpr 50
		.amdhsa_accum_offset 36
		.amdhsa_reserve_vcc 1
		.amdhsa_float_round_mode_32 0
		.amdhsa_float_round_mode_16_64 0
		.amdhsa_float_denorm_mode_32 3
		.amdhsa_float_denorm_mode_16_64 3
		.amdhsa_dx10_clamp 1
		.amdhsa_ieee_mode 1
		.amdhsa_fp16_overflow 0
		.amdhsa_tg_split 0
		.amdhsa_exception_fp_ieee_invalid_op 0
		.amdhsa_exception_fp_denorm_src 0
		.amdhsa_exception_fp_ieee_div_zero 0
		.amdhsa_exception_fp_ieee_overflow 0
		.amdhsa_exception_fp_ieee_underflow 0
		.amdhsa_exception_fp_ieee_inexact 0
		.amdhsa_exception_int_div_zero 0
	.end_amdhsa_kernel
	.section	.text._ZN9rocsparseL38csrgemm_numeric_fill_wf_per_row_kernelILj256ELj16ELj32ELj137Eii21rocsparse_complex_numIdEEEvT4_S3_PKS3_S5_NS_24const_host_device_scalarIT5_EEPKT3_S5_PKS7_SB_S5_SD_S8_SB_S5_SD_SB_S5_PS7_21rocsparse_index_base_SF_SF_SF_bbb,"axG",@progbits,_ZN9rocsparseL38csrgemm_numeric_fill_wf_per_row_kernelILj256ELj16ELj32ELj137Eii21rocsparse_complex_numIdEEEvT4_S3_PKS3_S5_NS_24const_host_device_scalarIT5_EEPKT3_S5_PKS7_SB_S5_SD_S8_SB_S5_SD_SB_S5_PS7_21rocsparse_index_base_SF_SF_SF_bbb,comdat
.Lfunc_end61:
	.size	_ZN9rocsparseL38csrgemm_numeric_fill_wf_per_row_kernelILj256ELj16ELj32ELj137Eii21rocsparse_complex_numIdEEEvT4_S3_PKS3_S5_NS_24const_host_device_scalarIT5_EEPKT3_S5_PKS7_SB_S5_SD_S8_SB_S5_SD_SB_S5_PS7_21rocsparse_index_base_SF_SF_SF_bbb, .Lfunc_end61-_ZN9rocsparseL38csrgemm_numeric_fill_wf_per_row_kernelILj256ELj16ELj32ELj137Eii21rocsparse_complex_numIdEEEvT4_S3_PKS3_S5_NS_24const_host_device_scalarIT5_EEPKT3_S5_PKS7_SB_S5_SD_S8_SB_S5_SD_SB_S5_PS7_21rocsparse_index_base_SF_SF_SF_bbb
                                        ; -- End function
	.set _ZN9rocsparseL38csrgemm_numeric_fill_wf_per_row_kernelILj256ELj16ELj32ELj137Eii21rocsparse_complex_numIdEEEvT4_S3_PKS3_S5_NS_24const_host_device_scalarIT5_EEPKT3_S5_PKS7_SB_S5_SD_S8_SB_S5_SD_SB_S5_PS7_21rocsparse_index_base_SF_SF_SF_bbb.num_vgpr, 34
	.set _ZN9rocsparseL38csrgemm_numeric_fill_wf_per_row_kernelILj256ELj16ELj32ELj137Eii21rocsparse_complex_numIdEEEvT4_S3_PKS3_S5_NS_24const_host_device_scalarIT5_EEPKT3_S5_PKS7_SB_S5_SD_S8_SB_S5_SD_SB_S5_PS7_21rocsparse_index_base_SF_SF_SF_bbb.num_agpr, 0
	.set _ZN9rocsparseL38csrgemm_numeric_fill_wf_per_row_kernelILj256ELj16ELj32ELj137Eii21rocsparse_complex_numIdEEEvT4_S3_PKS3_S5_NS_24const_host_device_scalarIT5_EEPKT3_S5_PKS7_SB_S5_SD_S8_SB_S5_SD_SB_S5_PS7_21rocsparse_index_base_SF_SF_SF_bbb.numbered_sgpr, 50
	.set _ZN9rocsparseL38csrgemm_numeric_fill_wf_per_row_kernelILj256ELj16ELj32ELj137Eii21rocsparse_complex_numIdEEEvT4_S3_PKS3_S5_NS_24const_host_device_scalarIT5_EEPKT3_S5_PKS7_SB_S5_SD_S8_SB_S5_SD_SB_S5_PS7_21rocsparse_index_base_SF_SF_SF_bbb.num_named_barrier, 0
	.set _ZN9rocsparseL38csrgemm_numeric_fill_wf_per_row_kernelILj256ELj16ELj32ELj137Eii21rocsparse_complex_numIdEEEvT4_S3_PKS3_S5_NS_24const_host_device_scalarIT5_EEPKT3_S5_PKS7_SB_S5_SD_S8_SB_S5_SD_SB_S5_PS7_21rocsparse_index_base_SF_SF_SF_bbb.private_seg_size, 24
	.set _ZN9rocsparseL38csrgemm_numeric_fill_wf_per_row_kernelILj256ELj16ELj32ELj137Eii21rocsparse_complex_numIdEEEvT4_S3_PKS3_S5_NS_24const_host_device_scalarIT5_EEPKT3_S5_PKS7_SB_S5_SD_S8_SB_S5_SD_SB_S5_PS7_21rocsparse_index_base_SF_SF_SF_bbb.uses_vcc, 1
	.set _ZN9rocsparseL38csrgemm_numeric_fill_wf_per_row_kernelILj256ELj16ELj32ELj137Eii21rocsparse_complex_numIdEEEvT4_S3_PKS3_S5_NS_24const_host_device_scalarIT5_EEPKT3_S5_PKS7_SB_S5_SD_S8_SB_S5_SD_SB_S5_PS7_21rocsparse_index_base_SF_SF_SF_bbb.uses_flat_scratch, 0
	.set _ZN9rocsparseL38csrgemm_numeric_fill_wf_per_row_kernelILj256ELj16ELj32ELj137Eii21rocsparse_complex_numIdEEEvT4_S3_PKS3_S5_NS_24const_host_device_scalarIT5_EEPKT3_S5_PKS7_SB_S5_SD_S8_SB_S5_SD_SB_S5_PS7_21rocsparse_index_base_SF_SF_SF_bbb.has_dyn_sized_stack, 0
	.set _ZN9rocsparseL38csrgemm_numeric_fill_wf_per_row_kernelILj256ELj16ELj32ELj137Eii21rocsparse_complex_numIdEEEvT4_S3_PKS3_S5_NS_24const_host_device_scalarIT5_EEPKT3_S5_PKS7_SB_S5_SD_S8_SB_S5_SD_SB_S5_PS7_21rocsparse_index_base_SF_SF_SF_bbb.has_recursion, 0
	.set _ZN9rocsparseL38csrgemm_numeric_fill_wf_per_row_kernelILj256ELj16ELj32ELj137Eii21rocsparse_complex_numIdEEEvT4_S3_PKS3_S5_NS_24const_host_device_scalarIT5_EEPKT3_S5_PKS7_SB_S5_SD_S8_SB_S5_SD_SB_S5_PS7_21rocsparse_index_base_SF_SF_SF_bbb.has_indirect_call, 0
	.section	.AMDGPU.csdata,"",@progbits
; Kernel info:
; codeLenInByte = 2164
; TotalNumSgprs: 56
; NumVgprs: 34
; NumAgprs: 0
; TotalNumVgprs: 34
; ScratchSize: 24
; MemoryBound: 0
; FloatMode: 240
; IeeeMode: 1
; LDSByteSize: 10240 bytes/workgroup (compile time only)
; SGPRBlocks: 6
; VGPRBlocks: 4
; NumSGPRsForWavesPerEU: 56
; NumVGPRsForWavesPerEU: 34
; AccumOffset: 36
; Occupancy: 8
; WaveLimiterHint : 1
; COMPUTE_PGM_RSRC2:SCRATCH_EN: 1
; COMPUTE_PGM_RSRC2:USER_SGPR: 2
; COMPUTE_PGM_RSRC2:TRAP_HANDLER: 0
; COMPUTE_PGM_RSRC2:TGID_X_EN: 1
; COMPUTE_PGM_RSRC2:TGID_Y_EN: 0
; COMPUTE_PGM_RSRC2:TGID_Z_EN: 0
; COMPUTE_PGM_RSRC2:TIDIG_COMP_CNT: 0
; COMPUTE_PGM_RSRC3_GFX90A:ACCUM_OFFSET: 8
; COMPUTE_PGM_RSRC3_GFX90A:TG_SPLIT: 0
	.section	.text._ZN9rocsparseL41csrgemm_numeric_fill_block_per_row_kernelILj128ELj16ELj256ELj137ELj32Eii21rocsparse_complex_numIdEEEvT5_PKS3_S5_NS_24const_host_device_scalarIT6_EEPKT4_S5_PKS7_SB_S5_SD_S8_SB_S5_SD_SB_S5_PS7_21rocsparse_index_base_SF_SF_SF_bbb,"axG",@progbits,_ZN9rocsparseL41csrgemm_numeric_fill_block_per_row_kernelILj128ELj16ELj256ELj137ELj32Eii21rocsparse_complex_numIdEEEvT5_PKS3_S5_NS_24const_host_device_scalarIT6_EEPKT4_S5_PKS7_SB_S5_SD_S8_SB_S5_SD_SB_S5_PS7_21rocsparse_index_base_SF_SF_SF_bbb,comdat
	.globl	_ZN9rocsparseL41csrgemm_numeric_fill_block_per_row_kernelILj128ELj16ELj256ELj137ELj32Eii21rocsparse_complex_numIdEEEvT5_PKS3_S5_NS_24const_host_device_scalarIT6_EEPKT4_S5_PKS7_SB_S5_SD_S8_SB_S5_SD_SB_S5_PS7_21rocsparse_index_base_SF_SF_SF_bbb ; -- Begin function _ZN9rocsparseL41csrgemm_numeric_fill_block_per_row_kernelILj128ELj16ELj256ELj137ELj32Eii21rocsparse_complex_numIdEEEvT5_PKS3_S5_NS_24const_host_device_scalarIT6_EEPKT4_S5_PKS7_SB_S5_SD_S8_SB_S5_SD_SB_S5_PS7_21rocsparse_index_base_SF_SF_SF_bbb
	.p2align	8
	.type	_ZN9rocsparseL41csrgemm_numeric_fill_block_per_row_kernelILj128ELj16ELj256ELj137ELj32Eii21rocsparse_complex_numIdEEEvT5_PKS3_S5_NS_24const_host_device_scalarIT6_EEPKT4_S5_PKS7_SB_S5_SD_S8_SB_S5_SD_SB_S5_PS7_21rocsparse_index_base_SF_SF_SF_bbb,@function
_ZN9rocsparseL41csrgemm_numeric_fill_block_per_row_kernelILj128ELj16ELj256ELj137ELj32Eii21rocsparse_complex_numIdEEEvT5_PKS3_S5_NS_24const_host_device_scalarIT6_EEPKT4_S5_PKS7_SB_S5_SD_S8_SB_S5_SD_SB_S5_PS7_21rocsparse_index_base_SF_SF_SF_bbb: ; @_ZN9rocsparseL41csrgemm_numeric_fill_block_per_row_kernelILj128ELj16ELj256ELj137ELj32Eii21rocsparse_complex_numIdEEEvT5_PKS3_S5_NS_24const_host_device_scalarIT6_EEPKT4_S5_PKS7_SB_S5_SD_S8_SB_S5_SD_SB_S5_PS7_21rocsparse_index_base_SF_SF_SF_bbb
; %bb.0:
	s_load_dword s3, s[0:1], 0xa8
	s_load_dwordx4 s[12:15], s[0:1], 0x18
	s_load_dwordx4 s[8:11], s[0:1], 0x58
	v_mov_b64_e32 v[6:7], 0
	v_mov_b64_e32 v[10:11], 0
	s_waitcnt lgkmcnt(0)
	s_bitcmp1_b32 s3, 0
	s_cselect_b64 s[38:39], -1, 0
	s_bitcmp1_b32 s3, 16
	s_cselect_b64 s[6:7], -1, 0
	s_xor_b64 s[4:5], s[6:7], -1
	v_mov_b64_e32 v[2:3], s[12:13]
	v_cndmask_b32_e64 v1, 0, 1, s[4:5]
	scratch_store_dwordx2 off, v[2:3], off offset:16
	v_mov_b64_e32 v[2:3], s[8:9]
	s_bitcmp0_b32 s3, 0
	v_cmp_ne_u32_e64 s[4:5], 1, v1
	v_mov_b64_e32 v[12:13], 0
	scratch_store_dwordx2 off, v[2:3], off offset:24
	s_cbranch_scc1 .LBB62_3
; %bb.1:
	s_mov_b64 s[16:17], src_private_base
	s_and_b64 s[18:19], s[6:7], exec
	s_cselect_b32 s16, s17, s13
	s_cselect_b32 s17, 16, s12
	v_mov_b32_e32 v2, s17
	v_mov_b32_e32 v3, s16
	flat_load_dwordx2 v[10:11], v[2:3]
	s_and_b64 vcc, exec, s[4:5]
	v_mov_b64_e32 v[12:13], s[14:15]
	s_cbranch_vccnz .LBB62_3
; %bb.2:
	v_mov_b64_e32 v[2:3], s[12:13]
	flat_load_dwordx2 v[12:13], v[2:3] offset:8
.LBB62_3:
	s_load_dwordx4 s[20:23], s[0:1], 0x98
	s_bitcmp1_b32 s3, 8
	s_cselect_b64 s[36:37], -1, 0
	s_bfe_u32 s3, s3, 0x10008
	s_cmp_eq_u32 s3, 0
	v_mov_b64_e32 v[8:9], 0
	s_cbranch_scc1 .LBB62_6
; %bb.4:
	s_mov_b64 s[12:13], src_private_base
	s_and_b64 s[6:7], s[6:7], exec
	s_cselect_b32 s3, s13, s9
	s_cselect_b32 s6, 24, s8
	v_mov_b32_e32 v2, s6
	v_mov_b32_e32 v3, s3
	flat_load_dwordx2 v[8:9], v[2:3]
	s_and_b64 vcc, exec, s[4:5]
	v_mov_b64_e32 v[6:7], s[10:11]
	s_cbranch_vccnz .LBB62_6
; %bb.5:
	v_mov_b64_e32 v[2:3], s[8:9]
	flat_load_dwordx2 v[6:7], v[2:3] offset:8
.LBB62_6:
	s_load_dwordx2 s[34:35], s[0:1], 0x90
	s_load_dwordx8 s[4:11], s[0:1], 0x68
	s_load_dwordx4 s[24:27], s[0:1], 0x48
	s_load_dwordx8 s[12:19], s[0:1], 0x28
	s_load_dwordx4 s[28:31], s[0:1], 0x8
	s_load_dword s33, s[0:1], 0x0
	s_movk_i32 s0, 0x100
	v_cmp_gt_u32_e64 s[0:1], s0, v0
	v_lshl_add_u32 v22, v0, 4, 0
	v_lshl_add_u32 v1, v0, 2, 0
	s_and_saveexec_b64 s[40:41], s[0:1]
	s_cbranch_execz .LBB62_9
; %bb.7:
	s_mov_b32 s44, 0
	s_mov_b32 s45, s44
	s_mov_b32 s46, s44
	s_mov_b32 s47, s44
	v_add_u32_e32 v14, 0x400, v22
	v_or_b32_e32 v15, 0xffffff80, v0
	v_lshl_add_u32 v16, v0, 2, 0
	s_mov_b64 s[42:43], 0
	s_waitcnt lgkmcnt(0)
	v_mov_b32_e32 v17, s33
	v_mov_b64_e32 v[2:3], s[44:45]
	v_mov_b64_e32 v[4:5], s[46:47]
.LBB62_8:                               ; =>This Inner Loop Header: Depth=1
	v_add_co_u32_e32 v15, vcc, 0x80, v15
	s_xor_b64 s[44:45], vcc, -1
	s_and_b64 s[44:45], exec, s[44:45]
	ds_write_b32 v16, v17
	ds_write2_b64 v14, v[2:3], v[4:5] offset1:1
	v_add_u32_e32 v14, 0x800, v14
	s_or_b64 s[42:43], s[44:45], s[42:43]
	v_add_u32_e32 v16, 0x200, v16
	s_andn2_b64 exec, exec, s[42:43]
	s_cbranch_execnz .LBB62_8
.LBB62_9:
	s_or_b64 exec, exec, s[40:41]
	s_waitcnt lgkmcnt(0)
	s_barrier
	s_load_dword s3, s[28:29], 0x0
	s_waitcnt lgkmcnt(0)
	s_add_i32 s2, s3, s2
	s_mov_b32 s3, 0
	s_lshl_b64 s[2:3], s[2:3], 2
	s_add_u32 s2, s30, s2
	s_addc_u32 s3, s31, s3
	s_load_dword s28, s[2:3], 0x0
	s_and_b64 vcc, exec, s[38:39]
	s_cbranch_vccz .LBB62_27
; %bb.10:
	s_waitcnt lgkmcnt(0)
	s_ashr_i32 s29, s28, 31
	s_lshl_b64 s[2:3], s[28:29], 2
	s_add_u32 s2, s12, s2
	s_addc_u32 s3, s13, s3
	s_load_dwordx2 s[12:13], s[2:3], 0x0
	v_lshrrev_b32_e32 v2, 4, v0
	v_subrev_u32_e32 v2, s20, v2
	s_waitcnt lgkmcnt(0)
	s_sub_i32 s29, s13, s20
	v_add_u32_e32 v14, s12, v2
	v_cmp_gt_i32_e32 vcc, s29, v14
	s_and_saveexec_b64 s[2:3], vcc
	s_cbranch_execz .LBB62_26
; %bb.11:
	v_and_b32_e32 v2, 15, v0
	v_subrev_u32_e32 v23, s21, v2
	s_mov_b64 s[12:13], 0
	s_movk_i32 s50, 0x89
	s_branch .LBB62_13
.LBB62_12:                              ;   in Loop: Header=BB62_13 Depth=1
	s_or_b64 exec, exec, s[30:31]
	v_add_u32_e32 v14, 8, v14
	v_cmp_le_i32_e32 vcc, s29, v14
	s_or_b64 s[12:13], vcc, s[12:13]
	s_andn2_b64 exec, exec, s[12:13]
	s_cbranch_execz .LBB62_26
.LBB62_13:                              ; =>This Loop Header: Depth=1
                                        ;     Child Loop BB62_17 Depth 2
                                        ;       Child Loop BB62_20 Depth 3
	v_ashrrev_i32_e32 v15, 31, v14
	v_lshl_add_u64 v[2:3], v[14:15], 2, s[14:15]
	global_load_dword v2, v[2:3], off
	s_waitcnt vmcnt(0)
	v_subrev_u32_e32 v2, s20, v2
	v_ashrrev_i32_e32 v3, 31, v2
	v_lshl_add_u64 v[2:3], v[2:3], 2, s[18:19]
	global_load_dwordx2 v[2:3], v[2:3], off
	s_waitcnt vmcnt(0)
	v_subrev_u32_e32 v24, s21, v3
	v_add_u32_e32 v16, v2, v23
	v_cmp_lt_i32_e32 vcc, v16, v24
	s_and_saveexec_b64 s[30:31], vcc
	s_cbranch_execz .LBB62_12
; %bb.14:                               ;   in Loop: Header=BB62_13 Depth=1
	v_lshl_add_u64 v[2:3], v[14:15], 4, s[16:17]
	global_load_dwordx4 v[2:5], v[2:3], off
	s_mov_b64 s[38:39], 0
	s_waitcnt vmcnt(0)
	v_mul_f64 v[18:19], v[4:5], -v[12:13]
	v_mul_f64 v[20:21], v[10:11], v[4:5]
	v_fmac_f64_e32 v[18:19], v[10:11], v[2:3]
	v_fmac_f64_e32 v[20:21], v[12:13], v[2:3]
	s_branch .LBB62_17
.LBB62_15:                              ;   in Loop: Header=BB62_17 Depth=2
	s_or_b64 exec, exec, s[42:43]
.LBB62_16:                              ;   in Loop: Header=BB62_17 Depth=2
	s_or_b64 exec, exec, s[40:41]
	s_waitcnt vmcnt(0)
	v_mul_f64 v[26:27], v[4:5], -v[20:21]
	v_mul_f64 v[4:5], v[18:19], v[4:5]
	v_fmac_f64_e32 v[26:27], v[18:19], v[2:3]
	v_fmac_f64_e32 v[4:5], v[20:21], v[2:3]
	v_lshl_add_u32 v2, v15, 4, 0
	ds_add_f64 v2, v[26:27] offset:1024
	ds_add_f64 v2, v[4:5] offset:1032
	v_add_u32_e32 v16, 16, v16
	v_cmp_ge_i32_e32 vcc, v16, v24
	s_or_b64 s[38:39], vcc, s[38:39]
	s_andn2_b64 exec, exec, s[38:39]
	s_cbranch_execz .LBB62_12
.LBB62_17:                              ;   Parent Loop BB62_13 Depth=1
                                        ; =>  This Loop Header: Depth=2
                                        ;       Child Loop BB62_20 Depth 3
	v_ashrrev_i32_e32 v17, 31, v16
	v_lshl_add_u64 v[2:3], v[16:17], 2, s[24:25]
	global_load_dword v15, v[2:3], off
	v_lshl_add_u64 v[2:3], v[16:17], 4, s[26:27]
	global_load_dwordx4 v[2:5], v[2:3], off
	s_waitcnt vmcnt(1)
	v_subrev_u32_e32 v17, s21, v15
	v_mul_lo_u32 v15, v17, s50
	v_and_b32_e32 v15, 0xff, v15
	v_lshl_add_u32 v25, v15, 2, 0
	ds_read_b32 v26, v25
	s_waitcnt lgkmcnt(0)
	v_cmp_ne_u32_e32 vcc, v26, v17
	s_and_saveexec_b64 s[40:41], vcc
	s_cbranch_execz .LBB62_16
; %bb.18:                               ;   in Loop: Header=BB62_17 Depth=2
	s_mov_b64 s[42:43], 0
	s_branch .LBB62_20
.LBB62_19:                              ;   in Loop: Header=BB62_20 Depth=3
	s_or_b64 exec, exec, s[48:49]
	s_and_b64 s[44:45], exec, s[46:47]
	s_or_b64 s[42:43], s[44:45], s[42:43]
	s_andn2_b64 exec, exec, s[42:43]
	s_cbranch_execz .LBB62_15
.LBB62_20:                              ;   Parent Loop BB62_13 Depth=1
                                        ;     Parent Loop BB62_17 Depth=2
                                        ; =>    This Inner Loop Header: Depth=3
	v_cmp_ne_u32_e32 vcc, s33, v26
	s_mov_b64 s[44:45], 0
	s_and_saveexec_b64 s[46:47], vcc
	s_xor_b64 s[46:47], exec, s[46:47]
	s_cbranch_execz .LBB62_22
; %bb.21:                               ;   in Loop: Header=BB62_20 Depth=3
	v_add_u32_e32 v15, 1, v15
	s_mov_b64 s[44:45], exec
	v_and_b32_e32 v15, 0xff, v15
                                        ; implicit-def: $vgpr25
	s_andn2_saveexec_b64 s[46:47], s[46:47]
	s_cbranch_execz .LBB62_24
	s_branch .LBB62_23
.LBB62_22:                              ;   in Loop: Header=BB62_20 Depth=3
	s_andn2_saveexec_b64 s[46:47], s[46:47]
	s_cbranch_execz .LBB62_24
.LBB62_23:                              ;   in Loop: Header=BB62_20 Depth=3
	v_mov_b32_e32 v26, s33
	ds_cmpst_rtn_b32 v25, v25, v26, v17
	s_andn2_b64 s[44:45], s[44:45], exec
	s_waitcnt lgkmcnt(0)
	v_cmp_ne_u32_e32 vcc, s33, v25
	s_and_b64 s[48:49], vcc, exec
	s_or_b64 s[44:45], s[44:45], s[48:49]
.LBB62_24:                              ;   in Loop: Header=BB62_20 Depth=3
	s_or_b64 exec, exec, s[46:47]
	s_mov_b64 s[46:47], -1
                                        ; implicit-def: $vgpr25
                                        ; implicit-def: $vgpr26
	s_and_saveexec_b64 s[48:49], s[44:45]
	s_cbranch_execz .LBB62_19
; %bb.25:                               ;   in Loop: Header=BB62_20 Depth=3
	v_lshl_add_u32 v25, v15, 2, 0
	ds_read_b32 v26, v25
	s_waitcnt lgkmcnt(0)
	v_cmp_eq_u32_e32 vcc, v26, v17
	s_orn2_b64 s[46:47], vcc, exec
	s_branch .LBB62_19
.LBB62_26:
	s_or_b64 exec, exec, s[2:3]
.LBB62_27:
	s_andn2_b64 vcc, exec, s[36:37]
	s_cbranch_vccnz .LBB62_42
; %bb.28:
	s_waitcnt lgkmcnt(0)
	s_ashr_i32 s29, s28, 31
	s_lshl_b64 s[2:3], s[28:29], 2
	s_add_u32 s2, s4, s2
	s_addc_u32 s3, s5, s3
	s_load_dwordx2 s[4:5], s[2:3], 0x0
	v_subrev_u32_e32 v2, s23, v0
	s_waitcnt lgkmcnt(0)
	s_sub_i32 s24, s5, s23
	s_waitcnt vmcnt(0)
	v_add_u32_e32 v10, s4, v2
	v_cmp_gt_i32_e32 vcc, s24, v10
	s_and_saveexec_b64 s[2:3], vcc
	s_cbranch_execz .LBB62_41
; %bb.29:
	s_mov_b64 s[4:5], 0
	s_movk_i32 s25, 0x89
	s_branch .LBB62_32
.LBB62_30:                              ;   in Loop: Header=BB62_32 Depth=1
	s_or_b64 exec, exec, s[14:15]
.LBB62_31:                              ;   in Loop: Header=BB62_32 Depth=1
	s_or_b64 exec, exec, s[12:13]
	s_waitcnt vmcnt(0)
	v_mul_f64 v[12:13], v[4:5], -v[6:7]
	v_mul_f64 v[4:5], v[8:9], v[4:5]
	v_fmac_f64_e32 v[12:13], v[8:9], v[2:3]
	v_fmac_f64_e32 v[4:5], v[6:7], v[2:3]
	v_lshl_add_u32 v2, v11, 4, 0
	ds_add_f64 v2, v[12:13] offset:1024
	ds_add_f64 v2, v[4:5] offset:1032
	v_add_u32_e32 v10, 0x80, v10
	v_cmp_le_i32_e32 vcc, s24, v10
	s_or_b64 s[4:5], vcc, s[4:5]
	s_andn2_b64 exec, exec, s[4:5]
	s_cbranch_execz .LBB62_41
.LBB62_32:                              ; =>This Loop Header: Depth=1
                                        ;     Child Loop BB62_35 Depth 2
	v_ashrrev_i32_e32 v11, 31, v10
	v_lshl_add_u64 v[2:3], v[10:11], 2, s[6:7]
	global_load_dword v12, v[2:3], off
	v_lshl_add_u64 v[2:3], v[10:11], 4, s[8:9]
	global_load_dwordx4 v[2:5], v[2:3], off
	s_waitcnt vmcnt(1)
	v_subrev_u32_e32 v12, s23, v12
	v_mul_lo_u32 v11, v12, s25
	v_and_b32_e32 v11, 0xff, v11
	v_lshl_add_u32 v13, v11, 2, 0
	ds_read_b32 v14, v13
	s_waitcnt lgkmcnt(0)
	v_cmp_ne_u32_e32 vcc, v14, v12
	s_and_saveexec_b64 s[12:13], vcc
	s_cbranch_execz .LBB62_31
; %bb.33:                               ;   in Loop: Header=BB62_32 Depth=1
	s_mov_b64 s[14:15], 0
	s_branch .LBB62_35
.LBB62_34:                              ;   in Loop: Header=BB62_35 Depth=2
	s_or_b64 exec, exec, s[20:21]
	s_and_b64 s[16:17], exec, s[18:19]
	s_or_b64 s[14:15], s[16:17], s[14:15]
	s_andn2_b64 exec, exec, s[14:15]
	s_cbranch_execz .LBB62_30
.LBB62_35:                              ;   Parent Loop BB62_32 Depth=1
                                        ; =>  This Inner Loop Header: Depth=2
	v_cmp_ne_u32_e32 vcc, s33, v14
	s_mov_b64 s[16:17], 0
	s_and_saveexec_b64 s[18:19], vcc
	s_xor_b64 s[18:19], exec, s[18:19]
	s_cbranch_execz .LBB62_37
; %bb.36:                               ;   in Loop: Header=BB62_35 Depth=2
	v_add_u32_e32 v11, 1, v11
	s_mov_b64 s[16:17], exec
	v_and_b32_e32 v11, 0xff, v11
                                        ; implicit-def: $vgpr13
	s_andn2_saveexec_b64 s[18:19], s[18:19]
	s_cbranch_execz .LBB62_39
	s_branch .LBB62_38
.LBB62_37:                              ;   in Loop: Header=BB62_35 Depth=2
	s_andn2_saveexec_b64 s[18:19], s[18:19]
	s_cbranch_execz .LBB62_39
.LBB62_38:                              ;   in Loop: Header=BB62_35 Depth=2
	v_mov_b32_e32 v14, s33
	ds_cmpst_rtn_b32 v13, v13, v14, v12
	s_andn2_b64 s[16:17], s[16:17], exec
	s_waitcnt lgkmcnt(0)
	v_cmp_ne_u32_e32 vcc, s33, v13
	s_and_b64 s[20:21], vcc, exec
	s_or_b64 s[16:17], s[16:17], s[20:21]
.LBB62_39:                              ;   in Loop: Header=BB62_35 Depth=2
	s_or_b64 exec, exec, s[18:19]
	s_mov_b64 s[18:19], -1
                                        ; implicit-def: $vgpr13
                                        ; implicit-def: $vgpr14
	s_and_saveexec_b64 s[20:21], s[16:17]
	s_cbranch_execz .LBB62_34
; %bb.40:                               ;   in Loop: Header=BB62_35 Depth=2
	v_lshl_add_u32 v13, v11, 2, 0
	ds_read_b32 v14, v13
	s_waitcnt lgkmcnt(0)
	v_cmp_eq_u32_e32 vcc, v14, v12
	s_orn2_b64 s[18:19], vcc, exec
	s_branch .LBB62_34
.LBB62_41:
	s_or_b64 exec, exec, s[2:3]
.LBB62_42:
	s_waitcnt lgkmcnt(0)
	s_barrier
	s_and_saveexec_b64 s[8:9], s[0:1]
	s_cbranch_execz .LBB62_55
; %bb.43:
	v_mbcnt_lo_u32_b32 v2, -1, 0
	v_mbcnt_hi_u32_b32 v2, -1, v2
	v_lshrrev_b32_e32 v5, 3, v0
	v_sub_u32_e32 v2, 63, v2
	v_and_b32_e32 v5, 12, v5
	s_movk_i32 s0, 0x7f
	s_movk_i32 s6, 0x5f
	v_mov_b32_e32 v4, 0
	v_lshrrev_b64 v[2:3], v2, -1
	v_add_u32_e32 v5, 0, v5
	v_cmp_eq_u32_e64 s[0:1], s0, v0
	v_cmp_lt_u32_e64 s[2:3], 31, v0
	v_cmp_lt_u32_e64 s[4:5], 63, v0
	;; [unrolled: 1-line block ×3, first 2 shown]
	s_waitcnt vmcnt(0)
	v_add_u32_e32 v6, 0x400, v22
	v_or_b32_e32 v7, 0xffffff80, v0
	s_mov_b64 s[12:13], 0
	v_mov_b32_e32 v8, 0
	s_branch .LBB62_45
.LBB62_44:                              ;   in Loop: Header=BB62_45 Depth=1
	s_or_b64 exec, exec, s[14:15]
	s_waitcnt lgkmcnt(0)
	s_barrier
	ds_read_b32 v9, v4 offset:5132
	v_add_co_u32_e32 v7, vcc, 0x80, v7
	s_xor_b64 s[14:15], vcc, -1
	s_and_b64 s[14:15], exec, s[14:15]
	v_add_u32_e32 v6, 0x800, v6
	s_waitcnt lgkmcnt(0)
	v_add_u32_e32 v8, v9, v8
	s_or_b64 s[12:13], s[14:15], s[12:13]
	v_add_u32_e32 v1, 0x200, v1
	s_andn2_b64 exec, exec, s[12:13]
	s_cbranch_execz .LBB62_55
.LBB62_45:                              ; =>This Inner Loop Header: Depth=1
	ds_read2_b64 v[12:15], v6 offset1:1
	ds_read_b32 v10, v1
	s_waitcnt lgkmcnt(1)
	scratch_store_dwordx4 off, v[12:15], off
	s_waitcnt lgkmcnt(0)
	v_cmp_gt_i32_e32 vcc, s33, v10
	s_bcnt1_i32_b64 s14, vcc
	s_nop 0
	v_and_b32_e32 v11, vcc_lo, v2
	v_and_b32_e32 v9, vcc_hi, v3
	v_bcnt_u32_b32 v11, v11, 0
	v_bcnt_u32_b32 v9, v9, v11
	v_mov_b32_e32 v11, s14
	s_barrier
	ds_write_b32 v5, v11 offset:5120
	s_waitcnt lgkmcnt(0)
	s_barrier
	s_and_saveexec_b64 s[14:15], s[2:3]
	s_cbranch_execz .LBB62_50
; %bb.46:                               ;   in Loop: Header=BB62_45 Depth=1
	ds_read_b32 v11, v4 offset:5120
	s_waitcnt lgkmcnt(0)
	v_add_u32_e32 v9, v11, v9
	s_or_b64 exec, exec, s[14:15]
	s_and_saveexec_b64 s[14:15], s[4:5]
	s_cbranch_execnz .LBB62_51
.LBB62_47:                              ;   in Loop: Header=BB62_45 Depth=1
	s_or_b64 exec, exec, s[14:15]
	s_and_saveexec_b64 s[14:15], s[6:7]
	s_cbranch_execz .LBB62_52
.LBB62_48:                              ;   in Loop: Header=BB62_45 Depth=1
	ds_read_b32 v11, v4 offset:5128
	s_waitcnt lgkmcnt(0)
	v_add_u32_e32 v9, v11, v9
	s_or_b64 exec, exec, s[14:15]
	s_and_saveexec_b64 s[14:15], vcc
	s_cbranch_execnz .LBB62_53
.LBB62_49:                              ;   in Loop: Header=BB62_45 Depth=1
	s_or_b64 exec, exec, s[14:15]
	s_and_saveexec_b64 s[14:15], s[0:1]
	s_cbranch_execz .LBB62_44
	s_branch .LBB62_54
.LBB62_50:                              ;   in Loop: Header=BB62_45 Depth=1
	s_or_b64 exec, exec, s[14:15]
	s_and_saveexec_b64 s[14:15], s[4:5]
	s_cbranch_execz .LBB62_47
.LBB62_51:                              ;   in Loop: Header=BB62_45 Depth=1
	ds_read_b32 v11, v4 offset:5124
	s_waitcnt lgkmcnt(0)
	v_add_u32_e32 v9, v11, v9
	s_or_b64 exec, exec, s[14:15]
	s_and_saveexec_b64 s[14:15], s[6:7]
	s_cbranch_execnz .LBB62_48
.LBB62_52:                              ;   in Loop: Header=BB62_45 Depth=1
	s_or_b64 exec, exec, s[14:15]
	s_and_saveexec_b64 s[14:15], vcc
	s_cbranch_execz .LBB62_49
.LBB62_53:                              ;   in Loop: Header=BB62_45 Depth=1
	scratch_load_dwordx4 v[12:15], off, off
	v_add3_u32 v11, v8, -1, v9
	v_lshl_add_u32 v11, v11, 2, 0
	v_add_u32_e32 v16, v8, v9
	v_lshl_add_u32 v16, v16, 4, 0
	ds_write_b32 v11, v10
	s_waitcnt vmcnt(0)
	ds_write2_b64 v16, v[12:13], v[14:15] offset0:126 offset1:127
	s_or_b64 exec, exec, s[14:15]
	s_and_saveexec_b64 s[14:15], s[0:1]
	s_cbranch_execz .LBB62_44
.LBB62_54:                              ;   in Loop: Header=BB62_45 Depth=1
	ds_write_b32 v4, v9 offset:5132
	s_branch .LBB62_44
.LBB62_55:
	s_or_b64 exec, exec, s[8:9]
	s_ashr_i32 s29, s28, 31
	s_lshl_b64 s[0:1], s[28:29], 2
	s_add_u32 s2, s10, s0
	s_addc_u32 s3, s11, s1
	s_load_dwordx2 s[0:1], s[2:3], 0x0
	s_waitcnt lgkmcnt(0)
	s_sub_i32 s14, s1, s0
	v_cmp_gt_i32_e32 vcc, s14, v0
	s_and_saveexec_b64 s[2:3], vcc
	s_cbranch_execz .LBB62_69
; %bb.56:
	s_sub_i32 s8, s0, s22
	v_sub_co_u32_e64 v1, s[0:1], s14, 2
	s_nop 0
	v_readfirstlane_b32 s2, v1
	s_lshr_b32 s2, s2, 1
	s_add_i32 s2, s2, 1
	s_xor_b64 s[0:1], s[0:1], -1
	s_and_b32 s15, s14, -2
	s_and_b32 s3, s2, 7
	s_and_b32 s16, s2, -8
	s_cmp_lg_u32 s3, 0
	v_cmp_lt_u32_e32 vcc, 13, v1
	s_cselect_b64 s[4:5], -1, 0
	s_cmp_lg_u32 s14, s15
	v_cndmask_b32_e64 v1, 0, 1, vcc
	s_cselect_b64 s[10:11], -1, 0
	s_lshl_b32 s17, s3, 3
	v_cndmask_b32_e64 v2, 0, 1, s[0:1]
	v_cmp_ne_u32_e64 s[2:3], 1, v1
	v_cndmask_b32_e64 v1, 0, 1, s[4:5]
	s_mov_b32 s9, 0
	s_mov_b64 s[12:13], 0
	v_cmp_ne_u32_e64 s[0:1], 1, v2
	v_cmp_ne_u32_e64 s[4:5], 1, v1
	s_waitcnt vmcnt(0)
	s_branch .LBB62_58
.LBB62_57:                              ;   in Loop: Header=BB62_58 Depth=1
	v_mad_u64_u32 v[2:3], s[6:7], v0, 12, v[2:3]
	ds_read2_b64 v[6:9], v2 offset0:128 offset1:129
	v_add_u32_e32 v0, 0x80, v0
	v_ashrrev_i32_e32 v5, 31, v4
	v_cmp_le_i32_e32 vcc, s14, v0
	v_lshl_add_u64 v[2:3], v[4:5], 4, s[34:35]
	s_or_b64 s[12:13], vcc, s[12:13]
	s_waitcnt lgkmcnt(0)
	global_store_dwordx4 v[2:3], v[6:9], off
	s_andn2_b64 exec, exec, s[12:13]
	s_cbranch_execz .LBB62_69
.LBB62_58:                              ; =>This Loop Header: Depth=1
                                        ;     Child Loop BB62_61 Depth 2
                                        ;     Child Loop BB62_64 Depth 2
	;; [unrolled: 1-line block ×3, first 2 shown]
	v_lshl_add_u32 v2, v0, 2, 0
	ds_read_b32 v1, v2
	s_and_b64 vcc, exec, s[0:1]
	v_mov_b32_e32 v4, s8
	s_mov_b32 s18, 0
	s_mov_b64 s[6:7], -1
	s_cbranch_vccnz .LBB62_66
; %bb.59:                               ;   in Loop: Header=BB62_58 Depth=1
	s_and_b64 vcc, exec, s[2:3]
	v_mov_b64_e32 v[4:5], s[8:9]
	s_cbranch_vccnz .LBB62_62
; %bb.60:                               ;   in Loop: Header=BB62_58 Depth=1
	s_mov_b32 s19, 0
	v_mov_b32_e32 v4, s8
	v_mov_b32_e32 v5, 0
	s_mov_b32 s20, s16
.LBB62_61:                              ;   Parent Loop BB62_58 Depth=1
                                        ; =>  This Inner Loop Header: Depth=2
	v_mov_b32_e32 v3, s19
	ds_read2_b32 v[6:7], v3 offset1:1
	ds_read2_b32 v[8:9], v3 offset0:2 offset1:3
	ds_read2_b32 v[10:11], v3 offset0:4 offset1:5
	;; [unrolled: 1-line block ×7, first 2 shown]
	s_waitcnt lgkmcnt(7)
	v_cmp_gt_i32_e32 vcc, v1, v7
	s_waitcnt lgkmcnt(5)
	v_cmp_gt_i32_e64 s[6:7], v1, v10
	s_add_i32 s18, s18, 16
	v_cndmask_b32_e64 v3, 0, 1, vcc
	v_cmp_gt_i32_e32 vcc, v1, v6
	v_cndmask_b32_e64 v7, 0, 1, s[6:7]
	v_cmp_gt_i32_e64 s[6:7], v1, v11
	v_cndmask_b32_e64 v6, 0, 1, vcc
	v_cmp_gt_i32_e32 vcc, v1, v9
	v_cndmask_b32_e64 v9, 0, 1, s[6:7]
	s_waitcnt lgkmcnt(3)
	v_cmp_gt_i32_e64 s[6:7], v1, v15
	v_addc_co_u32_e32 v3, vcc, v5, v3, vcc
	s_nop 0
	v_cndmask_b32_e64 v10, 0, 1, s[6:7]
	v_cmp_gt_i32_e64 s[6:7], v1, v14
	v_cmp_gt_i32_e32 vcc, v1, v12
	s_add_i32 s19, s19, 64
	v_cndmask_b32_e64 v11, 0, 1, s[6:7]
	s_waitcnt lgkmcnt(1)
	v_cmp_gt_i32_e64 s[6:7], v1, v18
	s_add_i32 s20, s20, -8
	s_cmp_lg_u32 s20, 0
	v_cndmask_b32_e64 v14, 0, 1, s[6:7]
	v_cmp_gt_i32_e64 s[6:7], v1, v19
	s_nop 1
	v_cndmask_b32_e64 v15, 0, 1, s[6:7]
	v_cmp_gt_i32_e64 s[6:7], v1, v8
	s_nop 1
	v_addc_co_u32_e64 v4, s[6:7], v4, v6, s[6:7]
	v_cmp_gt_i32_e64 s[6:7], v1, v13
	v_addc_co_u32_e32 v4, vcc, v4, v7, vcc
	s_nop 0
	v_addc_co_u32_e64 v3, s[6:7], v3, v9, s[6:7]
	v_cmp_gt_i32_e32 vcc, v1, v17
	v_cmp_gt_i32_e64 s[6:7], v1, v16
	s_nop 0
	v_addc_co_u32_e32 v3, vcc, v3, v10, vcc
	v_addc_co_u32_e64 v4, s[6:7], v4, v11, s[6:7]
	s_waitcnt lgkmcnt(0)
	v_cmp_gt_i32_e32 vcc, v1, v20
	v_cmp_gt_i32_e64 s[6:7], v1, v21
	s_nop 0
	v_addc_co_u32_e32 v4, vcc, v4, v14, vcc
	v_addc_co_u32_e64 v5, s[6:7], v3, v15, s[6:7]
	s_cbranch_scc1 .LBB62_61
.LBB62_62:                              ;   in Loop: Header=BB62_58 Depth=1
	s_and_b64 vcc, exec, s[4:5]
	s_cbranch_vccnz .LBB62_65
; %bb.63:                               ;   in Loop: Header=BB62_58 Depth=1
	s_lshl_b32 s6, s18, 2
	s_add_i32 s6, s6, 0
	s_mov_b32 s7, s17
.LBB62_64:                              ;   Parent Loop BB62_58 Depth=1
                                        ; =>  This Inner Loop Header: Depth=2
	v_mov_b32_e32 v3, s6
	ds_read2_b32 v[6:7], v3 offset1:1
	s_add_i32 s6, s6, 8
	s_add_i32 s7, s7, -8
	s_cmp_lg_u32 s7, 0
	s_waitcnt lgkmcnt(0)
	v_cmp_gt_i32_e32 vcc, v1, v7
	s_nop 1
	v_addc_co_u32_e32 v5, vcc, 0, v5, vcc
	v_cmp_gt_i32_e32 vcc, v1, v6
	s_nop 1
	v_addc_co_u32_e32 v4, vcc, 0, v4, vcc
	s_cbranch_scc1 .LBB62_64
.LBB62_65:                              ;   in Loop: Header=BB62_58 Depth=1
	v_add_u32_e32 v4, v4, v5
	s_mov_b32 s18, s15
	s_mov_b64 s[6:7], s[10:11]
.LBB62_66:                              ;   in Loop: Header=BB62_58 Depth=1
	s_and_b64 vcc, exec, s[6:7]
	s_cbranch_vccz .LBB62_57
; %bb.67:                               ;   in Loop: Header=BB62_58 Depth=1
	s_lshl_b32 s6, s18, 2
	s_add_i32 s6, s6, 0
.LBB62_68:                              ;   Parent Loop BB62_58 Depth=1
                                        ; =>  This Inner Loop Header: Depth=2
	v_mov_b32_e32 v3, s6
	ds_read_b32 v3, v3
	s_add_i32 s18, s18, 1
	s_add_i32 s6, s6, 4
	s_cmp_ge_i32 s18, s14
	s_waitcnt lgkmcnt(0)
	v_cmp_gt_i32_e32 vcc, v1, v3
	s_nop 1
	v_addc_co_u32_e32 v4, vcc, 0, v4, vcc
	s_cbranch_scc0 .LBB62_68
	s_branch .LBB62_57
.LBB62_69:
	s_endpgm
	.section	.rodata,"a",@progbits
	.p2align	6, 0x0
	.amdhsa_kernel _ZN9rocsparseL41csrgemm_numeric_fill_block_per_row_kernelILj128ELj16ELj256ELj137ELj32Eii21rocsparse_complex_numIdEEEvT5_PKS3_S5_NS_24const_host_device_scalarIT6_EEPKT4_S5_PKS7_SB_S5_SD_S8_SB_S5_SD_SB_S5_PS7_21rocsparse_index_base_SF_SF_SF_bbb
		.amdhsa_group_segment_fixed_size 0
		.amdhsa_private_segment_fixed_size 40
		.amdhsa_kernarg_size 172
		.amdhsa_user_sgpr_count 2
		.amdhsa_user_sgpr_dispatch_ptr 0
		.amdhsa_user_sgpr_queue_ptr 0
		.amdhsa_user_sgpr_kernarg_segment_ptr 1
		.amdhsa_user_sgpr_dispatch_id 0
		.amdhsa_user_sgpr_kernarg_preload_length 0
		.amdhsa_user_sgpr_kernarg_preload_offset 0
		.amdhsa_user_sgpr_private_segment_size 0
		.amdhsa_uses_dynamic_stack 0
		.amdhsa_enable_private_segment 1
		.amdhsa_system_sgpr_workgroup_id_x 1
		.amdhsa_system_sgpr_workgroup_id_y 0
		.amdhsa_system_sgpr_workgroup_id_z 0
		.amdhsa_system_sgpr_workgroup_info 0
		.amdhsa_system_vgpr_workitem_id 0
		.amdhsa_next_free_vgpr 28
		.amdhsa_next_free_sgpr 51
		.amdhsa_accum_offset 28
		.amdhsa_reserve_vcc 1
		.amdhsa_float_round_mode_32 0
		.amdhsa_float_round_mode_16_64 0
		.amdhsa_float_denorm_mode_32 3
		.amdhsa_float_denorm_mode_16_64 3
		.amdhsa_dx10_clamp 1
		.amdhsa_ieee_mode 1
		.amdhsa_fp16_overflow 0
		.amdhsa_tg_split 0
		.amdhsa_exception_fp_ieee_invalid_op 0
		.amdhsa_exception_fp_denorm_src 0
		.amdhsa_exception_fp_ieee_div_zero 0
		.amdhsa_exception_fp_ieee_overflow 0
		.amdhsa_exception_fp_ieee_underflow 0
		.amdhsa_exception_fp_ieee_inexact 0
		.amdhsa_exception_int_div_zero 0
	.end_amdhsa_kernel
	.section	.text._ZN9rocsparseL41csrgemm_numeric_fill_block_per_row_kernelILj128ELj16ELj256ELj137ELj32Eii21rocsparse_complex_numIdEEEvT5_PKS3_S5_NS_24const_host_device_scalarIT6_EEPKT4_S5_PKS7_SB_S5_SD_S8_SB_S5_SD_SB_S5_PS7_21rocsparse_index_base_SF_SF_SF_bbb,"axG",@progbits,_ZN9rocsparseL41csrgemm_numeric_fill_block_per_row_kernelILj128ELj16ELj256ELj137ELj32Eii21rocsparse_complex_numIdEEEvT5_PKS3_S5_NS_24const_host_device_scalarIT6_EEPKT4_S5_PKS7_SB_S5_SD_S8_SB_S5_SD_SB_S5_PS7_21rocsparse_index_base_SF_SF_SF_bbb,comdat
.Lfunc_end62:
	.size	_ZN9rocsparseL41csrgemm_numeric_fill_block_per_row_kernelILj128ELj16ELj256ELj137ELj32Eii21rocsparse_complex_numIdEEEvT5_PKS3_S5_NS_24const_host_device_scalarIT6_EEPKT4_S5_PKS7_SB_S5_SD_S8_SB_S5_SD_SB_S5_PS7_21rocsparse_index_base_SF_SF_SF_bbb, .Lfunc_end62-_ZN9rocsparseL41csrgemm_numeric_fill_block_per_row_kernelILj128ELj16ELj256ELj137ELj32Eii21rocsparse_complex_numIdEEEvT5_PKS3_S5_NS_24const_host_device_scalarIT6_EEPKT4_S5_PKS7_SB_S5_SD_S8_SB_S5_SD_SB_S5_PS7_21rocsparse_index_base_SF_SF_SF_bbb
                                        ; -- End function
	.set _ZN9rocsparseL41csrgemm_numeric_fill_block_per_row_kernelILj128ELj16ELj256ELj137ELj32Eii21rocsparse_complex_numIdEEEvT5_PKS3_S5_NS_24const_host_device_scalarIT6_EEPKT4_S5_PKS7_SB_S5_SD_S8_SB_S5_SD_SB_S5_PS7_21rocsparse_index_base_SF_SF_SF_bbb.num_vgpr, 28
	.set _ZN9rocsparseL41csrgemm_numeric_fill_block_per_row_kernelILj128ELj16ELj256ELj137ELj32Eii21rocsparse_complex_numIdEEEvT5_PKS3_S5_NS_24const_host_device_scalarIT6_EEPKT4_S5_PKS7_SB_S5_SD_S8_SB_S5_SD_SB_S5_PS7_21rocsparse_index_base_SF_SF_SF_bbb.num_agpr, 0
	.set _ZN9rocsparseL41csrgemm_numeric_fill_block_per_row_kernelILj128ELj16ELj256ELj137ELj32Eii21rocsparse_complex_numIdEEEvT5_PKS3_S5_NS_24const_host_device_scalarIT6_EEPKT4_S5_PKS7_SB_S5_SD_S8_SB_S5_SD_SB_S5_PS7_21rocsparse_index_base_SF_SF_SF_bbb.numbered_sgpr, 51
	.set _ZN9rocsparseL41csrgemm_numeric_fill_block_per_row_kernelILj128ELj16ELj256ELj137ELj32Eii21rocsparse_complex_numIdEEEvT5_PKS3_S5_NS_24const_host_device_scalarIT6_EEPKT4_S5_PKS7_SB_S5_SD_S8_SB_S5_SD_SB_S5_PS7_21rocsparse_index_base_SF_SF_SF_bbb.num_named_barrier, 0
	.set _ZN9rocsparseL41csrgemm_numeric_fill_block_per_row_kernelILj128ELj16ELj256ELj137ELj32Eii21rocsparse_complex_numIdEEEvT5_PKS3_S5_NS_24const_host_device_scalarIT6_EEPKT4_S5_PKS7_SB_S5_SD_S8_SB_S5_SD_SB_S5_PS7_21rocsparse_index_base_SF_SF_SF_bbb.private_seg_size, 40
	.set _ZN9rocsparseL41csrgemm_numeric_fill_block_per_row_kernelILj128ELj16ELj256ELj137ELj32Eii21rocsparse_complex_numIdEEEvT5_PKS3_S5_NS_24const_host_device_scalarIT6_EEPKT4_S5_PKS7_SB_S5_SD_S8_SB_S5_SD_SB_S5_PS7_21rocsparse_index_base_SF_SF_SF_bbb.uses_vcc, 1
	.set _ZN9rocsparseL41csrgemm_numeric_fill_block_per_row_kernelILj128ELj16ELj256ELj137ELj32Eii21rocsparse_complex_numIdEEEvT5_PKS3_S5_NS_24const_host_device_scalarIT6_EEPKT4_S5_PKS7_SB_S5_SD_S8_SB_S5_SD_SB_S5_PS7_21rocsparse_index_base_SF_SF_SF_bbb.uses_flat_scratch, 0
	.set _ZN9rocsparseL41csrgemm_numeric_fill_block_per_row_kernelILj128ELj16ELj256ELj137ELj32Eii21rocsparse_complex_numIdEEEvT5_PKS3_S5_NS_24const_host_device_scalarIT6_EEPKT4_S5_PKS7_SB_S5_SD_S8_SB_S5_SD_SB_S5_PS7_21rocsparse_index_base_SF_SF_SF_bbb.has_dyn_sized_stack, 0
	.set _ZN9rocsparseL41csrgemm_numeric_fill_block_per_row_kernelILj128ELj16ELj256ELj137ELj32Eii21rocsparse_complex_numIdEEEvT5_PKS3_S5_NS_24const_host_device_scalarIT6_EEPKT4_S5_PKS7_SB_S5_SD_S8_SB_S5_SD_SB_S5_PS7_21rocsparse_index_base_SF_SF_SF_bbb.has_recursion, 0
	.set _ZN9rocsparseL41csrgemm_numeric_fill_block_per_row_kernelILj128ELj16ELj256ELj137ELj32Eii21rocsparse_complex_numIdEEEvT5_PKS3_S5_NS_24const_host_device_scalarIT6_EEPKT4_S5_PKS7_SB_S5_SD_S8_SB_S5_SD_SB_S5_PS7_21rocsparse_index_base_SF_SF_SF_bbb.has_indirect_call, 0
	.section	.AMDGPU.csdata,"",@progbits
; Kernel info:
; codeLenInByte = 2844
; TotalNumSgprs: 57
; NumVgprs: 28
; NumAgprs: 0
; TotalNumVgprs: 28
; ScratchSize: 40
; MemoryBound: 0
; FloatMode: 240
; IeeeMode: 1
; LDSByteSize: 0 bytes/workgroup (compile time only)
; SGPRBlocks: 7
; VGPRBlocks: 3
; NumSGPRsForWavesPerEU: 57
; NumVGPRsForWavesPerEU: 28
; AccumOffset: 28
; Occupancy: 8
; WaveLimiterHint : 1
; COMPUTE_PGM_RSRC2:SCRATCH_EN: 1
; COMPUTE_PGM_RSRC2:USER_SGPR: 2
; COMPUTE_PGM_RSRC2:TRAP_HANDLER: 0
; COMPUTE_PGM_RSRC2:TGID_X_EN: 1
; COMPUTE_PGM_RSRC2:TGID_Y_EN: 0
; COMPUTE_PGM_RSRC2:TGID_Z_EN: 0
; COMPUTE_PGM_RSRC2:TIDIG_COMP_CNT: 0
; COMPUTE_PGM_RSRC3_GFX90A:ACCUM_OFFSET: 6
; COMPUTE_PGM_RSRC3_GFX90A:TG_SPLIT: 0
	.section	.text._ZN9rocsparseL41csrgemm_numeric_fill_block_per_row_kernelILj128ELj16ELj256ELj137ELj64Eii21rocsparse_complex_numIdEEEvT5_PKS3_S5_NS_24const_host_device_scalarIT6_EEPKT4_S5_PKS7_SB_S5_SD_S8_SB_S5_SD_SB_S5_PS7_21rocsparse_index_base_SF_SF_SF_bbb,"axG",@progbits,_ZN9rocsparseL41csrgemm_numeric_fill_block_per_row_kernelILj128ELj16ELj256ELj137ELj64Eii21rocsparse_complex_numIdEEEvT5_PKS3_S5_NS_24const_host_device_scalarIT6_EEPKT4_S5_PKS7_SB_S5_SD_S8_SB_S5_SD_SB_S5_PS7_21rocsparse_index_base_SF_SF_SF_bbb,comdat
	.globl	_ZN9rocsparseL41csrgemm_numeric_fill_block_per_row_kernelILj128ELj16ELj256ELj137ELj64Eii21rocsparse_complex_numIdEEEvT5_PKS3_S5_NS_24const_host_device_scalarIT6_EEPKT4_S5_PKS7_SB_S5_SD_S8_SB_S5_SD_SB_S5_PS7_21rocsparse_index_base_SF_SF_SF_bbb ; -- Begin function _ZN9rocsparseL41csrgemm_numeric_fill_block_per_row_kernelILj128ELj16ELj256ELj137ELj64Eii21rocsparse_complex_numIdEEEvT5_PKS3_S5_NS_24const_host_device_scalarIT6_EEPKT4_S5_PKS7_SB_S5_SD_S8_SB_S5_SD_SB_S5_PS7_21rocsparse_index_base_SF_SF_SF_bbb
	.p2align	8
	.type	_ZN9rocsparseL41csrgemm_numeric_fill_block_per_row_kernelILj128ELj16ELj256ELj137ELj64Eii21rocsparse_complex_numIdEEEvT5_PKS3_S5_NS_24const_host_device_scalarIT6_EEPKT4_S5_PKS7_SB_S5_SD_S8_SB_S5_SD_SB_S5_PS7_21rocsparse_index_base_SF_SF_SF_bbb,@function
_ZN9rocsparseL41csrgemm_numeric_fill_block_per_row_kernelILj128ELj16ELj256ELj137ELj64Eii21rocsparse_complex_numIdEEEvT5_PKS3_S5_NS_24const_host_device_scalarIT6_EEPKT4_S5_PKS7_SB_S5_SD_S8_SB_S5_SD_SB_S5_PS7_21rocsparse_index_base_SF_SF_SF_bbb: ; @_ZN9rocsparseL41csrgemm_numeric_fill_block_per_row_kernelILj128ELj16ELj256ELj137ELj64Eii21rocsparse_complex_numIdEEEvT5_PKS3_S5_NS_24const_host_device_scalarIT6_EEPKT4_S5_PKS7_SB_S5_SD_S8_SB_S5_SD_SB_S5_PS7_21rocsparse_index_base_SF_SF_SF_bbb
; %bb.0:
	s_load_dword s3, s[0:1], 0xa8
	s_load_dwordx4 s[12:15], s[0:1], 0x18
	s_load_dwordx4 s[8:11], s[0:1], 0x58
	v_mov_b64_e32 v[6:7], 0
	v_mov_b64_e32 v[10:11], 0
	s_waitcnt lgkmcnt(0)
	s_bitcmp1_b32 s3, 0
	s_cselect_b64 s[38:39], -1, 0
	s_bitcmp1_b32 s3, 16
	s_cselect_b64 s[6:7], -1, 0
	s_xor_b64 s[4:5], s[6:7], -1
	v_mov_b64_e32 v[2:3], s[12:13]
	v_cndmask_b32_e64 v1, 0, 1, s[4:5]
	scratch_store_dwordx2 off, v[2:3], off offset:16
	v_mov_b64_e32 v[2:3], s[8:9]
	s_bitcmp0_b32 s3, 0
	v_cmp_ne_u32_e64 s[4:5], 1, v1
	v_mov_b64_e32 v[12:13], 0
	scratch_store_dwordx2 off, v[2:3], off offset:24
	s_cbranch_scc1 .LBB63_3
; %bb.1:
	s_mov_b64 s[16:17], src_private_base
	s_and_b64 s[18:19], s[6:7], exec
	s_cselect_b32 s16, s17, s13
	s_cselect_b32 s17, 16, s12
	v_mov_b32_e32 v2, s17
	v_mov_b32_e32 v3, s16
	flat_load_dwordx2 v[10:11], v[2:3]
	s_and_b64 vcc, exec, s[4:5]
	v_mov_b64_e32 v[12:13], s[14:15]
	s_cbranch_vccnz .LBB63_3
; %bb.2:
	v_mov_b64_e32 v[2:3], s[12:13]
	flat_load_dwordx2 v[12:13], v[2:3] offset:8
.LBB63_3:
	s_load_dwordx4 s[20:23], s[0:1], 0x98
	s_bitcmp1_b32 s3, 8
	s_cselect_b64 s[36:37], -1, 0
	s_bfe_u32 s3, s3, 0x10008
	s_cmp_eq_u32 s3, 0
	v_mov_b64_e32 v[8:9], 0
	s_cbranch_scc1 .LBB63_6
; %bb.4:
	s_mov_b64 s[12:13], src_private_base
	s_and_b64 s[6:7], s[6:7], exec
	s_cselect_b32 s3, s13, s9
	s_cselect_b32 s6, 24, s8
	v_mov_b32_e32 v2, s6
	v_mov_b32_e32 v3, s3
	flat_load_dwordx2 v[8:9], v[2:3]
	s_and_b64 vcc, exec, s[4:5]
	v_mov_b64_e32 v[6:7], s[10:11]
	s_cbranch_vccnz .LBB63_6
; %bb.5:
	v_mov_b64_e32 v[2:3], s[8:9]
	flat_load_dwordx2 v[6:7], v[2:3] offset:8
.LBB63_6:
	s_load_dwordx2 s[34:35], s[0:1], 0x90
	s_load_dwordx8 s[4:11], s[0:1], 0x68
	s_load_dwordx4 s[24:27], s[0:1], 0x48
	s_load_dwordx8 s[12:19], s[0:1], 0x28
	s_load_dwordx4 s[28:31], s[0:1], 0x8
	s_load_dword s33, s[0:1], 0x0
	s_movk_i32 s0, 0x100
	v_cmp_gt_u32_e64 s[0:1], s0, v0
	v_lshl_add_u32 v22, v0, 4, 0
	v_lshl_add_u32 v1, v0, 2, 0
	s_and_saveexec_b64 s[40:41], s[0:1]
	s_cbranch_execz .LBB63_9
; %bb.7:
	s_mov_b32 s44, 0
	s_mov_b32 s45, s44
	s_mov_b32 s46, s44
	s_mov_b32 s47, s44
	v_add_u32_e32 v14, 0x400, v22
	v_or_b32_e32 v15, 0xffffff80, v0
	v_lshl_add_u32 v16, v0, 2, 0
	s_mov_b64 s[42:43], 0
	s_waitcnt lgkmcnt(0)
	v_mov_b32_e32 v17, s33
	v_mov_b64_e32 v[2:3], s[44:45]
	v_mov_b64_e32 v[4:5], s[46:47]
.LBB63_8:                               ; =>This Inner Loop Header: Depth=1
	v_add_co_u32_e32 v15, vcc, 0x80, v15
	s_xor_b64 s[44:45], vcc, -1
	s_and_b64 s[44:45], exec, s[44:45]
	ds_write_b32 v16, v17
	ds_write2_b64 v14, v[2:3], v[4:5] offset1:1
	v_add_u32_e32 v14, 0x800, v14
	s_or_b64 s[42:43], s[44:45], s[42:43]
	v_add_u32_e32 v16, 0x200, v16
	s_andn2_b64 exec, exec, s[42:43]
	s_cbranch_execnz .LBB63_8
.LBB63_9:
	s_or_b64 exec, exec, s[40:41]
	s_waitcnt lgkmcnt(0)
	s_barrier
	s_load_dword s3, s[28:29], 0x0
	v_lshrrev_b32_e32 v23, 4, v0
	s_waitcnt lgkmcnt(0)
	s_add_i32 s2, s3, s2
	s_mov_b32 s3, 0
	s_lshl_b64 s[2:3], s[2:3], 2
	s_add_u32 s2, s30, s2
	s_addc_u32 s3, s31, s3
	s_load_dword s28, s[2:3], 0x0
	s_and_b64 vcc, exec, s[38:39]
	s_cbranch_vccz .LBB63_27
; %bb.10:
	s_waitcnt lgkmcnt(0)
	s_ashr_i32 s29, s28, 31
	s_lshl_b64 s[2:3], s[28:29], 2
	s_add_u32 s2, s12, s2
	s_addc_u32 s3, s13, s3
	s_load_dwordx2 s[12:13], s[2:3], 0x0
	v_subrev_u32_e32 v2, s20, v23
	s_waitcnt lgkmcnt(0)
	s_sub_i32 s29, s13, s20
	v_add_u32_e32 v14, s12, v2
	v_cmp_gt_i32_e32 vcc, s29, v14
	s_and_saveexec_b64 s[2:3], vcc
	s_cbranch_execz .LBB63_26
; %bb.11:
	v_and_b32_e32 v2, 15, v0
	v_subrev_u32_e32 v24, s21, v2
	s_mov_b64 s[12:13], 0
	s_movk_i32 s50, 0x89
	s_branch .LBB63_13
.LBB63_12:                              ;   in Loop: Header=BB63_13 Depth=1
	s_or_b64 exec, exec, s[30:31]
	v_add_u32_e32 v14, 8, v14
	v_cmp_le_i32_e32 vcc, s29, v14
	s_or_b64 s[12:13], vcc, s[12:13]
	s_andn2_b64 exec, exec, s[12:13]
	s_cbranch_execz .LBB63_26
.LBB63_13:                              ; =>This Loop Header: Depth=1
                                        ;     Child Loop BB63_17 Depth 2
                                        ;       Child Loop BB63_20 Depth 3
	v_ashrrev_i32_e32 v15, 31, v14
	v_lshl_add_u64 v[2:3], v[14:15], 2, s[14:15]
	global_load_dword v2, v[2:3], off
	s_waitcnt vmcnt(0)
	v_subrev_u32_e32 v2, s20, v2
	v_ashrrev_i32_e32 v3, 31, v2
	v_lshl_add_u64 v[2:3], v[2:3], 2, s[18:19]
	global_load_dwordx2 v[2:3], v[2:3], off
	s_waitcnt vmcnt(0)
	v_subrev_u32_e32 v25, s21, v3
	v_add_u32_e32 v16, v2, v24
	v_cmp_lt_i32_e32 vcc, v16, v25
	s_and_saveexec_b64 s[30:31], vcc
	s_cbranch_execz .LBB63_12
; %bb.14:                               ;   in Loop: Header=BB63_13 Depth=1
	v_lshl_add_u64 v[2:3], v[14:15], 4, s[16:17]
	global_load_dwordx4 v[2:5], v[2:3], off
	s_mov_b64 s[38:39], 0
	s_waitcnt vmcnt(0)
	v_mul_f64 v[18:19], v[4:5], -v[12:13]
	v_mul_f64 v[20:21], v[10:11], v[4:5]
	v_fmac_f64_e32 v[18:19], v[10:11], v[2:3]
	v_fmac_f64_e32 v[20:21], v[12:13], v[2:3]
	s_branch .LBB63_17
.LBB63_15:                              ;   in Loop: Header=BB63_17 Depth=2
	s_or_b64 exec, exec, s[42:43]
.LBB63_16:                              ;   in Loop: Header=BB63_17 Depth=2
	s_or_b64 exec, exec, s[40:41]
	s_waitcnt vmcnt(0)
	v_mul_f64 v[26:27], v[4:5], -v[20:21]
	v_mul_f64 v[4:5], v[18:19], v[4:5]
	v_fmac_f64_e32 v[26:27], v[18:19], v[2:3]
	v_fmac_f64_e32 v[4:5], v[20:21], v[2:3]
	v_lshl_add_u32 v2, v15, 4, 0
	ds_add_f64 v2, v[26:27] offset:1024
	ds_add_f64 v2, v[4:5] offset:1032
	v_add_u32_e32 v16, 16, v16
	v_cmp_ge_i32_e32 vcc, v16, v25
	s_or_b64 s[38:39], vcc, s[38:39]
	s_andn2_b64 exec, exec, s[38:39]
	s_cbranch_execz .LBB63_12
.LBB63_17:                              ;   Parent Loop BB63_13 Depth=1
                                        ; =>  This Loop Header: Depth=2
                                        ;       Child Loop BB63_20 Depth 3
	v_ashrrev_i32_e32 v17, 31, v16
	v_lshl_add_u64 v[2:3], v[16:17], 2, s[24:25]
	global_load_dword v15, v[2:3], off
	v_lshl_add_u64 v[2:3], v[16:17], 4, s[26:27]
	global_load_dwordx4 v[2:5], v[2:3], off
	s_waitcnt vmcnt(1)
	v_subrev_u32_e32 v17, s21, v15
	v_mul_lo_u32 v15, v17, s50
	v_and_b32_e32 v15, 0xff, v15
	v_lshl_add_u32 v26, v15, 2, 0
	ds_read_b32 v27, v26
	s_waitcnt lgkmcnt(0)
	v_cmp_ne_u32_e32 vcc, v27, v17
	s_and_saveexec_b64 s[40:41], vcc
	s_cbranch_execz .LBB63_16
; %bb.18:                               ;   in Loop: Header=BB63_17 Depth=2
	s_mov_b64 s[42:43], 0
	s_branch .LBB63_20
.LBB63_19:                              ;   in Loop: Header=BB63_20 Depth=3
	s_or_b64 exec, exec, s[48:49]
	s_and_b64 s[44:45], exec, s[46:47]
	s_or_b64 s[42:43], s[44:45], s[42:43]
	s_andn2_b64 exec, exec, s[42:43]
	s_cbranch_execz .LBB63_15
.LBB63_20:                              ;   Parent Loop BB63_13 Depth=1
                                        ;     Parent Loop BB63_17 Depth=2
                                        ; =>    This Inner Loop Header: Depth=3
	v_cmp_ne_u32_e32 vcc, s33, v27
	s_mov_b64 s[44:45], 0
	s_and_saveexec_b64 s[46:47], vcc
	s_xor_b64 s[46:47], exec, s[46:47]
	s_cbranch_execz .LBB63_22
; %bb.21:                               ;   in Loop: Header=BB63_20 Depth=3
	v_add_u32_e32 v15, 1, v15
	s_mov_b64 s[44:45], exec
	v_and_b32_e32 v15, 0xff, v15
                                        ; implicit-def: $vgpr26
	s_andn2_saveexec_b64 s[46:47], s[46:47]
	s_cbranch_execz .LBB63_24
	s_branch .LBB63_23
.LBB63_22:                              ;   in Loop: Header=BB63_20 Depth=3
	s_andn2_saveexec_b64 s[46:47], s[46:47]
	s_cbranch_execz .LBB63_24
.LBB63_23:                              ;   in Loop: Header=BB63_20 Depth=3
	v_mov_b32_e32 v27, s33
	ds_cmpst_rtn_b32 v26, v26, v27, v17
	s_andn2_b64 s[44:45], s[44:45], exec
	s_waitcnt lgkmcnt(0)
	v_cmp_ne_u32_e32 vcc, s33, v26
	s_and_b64 s[48:49], vcc, exec
	s_or_b64 s[44:45], s[44:45], s[48:49]
.LBB63_24:                              ;   in Loop: Header=BB63_20 Depth=3
	s_or_b64 exec, exec, s[46:47]
	s_mov_b64 s[46:47], -1
                                        ; implicit-def: $vgpr26
                                        ; implicit-def: $vgpr27
	s_and_saveexec_b64 s[48:49], s[44:45]
	s_cbranch_execz .LBB63_19
; %bb.25:                               ;   in Loop: Header=BB63_20 Depth=3
	v_lshl_add_u32 v26, v15, 2, 0
	ds_read_b32 v27, v26
	s_waitcnt lgkmcnt(0)
	v_cmp_eq_u32_e32 vcc, v27, v17
	s_orn2_b64 s[46:47], vcc, exec
	s_branch .LBB63_19
.LBB63_26:
	s_or_b64 exec, exec, s[2:3]
.LBB63_27:
	s_andn2_b64 vcc, exec, s[36:37]
	s_cbranch_vccnz .LBB63_42
; %bb.28:
	s_waitcnt lgkmcnt(0)
	s_ashr_i32 s29, s28, 31
	s_lshl_b64 s[2:3], s[28:29], 2
	s_add_u32 s2, s4, s2
	s_addc_u32 s3, s5, s3
	s_load_dwordx2 s[4:5], s[2:3], 0x0
	v_subrev_u32_e32 v2, s23, v0
	s_waitcnt lgkmcnt(0)
	s_sub_i32 s24, s5, s23
	s_waitcnt vmcnt(0)
	v_add_u32_e32 v10, s4, v2
	v_cmp_gt_i32_e32 vcc, s24, v10
	s_and_saveexec_b64 s[2:3], vcc
	s_cbranch_execz .LBB63_41
; %bb.29:
	s_mov_b64 s[4:5], 0
	s_movk_i32 s25, 0x89
	s_branch .LBB63_32
.LBB63_30:                              ;   in Loop: Header=BB63_32 Depth=1
	s_or_b64 exec, exec, s[14:15]
.LBB63_31:                              ;   in Loop: Header=BB63_32 Depth=1
	s_or_b64 exec, exec, s[12:13]
	s_waitcnt vmcnt(0)
	v_mul_f64 v[12:13], v[4:5], -v[6:7]
	v_mul_f64 v[4:5], v[8:9], v[4:5]
	v_fmac_f64_e32 v[12:13], v[8:9], v[2:3]
	v_fmac_f64_e32 v[4:5], v[6:7], v[2:3]
	v_lshl_add_u32 v2, v11, 4, 0
	ds_add_f64 v2, v[12:13] offset:1024
	ds_add_f64 v2, v[4:5] offset:1032
	v_add_u32_e32 v10, 0x80, v10
	v_cmp_le_i32_e32 vcc, s24, v10
	s_or_b64 s[4:5], vcc, s[4:5]
	s_andn2_b64 exec, exec, s[4:5]
	s_cbranch_execz .LBB63_41
.LBB63_32:                              ; =>This Loop Header: Depth=1
                                        ;     Child Loop BB63_35 Depth 2
	v_ashrrev_i32_e32 v11, 31, v10
	v_lshl_add_u64 v[2:3], v[10:11], 2, s[6:7]
	global_load_dword v12, v[2:3], off
	v_lshl_add_u64 v[2:3], v[10:11], 4, s[8:9]
	global_load_dwordx4 v[2:5], v[2:3], off
	s_waitcnt vmcnt(1)
	v_subrev_u32_e32 v12, s23, v12
	v_mul_lo_u32 v11, v12, s25
	v_and_b32_e32 v11, 0xff, v11
	v_lshl_add_u32 v13, v11, 2, 0
	ds_read_b32 v14, v13
	s_waitcnt lgkmcnt(0)
	v_cmp_ne_u32_e32 vcc, v14, v12
	s_and_saveexec_b64 s[12:13], vcc
	s_cbranch_execz .LBB63_31
; %bb.33:                               ;   in Loop: Header=BB63_32 Depth=1
	s_mov_b64 s[14:15], 0
	s_branch .LBB63_35
.LBB63_34:                              ;   in Loop: Header=BB63_35 Depth=2
	s_or_b64 exec, exec, s[20:21]
	s_and_b64 s[16:17], exec, s[18:19]
	s_or_b64 s[14:15], s[16:17], s[14:15]
	s_andn2_b64 exec, exec, s[14:15]
	s_cbranch_execz .LBB63_30
.LBB63_35:                              ;   Parent Loop BB63_32 Depth=1
                                        ; =>  This Inner Loop Header: Depth=2
	v_cmp_ne_u32_e32 vcc, s33, v14
	s_mov_b64 s[16:17], 0
	s_and_saveexec_b64 s[18:19], vcc
	s_xor_b64 s[18:19], exec, s[18:19]
	s_cbranch_execz .LBB63_37
; %bb.36:                               ;   in Loop: Header=BB63_35 Depth=2
	v_add_u32_e32 v11, 1, v11
	s_mov_b64 s[16:17], exec
	v_and_b32_e32 v11, 0xff, v11
                                        ; implicit-def: $vgpr13
	s_andn2_saveexec_b64 s[18:19], s[18:19]
	s_cbranch_execz .LBB63_39
	s_branch .LBB63_38
.LBB63_37:                              ;   in Loop: Header=BB63_35 Depth=2
	s_andn2_saveexec_b64 s[18:19], s[18:19]
	s_cbranch_execz .LBB63_39
.LBB63_38:                              ;   in Loop: Header=BB63_35 Depth=2
	v_mov_b32_e32 v14, s33
	ds_cmpst_rtn_b32 v13, v13, v14, v12
	s_andn2_b64 s[16:17], s[16:17], exec
	s_waitcnt lgkmcnt(0)
	v_cmp_ne_u32_e32 vcc, s33, v13
	s_and_b64 s[20:21], vcc, exec
	s_or_b64 s[16:17], s[16:17], s[20:21]
.LBB63_39:                              ;   in Loop: Header=BB63_35 Depth=2
	s_or_b64 exec, exec, s[18:19]
	s_mov_b64 s[18:19], -1
                                        ; implicit-def: $vgpr13
                                        ; implicit-def: $vgpr14
	s_and_saveexec_b64 s[20:21], s[16:17]
	s_cbranch_execz .LBB63_34
; %bb.40:                               ;   in Loop: Header=BB63_35 Depth=2
	v_lshl_add_u32 v13, v11, 2, 0
	ds_read_b32 v14, v13
	s_waitcnt lgkmcnt(0)
	v_cmp_eq_u32_e32 vcc, v14, v12
	s_orn2_b64 s[18:19], vcc, exec
	s_branch .LBB63_34
.LBB63_41:
	s_or_b64 exec, exec, s[2:3]
.LBB63_42:
	s_waitcnt lgkmcnt(0)
	s_barrier
	s_and_saveexec_b64 s[4:5], s[0:1]
	s_cbranch_execz .LBB63_51
; %bb.43:
	v_mbcnt_lo_u32_b32 v2, -1, 0
	v_mbcnt_hi_u32_b32 v2, -1, v2
	v_sub_u32_e32 v2, 63, v2
	v_and_b32_e32 v5, 4, v23
	s_movk_i32 s2, 0x7f
	v_mov_b32_e32 v4, 0
	v_lshrrev_b64 v[2:3], v2, -1
	v_add_u32_e32 v5, 0, v5
	v_cmp_lt_u32_e64 s[0:1], 63, v0
	v_cmp_eq_u32_e64 s[2:3], s2, v0
	s_waitcnt vmcnt(0)
	v_add_u32_e32 v6, 0x400, v22
	v_or_b32_e32 v7, 0xffffff80, v0
	s_mov_b64 s[6:7], 0
	v_mov_b32_e32 v8, 0
	s_branch .LBB63_45
.LBB63_44:                              ;   in Loop: Header=BB63_45 Depth=1
	s_or_b64 exec, exec, s[8:9]
	s_waitcnt lgkmcnt(0)
	s_barrier
	ds_read_b32 v9, v4 offset:5124
	v_add_co_u32_e32 v7, vcc, 0x80, v7
	s_xor_b64 s[8:9], vcc, -1
	s_and_b64 s[8:9], exec, s[8:9]
	v_add_u32_e32 v6, 0x800, v6
	s_waitcnt lgkmcnt(0)
	v_add_u32_e32 v8, v9, v8
	s_or_b64 s[6:7], s[8:9], s[6:7]
	v_add_u32_e32 v1, 0x200, v1
	s_andn2_b64 exec, exec, s[6:7]
	s_cbranch_execz .LBB63_51
.LBB63_45:                              ; =>This Inner Loop Header: Depth=1
	ds_read2_b64 v[12:15], v6 offset1:1
	ds_read_b32 v10, v1
	s_waitcnt lgkmcnt(1)
	scratch_store_dwordx4 off, v[12:15], off
	s_waitcnt lgkmcnt(0)
	v_cmp_gt_i32_e32 vcc, s33, v10
	s_bcnt1_i32_b64 s8, vcc
	s_nop 0
	v_and_b32_e32 v11, vcc_lo, v2
	v_and_b32_e32 v9, vcc_hi, v3
	v_bcnt_u32_b32 v11, v11, 0
	v_bcnt_u32_b32 v9, v9, v11
	v_mov_b32_e32 v11, s8
	s_barrier
	ds_write_b32 v5, v11 offset:5120
	s_waitcnt lgkmcnt(0)
	s_barrier
	s_and_saveexec_b64 s[8:9], s[0:1]
	s_cbranch_execz .LBB63_48
; %bb.46:                               ;   in Loop: Header=BB63_45 Depth=1
	ds_read_b32 v11, v4 offset:5120
	s_waitcnt lgkmcnt(0)
	v_add_u32_e32 v9, v11, v9
	s_or_b64 exec, exec, s[8:9]
	s_and_saveexec_b64 s[8:9], vcc
	s_cbranch_execnz .LBB63_49
.LBB63_47:                              ;   in Loop: Header=BB63_45 Depth=1
	s_or_b64 exec, exec, s[8:9]
	s_and_saveexec_b64 s[8:9], s[2:3]
	s_cbranch_execz .LBB63_44
	s_branch .LBB63_50
.LBB63_48:                              ;   in Loop: Header=BB63_45 Depth=1
	s_or_b64 exec, exec, s[8:9]
	s_and_saveexec_b64 s[8:9], vcc
	s_cbranch_execz .LBB63_47
.LBB63_49:                              ;   in Loop: Header=BB63_45 Depth=1
	scratch_load_dwordx4 v[12:15], off, off
	v_add3_u32 v11, v8, -1, v9
	v_lshl_add_u32 v11, v11, 2, 0
	v_add_u32_e32 v16, v8, v9
	v_lshl_add_u32 v16, v16, 4, 0
	ds_write_b32 v11, v10
	s_waitcnt vmcnt(0)
	ds_write2_b64 v16, v[12:13], v[14:15] offset0:126 offset1:127
	s_or_b64 exec, exec, s[8:9]
	s_and_saveexec_b64 s[8:9], s[2:3]
	s_cbranch_execz .LBB63_44
.LBB63_50:                              ;   in Loop: Header=BB63_45 Depth=1
	ds_write_b32 v4, v9 offset:5124
	s_branch .LBB63_44
.LBB63_51:
	s_or_b64 exec, exec, s[4:5]
	s_ashr_i32 s29, s28, 31
	s_lshl_b64 s[0:1], s[28:29], 2
	s_add_u32 s2, s10, s0
	s_addc_u32 s3, s11, s1
	s_load_dwordx2 s[0:1], s[2:3], 0x0
	s_waitcnt lgkmcnt(0)
	s_sub_i32 s14, s1, s0
	v_cmp_gt_i32_e32 vcc, s14, v0
	s_and_saveexec_b64 s[2:3], vcc
	s_cbranch_execz .LBB63_65
; %bb.52:
	s_sub_i32 s8, s0, s22
	v_sub_co_u32_e64 v1, s[0:1], s14, 2
	s_nop 0
	v_readfirstlane_b32 s2, v1
	s_lshr_b32 s2, s2, 1
	s_add_i32 s2, s2, 1
	s_xor_b64 s[0:1], s[0:1], -1
	s_and_b32 s15, s14, -2
	s_and_b32 s3, s2, 7
	s_and_b32 s16, s2, -8
	s_cmp_lg_u32 s3, 0
	v_cmp_lt_u32_e32 vcc, 13, v1
	s_cselect_b64 s[4:5], -1, 0
	s_cmp_lg_u32 s14, s15
	v_cndmask_b32_e64 v1, 0, 1, vcc
	s_cselect_b64 s[10:11], -1, 0
	s_lshl_b32 s17, s3, 3
	v_cndmask_b32_e64 v2, 0, 1, s[0:1]
	v_cmp_ne_u32_e64 s[2:3], 1, v1
	v_cndmask_b32_e64 v1, 0, 1, s[4:5]
	s_mov_b32 s9, 0
	s_mov_b64 s[12:13], 0
	v_cmp_ne_u32_e64 s[0:1], 1, v2
	v_cmp_ne_u32_e64 s[4:5], 1, v1
	s_waitcnt vmcnt(0)
	s_branch .LBB63_54
.LBB63_53:                              ;   in Loop: Header=BB63_54 Depth=1
	v_mad_u64_u32 v[2:3], s[6:7], v0, 12, v[2:3]
	ds_read2_b64 v[6:9], v2 offset0:128 offset1:129
	v_add_u32_e32 v0, 0x80, v0
	v_ashrrev_i32_e32 v5, 31, v4
	v_cmp_le_i32_e32 vcc, s14, v0
	v_lshl_add_u64 v[2:3], v[4:5], 4, s[34:35]
	s_or_b64 s[12:13], vcc, s[12:13]
	s_waitcnt lgkmcnt(0)
	global_store_dwordx4 v[2:3], v[6:9], off
	s_andn2_b64 exec, exec, s[12:13]
	s_cbranch_execz .LBB63_65
.LBB63_54:                              ; =>This Loop Header: Depth=1
                                        ;     Child Loop BB63_57 Depth 2
                                        ;     Child Loop BB63_60 Depth 2
	;; [unrolled: 1-line block ×3, first 2 shown]
	v_lshl_add_u32 v2, v0, 2, 0
	ds_read_b32 v1, v2
	s_and_b64 vcc, exec, s[0:1]
	v_mov_b32_e32 v4, s8
	s_mov_b32 s18, 0
	s_mov_b64 s[6:7], -1
	s_cbranch_vccnz .LBB63_62
; %bb.55:                               ;   in Loop: Header=BB63_54 Depth=1
	s_and_b64 vcc, exec, s[2:3]
	v_mov_b64_e32 v[4:5], s[8:9]
	s_cbranch_vccnz .LBB63_58
; %bb.56:                               ;   in Loop: Header=BB63_54 Depth=1
	s_mov_b32 s19, 0
	v_mov_b32_e32 v4, s8
	v_mov_b32_e32 v5, 0
	s_mov_b32 s20, s16
.LBB63_57:                              ;   Parent Loop BB63_54 Depth=1
                                        ; =>  This Inner Loop Header: Depth=2
	v_mov_b32_e32 v3, s19
	ds_read2_b32 v[6:7], v3 offset1:1
	ds_read2_b32 v[8:9], v3 offset0:2 offset1:3
	ds_read2_b32 v[10:11], v3 offset0:4 offset1:5
	;; [unrolled: 1-line block ×7, first 2 shown]
	s_waitcnt lgkmcnt(7)
	v_cmp_gt_i32_e32 vcc, v1, v7
	s_waitcnt lgkmcnt(5)
	v_cmp_gt_i32_e64 s[6:7], v1, v10
	s_add_i32 s18, s18, 16
	v_cndmask_b32_e64 v3, 0, 1, vcc
	v_cmp_gt_i32_e32 vcc, v1, v6
	v_cndmask_b32_e64 v7, 0, 1, s[6:7]
	v_cmp_gt_i32_e64 s[6:7], v1, v11
	v_cndmask_b32_e64 v6, 0, 1, vcc
	v_cmp_gt_i32_e32 vcc, v1, v9
	v_cndmask_b32_e64 v9, 0, 1, s[6:7]
	s_waitcnt lgkmcnt(3)
	v_cmp_gt_i32_e64 s[6:7], v1, v15
	v_addc_co_u32_e32 v3, vcc, v5, v3, vcc
	s_nop 0
	v_cndmask_b32_e64 v10, 0, 1, s[6:7]
	v_cmp_gt_i32_e64 s[6:7], v1, v14
	v_cmp_gt_i32_e32 vcc, v1, v12
	s_add_i32 s19, s19, 64
	v_cndmask_b32_e64 v11, 0, 1, s[6:7]
	s_waitcnt lgkmcnt(1)
	v_cmp_gt_i32_e64 s[6:7], v1, v18
	s_add_i32 s20, s20, -8
	s_cmp_lg_u32 s20, 0
	v_cndmask_b32_e64 v14, 0, 1, s[6:7]
	v_cmp_gt_i32_e64 s[6:7], v1, v19
	s_nop 1
	v_cndmask_b32_e64 v15, 0, 1, s[6:7]
	v_cmp_gt_i32_e64 s[6:7], v1, v8
	s_nop 1
	v_addc_co_u32_e64 v4, s[6:7], v4, v6, s[6:7]
	v_cmp_gt_i32_e64 s[6:7], v1, v13
	v_addc_co_u32_e32 v4, vcc, v4, v7, vcc
	s_nop 0
	v_addc_co_u32_e64 v3, s[6:7], v3, v9, s[6:7]
	v_cmp_gt_i32_e32 vcc, v1, v17
	v_cmp_gt_i32_e64 s[6:7], v1, v16
	s_nop 0
	v_addc_co_u32_e32 v3, vcc, v3, v10, vcc
	v_addc_co_u32_e64 v4, s[6:7], v4, v11, s[6:7]
	s_waitcnt lgkmcnt(0)
	v_cmp_gt_i32_e32 vcc, v1, v20
	v_cmp_gt_i32_e64 s[6:7], v1, v21
	s_nop 0
	v_addc_co_u32_e32 v4, vcc, v4, v14, vcc
	v_addc_co_u32_e64 v5, s[6:7], v3, v15, s[6:7]
	s_cbranch_scc1 .LBB63_57
.LBB63_58:                              ;   in Loop: Header=BB63_54 Depth=1
	s_and_b64 vcc, exec, s[4:5]
	s_cbranch_vccnz .LBB63_61
; %bb.59:                               ;   in Loop: Header=BB63_54 Depth=1
	s_lshl_b32 s6, s18, 2
	s_add_i32 s6, s6, 0
	s_mov_b32 s7, s17
.LBB63_60:                              ;   Parent Loop BB63_54 Depth=1
                                        ; =>  This Inner Loop Header: Depth=2
	v_mov_b32_e32 v3, s6
	ds_read2_b32 v[6:7], v3 offset1:1
	s_add_i32 s6, s6, 8
	s_add_i32 s7, s7, -8
	s_cmp_lg_u32 s7, 0
	s_waitcnt lgkmcnt(0)
	v_cmp_gt_i32_e32 vcc, v1, v7
	s_nop 1
	v_addc_co_u32_e32 v5, vcc, 0, v5, vcc
	v_cmp_gt_i32_e32 vcc, v1, v6
	s_nop 1
	v_addc_co_u32_e32 v4, vcc, 0, v4, vcc
	s_cbranch_scc1 .LBB63_60
.LBB63_61:                              ;   in Loop: Header=BB63_54 Depth=1
	v_add_u32_e32 v4, v4, v5
	s_mov_b32 s18, s15
	s_mov_b64 s[6:7], s[10:11]
.LBB63_62:                              ;   in Loop: Header=BB63_54 Depth=1
	s_and_b64 vcc, exec, s[6:7]
	s_cbranch_vccz .LBB63_53
; %bb.63:                               ;   in Loop: Header=BB63_54 Depth=1
	s_lshl_b32 s6, s18, 2
	s_add_i32 s6, s6, 0
.LBB63_64:                              ;   Parent Loop BB63_54 Depth=1
                                        ; =>  This Inner Loop Header: Depth=2
	v_mov_b32_e32 v3, s6
	ds_read_b32 v3, v3
	s_add_i32 s18, s18, 1
	s_add_i32 s6, s6, 4
	s_cmp_ge_i32 s18, s14
	s_waitcnt lgkmcnt(0)
	v_cmp_gt_i32_e32 vcc, v1, v3
	s_nop 1
	v_addc_co_u32_e32 v4, vcc, 0, v4, vcc
	s_cbranch_scc0 .LBB63_64
	s_branch .LBB63_53
.LBB63_65:
	s_endpgm
	.section	.rodata,"a",@progbits
	.p2align	6, 0x0
	.amdhsa_kernel _ZN9rocsparseL41csrgemm_numeric_fill_block_per_row_kernelILj128ELj16ELj256ELj137ELj64Eii21rocsparse_complex_numIdEEEvT5_PKS3_S5_NS_24const_host_device_scalarIT6_EEPKT4_S5_PKS7_SB_S5_SD_S8_SB_S5_SD_SB_S5_PS7_21rocsparse_index_base_SF_SF_SF_bbb
		.amdhsa_group_segment_fixed_size 0
		.amdhsa_private_segment_fixed_size 40
		.amdhsa_kernarg_size 172
		.amdhsa_user_sgpr_count 2
		.amdhsa_user_sgpr_dispatch_ptr 0
		.amdhsa_user_sgpr_queue_ptr 0
		.amdhsa_user_sgpr_kernarg_segment_ptr 1
		.amdhsa_user_sgpr_dispatch_id 0
		.amdhsa_user_sgpr_kernarg_preload_length 0
		.amdhsa_user_sgpr_kernarg_preload_offset 0
		.amdhsa_user_sgpr_private_segment_size 0
		.amdhsa_uses_dynamic_stack 0
		.amdhsa_enable_private_segment 1
		.amdhsa_system_sgpr_workgroup_id_x 1
		.amdhsa_system_sgpr_workgroup_id_y 0
		.amdhsa_system_sgpr_workgroup_id_z 0
		.amdhsa_system_sgpr_workgroup_info 0
		.amdhsa_system_vgpr_workitem_id 0
		.amdhsa_next_free_vgpr 28
		.amdhsa_next_free_sgpr 51
		.amdhsa_accum_offset 28
		.amdhsa_reserve_vcc 1
		.amdhsa_float_round_mode_32 0
		.amdhsa_float_round_mode_16_64 0
		.amdhsa_float_denorm_mode_32 3
		.amdhsa_float_denorm_mode_16_64 3
		.amdhsa_dx10_clamp 1
		.amdhsa_ieee_mode 1
		.amdhsa_fp16_overflow 0
		.amdhsa_tg_split 0
		.amdhsa_exception_fp_ieee_invalid_op 0
		.amdhsa_exception_fp_denorm_src 0
		.amdhsa_exception_fp_ieee_div_zero 0
		.amdhsa_exception_fp_ieee_overflow 0
		.amdhsa_exception_fp_ieee_underflow 0
		.amdhsa_exception_fp_ieee_inexact 0
		.amdhsa_exception_int_div_zero 0
	.end_amdhsa_kernel
	.section	.text._ZN9rocsparseL41csrgemm_numeric_fill_block_per_row_kernelILj128ELj16ELj256ELj137ELj64Eii21rocsparse_complex_numIdEEEvT5_PKS3_S5_NS_24const_host_device_scalarIT6_EEPKT4_S5_PKS7_SB_S5_SD_S8_SB_S5_SD_SB_S5_PS7_21rocsparse_index_base_SF_SF_SF_bbb,"axG",@progbits,_ZN9rocsparseL41csrgemm_numeric_fill_block_per_row_kernelILj128ELj16ELj256ELj137ELj64Eii21rocsparse_complex_numIdEEEvT5_PKS3_S5_NS_24const_host_device_scalarIT6_EEPKT4_S5_PKS7_SB_S5_SD_S8_SB_S5_SD_SB_S5_PS7_21rocsparse_index_base_SF_SF_SF_bbb,comdat
.Lfunc_end63:
	.size	_ZN9rocsparseL41csrgemm_numeric_fill_block_per_row_kernelILj128ELj16ELj256ELj137ELj64Eii21rocsparse_complex_numIdEEEvT5_PKS3_S5_NS_24const_host_device_scalarIT6_EEPKT4_S5_PKS7_SB_S5_SD_S8_SB_S5_SD_SB_S5_PS7_21rocsparse_index_base_SF_SF_SF_bbb, .Lfunc_end63-_ZN9rocsparseL41csrgemm_numeric_fill_block_per_row_kernelILj128ELj16ELj256ELj137ELj64Eii21rocsparse_complex_numIdEEEvT5_PKS3_S5_NS_24const_host_device_scalarIT6_EEPKT4_S5_PKS7_SB_S5_SD_S8_SB_S5_SD_SB_S5_PS7_21rocsparse_index_base_SF_SF_SF_bbb
                                        ; -- End function
	.set _ZN9rocsparseL41csrgemm_numeric_fill_block_per_row_kernelILj128ELj16ELj256ELj137ELj64Eii21rocsparse_complex_numIdEEEvT5_PKS3_S5_NS_24const_host_device_scalarIT6_EEPKT4_S5_PKS7_SB_S5_SD_S8_SB_S5_SD_SB_S5_PS7_21rocsparse_index_base_SF_SF_SF_bbb.num_vgpr, 28
	.set _ZN9rocsparseL41csrgemm_numeric_fill_block_per_row_kernelILj128ELj16ELj256ELj137ELj64Eii21rocsparse_complex_numIdEEEvT5_PKS3_S5_NS_24const_host_device_scalarIT6_EEPKT4_S5_PKS7_SB_S5_SD_S8_SB_S5_SD_SB_S5_PS7_21rocsparse_index_base_SF_SF_SF_bbb.num_agpr, 0
	.set _ZN9rocsparseL41csrgemm_numeric_fill_block_per_row_kernelILj128ELj16ELj256ELj137ELj64Eii21rocsparse_complex_numIdEEEvT5_PKS3_S5_NS_24const_host_device_scalarIT6_EEPKT4_S5_PKS7_SB_S5_SD_S8_SB_S5_SD_SB_S5_PS7_21rocsparse_index_base_SF_SF_SF_bbb.numbered_sgpr, 51
	.set _ZN9rocsparseL41csrgemm_numeric_fill_block_per_row_kernelILj128ELj16ELj256ELj137ELj64Eii21rocsparse_complex_numIdEEEvT5_PKS3_S5_NS_24const_host_device_scalarIT6_EEPKT4_S5_PKS7_SB_S5_SD_S8_SB_S5_SD_SB_S5_PS7_21rocsparse_index_base_SF_SF_SF_bbb.num_named_barrier, 0
	.set _ZN9rocsparseL41csrgemm_numeric_fill_block_per_row_kernelILj128ELj16ELj256ELj137ELj64Eii21rocsparse_complex_numIdEEEvT5_PKS3_S5_NS_24const_host_device_scalarIT6_EEPKT4_S5_PKS7_SB_S5_SD_S8_SB_S5_SD_SB_S5_PS7_21rocsparse_index_base_SF_SF_SF_bbb.private_seg_size, 40
	.set _ZN9rocsparseL41csrgemm_numeric_fill_block_per_row_kernelILj128ELj16ELj256ELj137ELj64Eii21rocsparse_complex_numIdEEEvT5_PKS3_S5_NS_24const_host_device_scalarIT6_EEPKT4_S5_PKS7_SB_S5_SD_S8_SB_S5_SD_SB_S5_PS7_21rocsparse_index_base_SF_SF_SF_bbb.uses_vcc, 1
	.set _ZN9rocsparseL41csrgemm_numeric_fill_block_per_row_kernelILj128ELj16ELj256ELj137ELj64Eii21rocsparse_complex_numIdEEEvT5_PKS3_S5_NS_24const_host_device_scalarIT6_EEPKT4_S5_PKS7_SB_S5_SD_S8_SB_S5_SD_SB_S5_PS7_21rocsparse_index_base_SF_SF_SF_bbb.uses_flat_scratch, 0
	.set _ZN9rocsparseL41csrgemm_numeric_fill_block_per_row_kernelILj128ELj16ELj256ELj137ELj64Eii21rocsparse_complex_numIdEEEvT5_PKS3_S5_NS_24const_host_device_scalarIT6_EEPKT4_S5_PKS7_SB_S5_SD_S8_SB_S5_SD_SB_S5_PS7_21rocsparse_index_base_SF_SF_SF_bbb.has_dyn_sized_stack, 0
	.set _ZN9rocsparseL41csrgemm_numeric_fill_block_per_row_kernelILj128ELj16ELj256ELj137ELj64Eii21rocsparse_complex_numIdEEEvT5_PKS3_S5_NS_24const_host_device_scalarIT6_EEPKT4_S5_PKS7_SB_S5_SD_S8_SB_S5_SD_SB_S5_PS7_21rocsparse_index_base_SF_SF_SF_bbb.has_recursion, 0
	.set _ZN9rocsparseL41csrgemm_numeric_fill_block_per_row_kernelILj128ELj16ELj256ELj137ELj64Eii21rocsparse_complex_numIdEEEvT5_PKS3_S5_NS_24const_host_device_scalarIT6_EEPKT4_S5_PKS7_SB_S5_SD_S8_SB_S5_SD_SB_S5_PS7_21rocsparse_index_base_SF_SF_SF_bbb.has_indirect_call, 0
	.section	.AMDGPU.csdata,"",@progbits
; Kernel info:
; codeLenInByte = 2740
; TotalNumSgprs: 57
; NumVgprs: 28
; NumAgprs: 0
; TotalNumVgprs: 28
; ScratchSize: 40
; MemoryBound: 0
; FloatMode: 240
; IeeeMode: 1
; LDSByteSize: 0 bytes/workgroup (compile time only)
; SGPRBlocks: 7
; VGPRBlocks: 3
; NumSGPRsForWavesPerEU: 57
; NumVGPRsForWavesPerEU: 28
; AccumOffset: 28
; Occupancy: 8
; WaveLimiterHint : 1
; COMPUTE_PGM_RSRC2:SCRATCH_EN: 1
; COMPUTE_PGM_RSRC2:USER_SGPR: 2
; COMPUTE_PGM_RSRC2:TRAP_HANDLER: 0
; COMPUTE_PGM_RSRC2:TGID_X_EN: 1
; COMPUTE_PGM_RSRC2:TGID_Y_EN: 0
; COMPUTE_PGM_RSRC2:TGID_Z_EN: 0
; COMPUTE_PGM_RSRC2:TIDIG_COMP_CNT: 0
; COMPUTE_PGM_RSRC3_GFX90A:ACCUM_OFFSET: 6
; COMPUTE_PGM_RSRC3_GFX90A:TG_SPLIT: 0
	.section	.text._ZN9rocsparseL41csrgemm_numeric_fill_block_per_row_kernelILj256ELj32ELj512ELj137ELj32Eii21rocsparse_complex_numIdEEEvT5_PKS3_S5_NS_24const_host_device_scalarIT6_EEPKT4_S5_PKS7_SB_S5_SD_S8_SB_S5_SD_SB_S5_PS7_21rocsparse_index_base_SF_SF_SF_bbb,"axG",@progbits,_ZN9rocsparseL41csrgemm_numeric_fill_block_per_row_kernelILj256ELj32ELj512ELj137ELj32Eii21rocsparse_complex_numIdEEEvT5_PKS3_S5_NS_24const_host_device_scalarIT6_EEPKT4_S5_PKS7_SB_S5_SD_S8_SB_S5_SD_SB_S5_PS7_21rocsparse_index_base_SF_SF_SF_bbb,comdat
	.globl	_ZN9rocsparseL41csrgemm_numeric_fill_block_per_row_kernelILj256ELj32ELj512ELj137ELj32Eii21rocsparse_complex_numIdEEEvT5_PKS3_S5_NS_24const_host_device_scalarIT6_EEPKT4_S5_PKS7_SB_S5_SD_S8_SB_S5_SD_SB_S5_PS7_21rocsparse_index_base_SF_SF_SF_bbb ; -- Begin function _ZN9rocsparseL41csrgemm_numeric_fill_block_per_row_kernelILj256ELj32ELj512ELj137ELj32Eii21rocsparse_complex_numIdEEEvT5_PKS3_S5_NS_24const_host_device_scalarIT6_EEPKT4_S5_PKS7_SB_S5_SD_S8_SB_S5_SD_SB_S5_PS7_21rocsparse_index_base_SF_SF_SF_bbb
	.p2align	8
	.type	_ZN9rocsparseL41csrgemm_numeric_fill_block_per_row_kernelILj256ELj32ELj512ELj137ELj32Eii21rocsparse_complex_numIdEEEvT5_PKS3_S5_NS_24const_host_device_scalarIT6_EEPKT4_S5_PKS7_SB_S5_SD_S8_SB_S5_SD_SB_S5_PS7_21rocsparse_index_base_SF_SF_SF_bbb,@function
_ZN9rocsparseL41csrgemm_numeric_fill_block_per_row_kernelILj256ELj32ELj512ELj137ELj32Eii21rocsparse_complex_numIdEEEvT5_PKS3_S5_NS_24const_host_device_scalarIT6_EEPKT4_S5_PKS7_SB_S5_SD_S8_SB_S5_SD_SB_S5_PS7_21rocsparse_index_base_SF_SF_SF_bbb: ; @_ZN9rocsparseL41csrgemm_numeric_fill_block_per_row_kernelILj256ELj32ELj512ELj137ELj32Eii21rocsparse_complex_numIdEEEvT5_PKS3_S5_NS_24const_host_device_scalarIT6_EEPKT4_S5_PKS7_SB_S5_SD_S8_SB_S5_SD_SB_S5_PS7_21rocsparse_index_base_SF_SF_SF_bbb
; %bb.0:
	s_load_dword s3, s[0:1], 0xa8
	s_load_dwordx4 s[12:15], s[0:1], 0x18
	s_load_dwordx4 s[8:11], s[0:1], 0x58
	v_mov_b64_e32 v[6:7], 0
	v_mov_b64_e32 v[10:11], 0
	s_waitcnt lgkmcnt(0)
	s_bitcmp1_b32 s3, 0
	s_cselect_b64 s[38:39], -1, 0
	s_bitcmp1_b32 s3, 16
	s_cselect_b64 s[6:7], -1, 0
	s_xor_b64 s[4:5], s[6:7], -1
	v_mov_b64_e32 v[2:3], s[12:13]
	v_cndmask_b32_e64 v1, 0, 1, s[4:5]
	scratch_store_dwordx2 off, v[2:3], off offset:16
	v_mov_b64_e32 v[2:3], s[8:9]
	s_bitcmp0_b32 s3, 0
	v_cmp_ne_u32_e64 s[4:5], 1, v1
	v_mov_b64_e32 v[12:13], 0
	scratch_store_dwordx2 off, v[2:3], off offset:24
	s_cbranch_scc1 .LBB64_3
; %bb.1:
	s_mov_b64 s[16:17], src_private_base
	s_and_b64 s[18:19], s[6:7], exec
	s_cselect_b32 s16, s17, s13
	s_cselect_b32 s17, 16, s12
	v_mov_b32_e32 v2, s17
	v_mov_b32_e32 v3, s16
	flat_load_dwordx2 v[10:11], v[2:3]
	s_and_b64 vcc, exec, s[4:5]
	v_mov_b64_e32 v[12:13], s[14:15]
	s_cbranch_vccnz .LBB64_3
; %bb.2:
	v_mov_b64_e32 v[2:3], s[12:13]
	flat_load_dwordx2 v[12:13], v[2:3] offset:8
.LBB64_3:
	s_load_dwordx4 s[20:23], s[0:1], 0x98
	s_bitcmp1_b32 s3, 8
	s_cselect_b64 s[36:37], -1, 0
	s_bfe_u32 s3, s3, 0x10008
	s_cmp_eq_u32 s3, 0
	v_mov_b64_e32 v[8:9], 0
	s_cbranch_scc1 .LBB64_6
; %bb.4:
	s_mov_b64 s[12:13], src_private_base
	s_and_b64 s[6:7], s[6:7], exec
	s_cselect_b32 s3, s13, s9
	s_cselect_b32 s6, 24, s8
	v_mov_b32_e32 v2, s6
	v_mov_b32_e32 v3, s3
	flat_load_dwordx2 v[8:9], v[2:3]
	s_and_b64 vcc, exec, s[4:5]
	v_mov_b64_e32 v[6:7], s[10:11]
	s_cbranch_vccnz .LBB64_6
; %bb.5:
	v_mov_b64_e32 v[2:3], s[8:9]
	flat_load_dwordx2 v[6:7], v[2:3] offset:8
.LBB64_6:
	s_load_dwordx2 s[34:35], s[0:1], 0x90
	s_load_dwordx8 s[12:19], s[0:1], 0x68
	s_load_dwordx4 s[24:27], s[0:1], 0x48
	s_load_dwordx8 s[4:11], s[0:1], 0x28
	s_load_dwordx4 s[28:31], s[0:1], 0x8
	s_load_dword s33, s[0:1], 0x0
	s_movk_i32 s0, 0x200
	v_cmp_gt_u32_e64 s[0:1], s0, v0
	v_lshl_add_u32 v22, v0, 4, 0
	v_lshl_add_u32 v1, v0, 2, 0
	s_and_saveexec_b64 s[40:41], s[0:1]
	s_cbranch_execz .LBB64_9
; %bb.7:
	s_mov_b32 s44, 0
	s_mov_b32 s45, s44
	;; [unrolled: 1-line block ×4, first 2 shown]
	v_add_u32_e32 v14, 0x800, v22
	v_or_b32_e32 v15, 0xffffff00, v0
	v_lshl_add_u32 v16, v0, 2, 0
	s_mov_b64 s[42:43], 0
	s_waitcnt lgkmcnt(0)
	v_mov_b32_e32 v17, s33
	v_mov_b64_e32 v[2:3], s[44:45]
	v_mov_b64_e32 v[4:5], s[46:47]
.LBB64_8:                               ; =>This Inner Loop Header: Depth=1
	v_add_co_u32_e32 v15, vcc, 0x100, v15
	s_xor_b64 s[44:45], vcc, -1
	s_and_b64 s[44:45], exec, s[44:45]
	ds_write_b32 v16, v17
	ds_write2_b64 v14, v[2:3], v[4:5] offset1:1
	v_add_u32_e32 v14, 0x1000, v14
	s_or_b64 s[42:43], s[44:45], s[42:43]
	v_add_u32_e32 v16, 0x400, v16
	s_andn2_b64 exec, exec, s[42:43]
	s_cbranch_execnz .LBB64_8
.LBB64_9:
	s_or_b64 exec, exec, s[40:41]
	s_waitcnt lgkmcnt(0)
	s_barrier
	s_load_dword s3, s[28:29], 0x0
	v_lshrrev_b32_e32 v23, 5, v0
	s_waitcnt lgkmcnt(0)
	s_add_i32 s2, s3, s2
	s_mov_b32 s3, 0
	s_lshl_b64 s[2:3], s[2:3], 2
	s_add_u32 s2, s30, s2
	s_addc_u32 s3, s31, s3
	s_load_dword s28, s[2:3], 0x0
	s_and_b64 vcc, exec, s[38:39]
	s_cbranch_vccz .LBB64_27
; %bb.10:
	s_waitcnt lgkmcnt(0)
	s_ashr_i32 s29, s28, 31
	s_lshl_b64 s[2:3], s[28:29], 2
	s_add_u32 s2, s4, s2
	s_addc_u32 s3, s5, s3
	s_load_dwordx2 s[4:5], s[2:3], 0x0
	v_subrev_u32_e32 v2, s20, v23
	s_waitcnt lgkmcnt(0)
	s_sub_i32 s29, s5, s20
	v_add_u32_e32 v14, s4, v2
	v_cmp_gt_i32_e32 vcc, s29, v14
	s_and_saveexec_b64 s[2:3], vcc
	s_cbranch_execz .LBB64_26
; %bb.11:
	v_and_b32_e32 v2, 31, v0
	v_subrev_u32_e32 v24, s21, v2
	s_mov_b64 s[4:5], 0
	s_movk_i32 s50, 0x89
	s_branch .LBB64_13
.LBB64_12:                              ;   in Loop: Header=BB64_13 Depth=1
	s_or_b64 exec, exec, s[30:31]
	v_add_u32_e32 v14, 8, v14
	v_cmp_le_i32_e32 vcc, s29, v14
	s_or_b64 s[4:5], vcc, s[4:5]
	s_andn2_b64 exec, exec, s[4:5]
	s_cbranch_execz .LBB64_26
.LBB64_13:                              ; =>This Loop Header: Depth=1
                                        ;     Child Loop BB64_17 Depth 2
                                        ;       Child Loop BB64_20 Depth 3
	v_ashrrev_i32_e32 v15, 31, v14
	v_lshl_add_u64 v[2:3], v[14:15], 2, s[6:7]
	global_load_dword v2, v[2:3], off
	s_waitcnt vmcnt(0)
	v_subrev_u32_e32 v2, s20, v2
	v_ashrrev_i32_e32 v3, 31, v2
	v_lshl_add_u64 v[2:3], v[2:3], 2, s[10:11]
	global_load_dwordx2 v[2:3], v[2:3], off
	s_waitcnt vmcnt(0)
	v_subrev_u32_e32 v25, s21, v3
	v_add_u32_e32 v16, v2, v24
	v_cmp_lt_i32_e32 vcc, v16, v25
	s_and_saveexec_b64 s[30:31], vcc
	s_cbranch_execz .LBB64_12
; %bb.14:                               ;   in Loop: Header=BB64_13 Depth=1
	v_lshl_add_u64 v[2:3], v[14:15], 4, s[8:9]
	global_load_dwordx4 v[2:5], v[2:3], off
	s_mov_b64 s[38:39], 0
	s_waitcnt vmcnt(0)
	v_mul_f64 v[18:19], v[4:5], -v[12:13]
	v_mul_f64 v[20:21], v[10:11], v[4:5]
	v_fmac_f64_e32 v[18:19], v[10:11], v[2:3]
	v_fmac_f64_e32 v[20:21], v[12:13], v[2:3]
	s_branch .LBB64_17
.LBB64_15:                              ;   in Loop: Header=BB64_17 Depth=2
	s_or_b64 exec, exec, s[42:43]
.LBB64_16:                              ;   in Loop: Header=BB64_17 Depth=2
	s_or_b64 exec, exec, s[40:41]
	s_waitcnt vmcnt(0)
	v_mul_f64 v[26:27], v[4:5], -v[20:21]
	v_mul_f64 v[4:5], v[18:19], v[4:5]
	v_fmac_f64_e32 v[26:27], v[18:19], v[2:3]
	v_fmac_f64_e32 v[4:5], v[20:21], v[2:3]
	v_lshl_add_u32 v2, v15, 4, 0
	ds_add_f64 v2, v[26:27] offset:2048
	ds_add_f64 v2, v[4:5] offset:2056
	v_add_u32_e32 v16, 32, v16
	v_cmp_ge_i32_e32 vcc, v16, v25
	s_or_b64 s[38:39], vcc, s[38:39]
	s_andn2_b64 exec, exec, s[38:39]
	s_cbranch_execz .LBB64_12
.LBB64_17:                              ;   Parent Loop BB64_13 Depth=1
                                        ; =>  This Loop Header: Depth=2
                                        ;       Child Loop BB64_20 Depth 3
	v_ashrrev_i32_e32 v17, 31, v16
	v_lshl_add_u64 v[2:3], v[16:17], 2, s[24:25]
	global_load_dword v15, v[2:3], off
	v_lshl_add_u64 v[2:3], v[16:17], 4, s[26:27]
	global_load_dwordx4 v[2:5], v[2:3], off
	s_waitcnt vmcnt(1)
	v_subrev_u32_e32 v17, s21, v15
	v_mul_lo_u32 v15, v17, s50
	v_and_b32_e32 v15, 0x1ff, v15
	v_lshl_add_u32 v26, v15, 2, 0
	ds_read_b32 v27, v26
	s_waitcnt lgkmcnt(0)
	v_cmp_ne_u32_e32 vcc, v27, v17
	s_and_saveexec_b64 s[40:41], vcc
	s_cbranch_execz .LBB64_16
; %bb.18:                               ;   in Loop: Header=BB64_17 Depth=2
	s_mov_b64 s[42:43], 0
	s_branch .LBB64_20
.LBB64_19:                              ;   in Loop: Header=BB64_20 Depth=3
	s_or_b64 exec, exec, s[48:49]
	s_and_b64 s[44:45], exec, s[46:47]
	s_or_b64 s[42:43], s[44:45], s[42:43]
	s_andn2_b64 exec, exec, s[42:43]
	s_cbranch_execz .LBB64_15
.LBB64_20:                              ;   Parent Loop BB64_13 Depth=1
                                        ;     Parent Loop BB64_17 Depth=2
                                        ; =>    This Inner Loop Header: Depth=3
	v_cmp_ne_u32_e32 vcc, s33, v27
	s_mov_b64 s[44:45], 0
	s_and_saveexec_b64 s[46:47], vcc
	s_xor_b64 s[46:47], exec, s[46:47]
	s_cbranch_execz .LBB64_22
; %bb.21:                               ;   in Loop: Header=BB64_20 Depth=3
	v_add_u32_e32 v15, 1, v15
	s_mov_b64 s[44:45], exec
	v_and_b32_e32 v15, 0x1ff, v15
                                        ; implicit-def: $vgpr26
	s_andn2_saveexec_b64 s[46:47], s[46:47]
	s_cbranch_execz .LBB64_24
	s_branch .LBB64_23
.LBB64_22:                              ;   in Loop: Header=BB64_20 Depth=3
	s_andn2_saveexec_b64 s[46:47], s[46:47]
	s_cbranch_execz .LBB64_24
.LBB64_23:                              ;   in Loop: Header=BB64_20 Depth=3
	v_mov_b32_e32 v27, s33
	ds_cmpst_rtn_b32 v26, v26, v27, v17
	s_andn2_b64 s[44:45], s[44:45], exec
	s_waitcnt lgkmcnt(0)
	v_cmp_ne_u32_e32 vcc, s33, v26
	s_and_b64 s[48:49], vcc, exec
	s_or_b64 s[44:45], s[44:45], s[48:49]
.LBB64_24:                              ;   in Loop: Header=BB64_20 Depth=3
	s_or_b64 exec, exec, s[46:47]
	s_mov_b64 s[46:47], -1
                                        ; implicit-def: $vgpr26
                                        ; implicit-def: $vgpr27
	s_and_saveexec_b64 s[48:49], s[44:45]
	s_cbranch_execz .LBB64_19
; %bb.25:                               ;   in Loop: Header=BB64_20 Depth=3
	v_lshl_add_u32 v26, v15, 2, 0
	ds_read_b32 v27, v26
	s_waitcnt lgkmcnt(0)
	v_cmp_eq_u32_e32 vcc, v27, v17
	s_orn2_b64 s[46:47], vcc, exec
	s_branch .LBB64_19
.LBB64_26:
	s_or_b64 exec, exec, s[2:3]
.LBB64_27:
	s_andn2_b64 vcc, exec, s[36:37]
	s_cbranch_vccnz .LBB64_42
; %bb.28:
	s_waitcnt lgkmcnt(0)
	s_ashr_i32 s29, s28, 31
	s_lshl_b64 s[2:3], s[28:29], 2
	s_add_u32 s2, s12, s2
	s_addc_u32 s3, s13, s3
	s_load_dwordx2 s[4:5], s[2:3], 0x0
	v_subrev_u32_e32 v2, s23, v0
	s_waitcnt lgkmcnt(0)
	s_sub_i32 s24, s5, s23
	s_waitcnt vmcnt(0)
	v_add_u32_e32 v10, s4, v2
	v_cmp_gt_i32_e32 vcc, s24, v10
	s_and_saveexec_b64 s[2:3], vcc
	s_cbranch_execz .LBB64_41
; %bb.29:
	s_mov_b64 s[4:5], 0
	s_movk_i32 s25, 0x89
	s_branch .LBB64_32
.LBB64_30:                              ;   in Loop: Header=BB64_32 Depth=1
	s_or_b64 exec, exec, s[8:9]
.LBB64_31:                              ;   in Loop: Header=BB64_32 Depth=1
	s_or_b64 exec, exec, s[6:7]
	s_waitcnt vmcnt(0)
	v_mul_f64 v[12:13], v[4:5], -v[6:7]
	v_mul_f64 v[4:5], v[8:9], v[4:5]
	v_fmac_f64_e32 v[12:13], v[8:9], v[2:3]
	v_fmac_f64_e32 v[4:5], v[6:7], v[2:3]
	v_lshl_add_u32 v2, v11, 4, 0
	ds_add_f64 v2, v[12:13] offset:2048
	ds_add_f64 v2, v[4:5] offset:2056
	v_add_u32_e32 v10, 0x100, v10
	v_cmp_le_i32_e32 vcc, s24, v10
	s_or_b64 s[4:5], vcc, s[4:5]
	s_andn2_b64 exec, exec, s[4:5]
	s_cbranch_execz .LBB64_41
.LBB64_32:                              ; =>This Loop Header: Depth=1
                                        ;     Child Loop BB64_35 Depth 2
	v_ashrrev_i32_e32 v11, 31, v10
	v_lshl_add_u64 v[2:3], v[10:11], 2, s[14:15]
	global_load_dword v12, v[2:3], off
	v_lshl_add_u64 v[2:3], v[10:11], 4, s[16:17]
	global_load_dwordx4 v[2:5], v[2:3], off
	s_waitcnt vmcnt(1)
	v_subrev_u32_e32 v12, s23, v12
	v_mul_lo_u32 v11, v12, s25
	v_and_b32_e32 v11, 0x1ff, v11
	v_lshl_add_u32 v13, v11, 2, 0
	ds_read_b32 v14, v13
	s_waitcnt lgkmcnt(0)
	v_cmp_ne_u32_e32 vcc, v14, v12
	s_and_saveexec_b64 s[6:7], vcc
	s_cbranch_execz .LBB64_31
; %bb.33:                               ;   in Loop: Header=BB64_32 Depth=1
	s_mov_b64 s[8:9], 0
	s_branch .LBB64_35
.LBB64_34:                              ;   in Loop: Header=BB64_35 Depth=2
	s_or_b64 exec, exec, s[20:21]
	s_and_b64 s[10:11], exec, s[12:13]
	s_or_b64 s[8:9], s[10:11], s[8:9]
	s_andn2_b64 exec, exec, s[8:9]
	s_cbranch_execz .LBB64_30
.LBB64_35:                              ;   Parent Loop BB64_32 Depth=1
                                        ; =>  This Inner Loop Header: Depth=2
	v_cmp_ne_u32_e32 vcc, s33, v14
	s_mov_b64 s[10:11], 0
	s_and_saveexec_b64 s[12:13], vcc
	s_xor_b64 s[12:13], exec, s[12:13]
	s_cbranch_execz .LBB64_37
; %bb.36:                               ;   in Loop: Header=BB64_35 Depth=2
	v_add_u32_e32 v11, 1, v11
	s_mov_b64 s[10:11], exec
	v_and_b32_e32 v11, 0x1ff, v11
                                        ; implicit-def: $vgpr13
	s_andn2_saveexec_b64 s[12:13], s[12:13]
	s_cbranch_execz .LBB64_39
	s_branch .LBB64_38
.LBB64_37:                              ;   in Loop: Header=BB64_35 Depth=2
	s_andn2_saveexec_b64 s[12:13], s[12:13]
	s_cbranch_execz .LBB64_39
.LBB64_38:                              ;   in Loop: Header=BB64_35 Depth=2
	v_mov_b32_e32 v14, s33
	ds_cmpst_rtn_b32 v13, v13, v14, v12
	s_andn2_b64 s[10:11], s[10:11], exec
	s_waitcnt lgkmcnt(0)
	v_cmp_ne_u32_e32 vcc, s33, v13
	s_and_b64 s[20:21], vcc, exec
	s_or_b64 s[10:11], s[10:11], s[20:21]
.LBB64_39:                              ;   in Loop: Header=BB64_35 Depth=2
	s_or_b64 exec, exec, s[12:13]
	s_mov_b64 s[12:13], -1
                                        ; implicit-def: $vgpr13
                                        ; implicit-def: $vgpr14
	s_and_saveexec_b64 s[20:21], s[10:11]
	s_cbranch_execz .LBB64_34
; %bb.40:                               ;   in Loop: Header=BB64_35 Depth=2
	v_lshl_add_u32 v13, v11, 2, 0
	ds_read_b32 v14, v13
	s_waitcnt lgkmcnt(0)
	v_cmp_eq_u32_e32 vcc, v14, v12
	s_orn2_b64 s[12:13], vcc, exec
	s_branch .LBB64_34
.LBB64_41:
	s_or_b64 exec, exec, s[2:3]
.LBB64_42:
	s_waitcnt lgkmcnt(0)
	s_barrier
	s_and_saveexec_b64 s[16:17], s[0:1]
	s_cbranch_execz .LBB64_63
; %bb.43:
	v_mbcnt_lo_u32_b32 v2, -1, 0
	v_mbcnt_hi_u32_b32 v2, -1, v2
	v_sub_u32_e32 v2, 63, v2
	s_movk_i32 s0, 0xff
	s_movk_i32 s6, 0x5f
	;; [unrolled: 1-line block ×6, first 2 shown]
	v_mov_b32_e32 v4, 0
	v_lshrrev_b64 v[2:3], v2, -1
	v_lshl_add_u32 v5, v23, 2, 0
	v_cmp_eq_u32_e64 s[0:1], s0, v0
	v_cmp_lt_u32_e64 s[2:3], 31, v0
	v_cmp_lt_u32_e64 s[4:5], 63, v0
	;; [unrolled: 1-line block ×7, first 2 shown]
	s_waitcnt vmcnt(0)
	v_add_u32_e32 v6, 0x800, v22
	v_or_b32_e32 v7, 0xffffff00, v0
	s_mov_b64 s[20:21], 0
	v_mov_b32_e32 v8, 0
	s_branch .LBB64_45
.LBB64_44:                              ;   in Loop: Header=BB64_45 Depth=1
	s_or_b64 exec, exec, s[24:25]
	s_waitcnt lgkmcnt(0)
	s_barrier
	ds_read_b32 v9, v4 offset:10268
	v_add_co_u32_e32 v7, vcc, 0x100, v7
	s_xor_b64 s[24:25], vcc, -1
	s_and_b64 s[24:25], exec, s[24:25]
	v_add_u32_e32 v6, 0x1000, v6
	s_waitcnt lgkmcnt(0)
	v_add_u32_e32 v8, v9, v8
	s_or_b64 s[20:21], s[24:25], s[20:21]
	v_add_u32_e32 v1, 0x400, v1
	s_andn2_b64 exec, exec, s[20:21]
	s_cbranch_execz .LBB64_63
.LBB64_45:                              ; =>This Inner Loop Header: Depth=1
	ds_read2_b64 v[12:15], v6 offset1:1
	ds_read_b32 v10, v1
	s_waitcnt lgkmcnt(1)
	scratch_store_dwordx4 off, v[12:15], off
	s_waitcnt lgkmcnt(0)
	v_cmp_gt_i32_e32 vcc, s33, v10
	s_bcnt1_i32_b64 s23, vcc
	s_nop 0
	v_and_b32_e32 v11, vcc_lo, v2
	v_and_b32_e32 v9, vcc_hi, v3
	v_bcnt_u32_b32 v11, v11, 0
	v_bcnt_u32_b32 v9, v9, v11
	v_mov_b32_e32 v11, s23
	s_barrier
	ds_write_b32 v5, v11 offset:10240
	s_waitcnt lgkmcnt(0)
	s_barrier
	s_and_saveexec_b64 s[24:25], s[2:3]
	s_cbranch_execz .LBB64_54
; %bb.46:                               ;   in Loop: Header=BB64_45 Depth=1
	ds_read_b32 v11, v4 offset:10240
	s_waitcnt lgkmcnt(0)
	v_add_u32_e32 v9, v11, v9
	s_or_b64 exec, exec, s[24:25]
	s_and_saveexec_b64 s[24:25], s[4:5]
	s_cbranch_execnz .LBB64_55
.LBB64_47:                              ;   in Loop: Header=BB64_45 Depth=1
	s_or_b64 exec, exec, s[24:25]
	s_and_saveexec_b64 s[24:25], s[6:7]
	s_cbranch_execz .LBB64_56
.LBB64_48:                              ;   in Loop: Header=BB64_45 Depth=1
	ds_read_b32 v11, v4 offset:10248
	s_waitcnt lgkmcnt(0)
	v_add_u32_e32 v9, v11, v9
	s_or_b64 exec, exec, s[24:25]
	s_and_saveexec_b64 s[24:25], s[8:9]
	s_cbranch_execnz .LBB64_57
.LBB64_49:                              ;   in Loop: Header=BB64_45 Depth=1
	s_or_b64 exec, exec, s[24:25]
	s_and_saveexec_b64 s[24:25], s[10:11]
	s_cbranch_execz .LBB64_58
.LBB64_50:                              ;   in Loop: Header=BB64_45 Depth=1
	ds_read_b32 v11, v4 offset:10256
	s_waitcnt lgkmcnt(0)
	v_add_u32_e32 v9, v11, v9
	s_or_b64 exec, exec, s[24:25]
	s_and_saveexec_b64 s[24:25], s[12:13]
	s_cbranch_execnz .LBB64_59
.LBB64_51:                              ;   in Loop: Header=BB64_45 Depth=1
	s_or_b64 exec, exec, s[24:25]
	s_and_saveexec_b64 s[24:25], s[14:15]
	s_cbranch_execz .LBB64_60
.LBB64_52:                              ;   in Loop: Header=BB64_45 Depth=1
	ds_read_b32 v11, v4 offset:10264
	s_waitcnt lgkmcnt(0)
	v_add_u32_e32 v9, v11, v9
	s_or_b64 exec, exec, s[24:25]
	s_and_saveexec_b64 s[24:25], vcc
	s_cbranch_execnz .LBB64_61
.LBB64_53:                              ;   in Loop: Header=BB64_45 Depth=1
	s_or_b64 exec, exec, s[24:25]
	s_and_saveexec_b64 s[24:25], s[0:1]
	s_cbranch_execz .LBB64_44
	s_branch .LBB64_62
.LBB64_54:                              ;   in Loop: Header=BB64_45 Depth=1
	s_or_b64 exec, exec, s[24:25]
	s_and_saveexec_b64 s[24:25], s[4:5]
	s_cbranch_execz .LBB64_47
.LBB64_55:                              ;   in Loop: Header=BB64_45 Depth=1
	ds_read_b32 v11, v4 offset:10244
	s_waitcnt lgkmcnt(0)
	v_add_u32_e32 v9, v11, v9
	s_or_b64 exec, exec, s[24:25]
	s_and_saveexec_b64 s[24:25], s[6:7]
	s_cbranch_execnz .LBB64_48
.LBB64_56:                              ;   in Loop: Header=BB64_45 Depth=1
	s_or_b64 exec, exec, s[24:25]
	s_and_saveexec_b64 s[24:25], s[8:9]
	s_cbranch_execz .LBB64_49
.LBB64_57:                              ;   in Loop: Header=BB64_45 Depth=1
	ds_read_b32 v11, v4 offset:10252
	s_waitcnt lgkmcnt(0)
	v_add_u32_e32 v9, v11, v9
	s_or_b64 exec, exec, s[24:25]
	s_and_saveexec_b64 s[24:25], s[10:11]
	s_cbranch_execnz .LBB64_50
.LBB64_58:                              ;   in Loop: Header=BB64_45 Depth=1
	s_or_b64 exec, exec, s[24:25]
	s_and_saveexec_b64 s[24:25], s[12:13]
	s_cbranch_execz .LBB64_51
.LBB64_59:                              ;   in Loop: Header=BB64_45 Depth=1
	ds_read_b32 v11, v4 offset:10260
	s_waitcnt lgkmcnt(0)
	v_add_u32_e32 v9, v11, v9
	s_or_b64 exec, exec, s[24:25]
	s_and_saveexec_b64 s[24:25], s[14:15]
	s_cbranch_execnz .LBB64_52
.LBB64_60:                              ;   in Loop: Header=BB64_45 Depth=1
	s_or_b64 exec, exec, s[24:25]
	s_and_saveexec_b64 s[24:25], vcc
	s_cbranch_execz .LBB64_53
.LBB64_61:                              ;   in Loop: Header=BB64_45 Depth=1
	scratch_load_dwordx4 v[12:15], off, off
	v_add3_u32 v11, v8, -1, v9
	v_lshl_add_u32 v11, v11, 2, 0
	v_add_u32_e32 v16, v8, v9
	v_lshl_add_u32 v16, v16, 4, 0
	ds_write_b32 v11, v10
	s_waitcnt vmcnt(0)
	ds_write2_b64 v16, v[12:13], v[14:15] offset0:254 offset1:255
	s_or_b64 exec, exec, s[24:25]
	s_and_saveexec_b64 s[24:25], s[0:1]
	s_cbranch_execz .LBB64_44
.LBB64_62:                              ;   in Loop: Header=BB64_45 Depth=1
	ds_write_b32 v4, v9 offset:10268
	s_branch .LBB64_44
.LBB64_63:
	s_or_b64 exec, exec, s[16:17]
	s_ashr_i32 s29, s28, 31
	s_lshl_b64 s[0:1], s[28:29], 2
	s_add_u32 s2, s18, s0
	s_addc_u32 s3, s19, s1
	s_load_dwordx2 s[0:1], s[2:3], 0x0
	s_waitcnt lgkmcnt(0)
	s_sub_i32 s14, s1, s0
	v_cmp_gt_i32_e32 vcc, s14, v0
	s_and_saveexec_b64 s[2:3], vcc
	s_cbranch_execz .LBB64_77
; %bb.64:
	s_sub_i32 s8, s0, s22
	v_sub_co_u32_e64 v1, s[0:1], s14, 2
	s_nop 0
	v_readfirstlane_b32 s2, v1
	s_lshr_b32 s2, s2, 1
	s_add_i32 s2, s2, 1
	s_xor_b64 s[0:1], s[0:1], -1
	s_and_b32 s15, s14, -2
	s_and_b32 s3, s2, 7
	s_and_b32 s16, s2, -8
	s_cmp_lg_u32 s3, 0
	v_cmp_lt_u32_e32 vcc, 13, v1
	s_cselect_b64 s[4:5], -1, 0
	s_cmp_lg_u32 s14, s15
	v_cndmask_b32_e64 v1, 0, 1, vcc
	s_cselect_b64 s[10:11], -1, 0
	s_lshl_b32 s17, s3, 3
	v_cndmask_b32_e64 v2, 0, 1, s[0:1]
	v_cmp_ne_u32_e64 s[2:3], 1, v1
	v_cndmask_b32_e64 v1, 0, 1, s[4:5]
	s_mov_b32 s9, 0
	s_mov_b64 s[12:13], 0
	v_cmp_ne_u32_e64 s[0:1], 1, v2
	v_cmp_ne_u32_e64 s[4:5], 1, v1
	s_movk_i32 s18, 0x800
	s_waitcnt vmcnt(0)
	s_branch .LBB64_66
.LBB64_65:                              ;   in Loop: Header=BB64_66 Depth=1
	v_mul_lo_u32 v3, v0, 12
	v_add3_u32 v1, v1, v3, s18
	s_waitcnt lgkmcnt(0)
	ds_read2_b64 v[4:7], v1 offset1:1
	v_add_u32_e32 v0, 0x100, v0
	v_ashrrev_i32_e32 v3, 31, v2
	v_cmp_le_i32_e32 vcc, s14, v0
	v_lshl_add_u64 v[2:3], v[2:3], 4, s[34:35]
	s_or_b64 s[12:13], vcc, s[12:13]
	s_waitcnt lgkmcnt(0)
	global_store_dwordx4 v[2:3], v[4:7], off
	s_andn2_b64 exec, exec, s[12:13]
	s_cbranch_execz .LBB64_77
.LBB64_66:                              ; =>This Loop Header: Depth=1
                                        ;     Child Loop BB64_69 Depth 2
                                        ;     Child Loop BB64_72 Depth 2
	;; [unrolled: 1-line block ×3, first 2 shown]
	v_lshl_add_u32 v1, v0, 2, 0
	ds_read_b32 v4, v1
	s_and_b64 vcc, exec, s[0:1]
	v_mov_b32_e32 v2, s8
	s_mov_b32 s19, 0
	s_mov_b64 s[6:7], -1
	s_cbranch_vccnz .LBB64_74
; %bb.67:                               ;   in Loop: Header=BB64_66 Depth=1
	s_and_b64 vcc, exec, s[2:3]
	v_mov_b64_e32 v[2:3], s[8:9]
	s_cbranch_vccnz .LBB64_70
; %bb.68:                               ;   in Loop: Header=BB64_66 Depth=1
	s_mov_b32 s20, 0
	v_mov_b32_e32 v2, s8
	v_mov_b32_e32 v3, 0
	s_mov_b32 s21, s16
.LBB64_69:                              ;   Parent Loop BB64_66 Depth=1
                                        ; =>  This Inner Loop Header: Depth=2
	v_mov_b32_e32 v5, s20
	ds_read2_b32 v[6:7], v5 offset1:1
	ds_read2_b32 v[8:9], v5 offset0:2 offset1:3
	ds_read2_b32 v[10:11], v5 offset0:4 offset1:5
	;; [unrolled: 1-line block ×7, first 2 shown]
	s_waitcnt lgkmcnt(7)
	v_cmp_gt_i32_e32 vcc, v4, v7
	s_waitcnt lgkmcnt(5)
	v_cmp_gt_i32_e64 s[6:7], v4, v10
	s_add_i32 s19, s19, 16
	v_cndmask_b32_e64 v5, 0, 1, vcc
	v_cmp_gt_i32_e32 vcc, v4, v6
	v_cndmask_b32_e64 v7, 0, 1, s[6:7]
	v_cmp_gt_i32_e64 s[6:7], v4, v11
	v_cndmask_b32_e64 v6, 0, 1, vcc
	v_cmp_gt_i32_e32 vcc, v4, v9
	v_cndmask_b32_e64 v9, 0, 1, s[6:7]
	s_waitcnt lgkmcnt(3)
	v_cmp_gt_i32_e64 s[6:7], v4, v15
	v_addc_co_u32_e32 v3, vcc, v3, v5, vcc
	s_nop 0
	v_cndmask_b32_e64 v10, 0, 1, s[6:7]
	v_cmp_gt_i32_e64 s[6:7], v4, v14
	v_cmp_gt_i32_e32 vcc, v4, v12
	s_add_i32 s20, s20, 64
	v_cndmask_b32_e64 v11, 0, 1, s[6:7]
	s_waitcnt lgkmcnt(1)
	v_cmp_gt_i32_e64 s[6:7], v4, v18
	s_add_i32 s21, s21, -8
	s_cmp_lg_u32 s21, 0
	v_cndmask_b32_e64 v14, 0, 1, s[6:7]
	v_cmp_gt_i32_e64 s[6:7], v4, v19
	s_nop 1
	v_cndmask_b32_e64 v15, 0, 1, s[6:7]
	v_cmp_gt_i32_e64 s[6:7], v4, v8
	s_nop 1
	v_addc_co_u32_e64 v2, s[6:7], v2, v6, s[6:7]
	v_cmp_gt_i32_e64 s[6:7], v4, v13
	v_addc_co_u32_e32 v2, vcc, v2, v7, vcc
	s_nop 0
	v_addc_co_u32_e64 v3, s[6:7], v3, v9, s[6:7]
	v_cmp_gt_i32_e32 vcc, v4, v17
	v_cmp_gt_i32_e64 s[6:7], v4, v16
	s_nop 0
	v_addc_co_u32_e32 v3, vcc, v3, v10, vcc
	v_addc_co_u32_e64 v2, s[6:7], v2, v11, s[6:7]
	s_waitcnt lgkmcnt(0)
	v_cmp_gt_i32_e32 vcc, v4, v20
	v_cmp_gt_i32_e64 s[6:7], v4, v21
	s_nop 0
	v_addc_co_u32_e32 v2, vcc, v2, v14, vcc
	v_addc_co_u32_e64 v3, s[6:7], v3, v15, s[6:7]
	s_cbranch_scc1 .LBB64_69
.LBB64_70:                              ;   in Loop: Header=BB64_66 Depth=1
	s_and_b64 vcc, exec, s[4:5]
	s_cbranch_vccnz .LBB64_73
; %bb.71:                               ;   in Loop: Header=BB64_66 Depth=1
	s_lshl_b32 s6, s19, 2
	s_add_i32 s6, s6, 0
	s_mov_b32 s7, s17
.LBB64_72:                              ;   Parent Loop BB64_66 Depth=1
                                        ; =>  This Inner Loop Header: Depth=2
	v_mov_b32_e32 v5, s6
	ds_read2_b32 v[6:7], v5 offset1:1
	s_add_i32 s6, s6, 8
	s_add_i32 s7, s7, -8
	s_cmp_lg_u32 s7, 0
	s_waitcnt lgkmcnt(0)
	v_cmp_gt_i32_e32 vcc, v4, v7
	s_nop 1
	v_addc_co_u32_e32 v3, vcc, 0, v3, vcc
	v_cmp_gt_i32_e32 vcc, v4, v6
	s_nop 1
	v_addc_co_u32_e32 v2, vcc, 0, v2, vcc
	s_cbranch_scc1 .LBB64_72
.LBB64_73:                              ;   in Loop: Header=BB64_66 Depth=1
	v_add_u32_e32 v2, v2, v3
	s_mov_b32 s19, s15
	s_mov_b64 s[6:7], s[10:11]
.LBB64_74:                              ;   in Loop: Header=BB64_66 Depth=1
	s_and_b64 vcc, exec, s[6:7]
	s_cbranch_vccz .LBB64_65
; %bb.75:                               ;   in Loop: Header=BB64_66 Depth=1
	s_lshl_b32 s6, s19, 2
	s_add_i32 s6, s6, 0
.LBB64_76:                              ;   Parent Loop BB64_66 Depth=1
                                        ; =>  This Inner Loop Header: Depth=2
	v_mov_b32_e32 v3, s6
	ds_read_b32 v3, v3
	s_add_i32 s19, s19, 1
	s_add_i32 s6, s6, 4
	s_cmp_ge_i32 s19, s14
	s_waitcnt lgkmcnt(0)
	v_cmp_gt_i32_e32 vcc, v4, v3
	s_nop 1
	v_addc_co_u32_e32 v2, vcc, 0, v2, vcc
	s_cbranch_scc0 .LBB64_76
	s_branch .LBB64_65
.LBB64_77:
	s_endpgm
	.section	.rodata,"a",@progbits
	.p2align	6, 0x0
	.amdhsa_kernel _ZN9rocsparseL41csrgemm_numeric_fill_block_per_row_kernelILj256ELj32ELj512ELj137ELj32Eii21rocsparse_complex_numIdEEEvT5_PKS3_S5_NS_24const_host_device_scalarIT6_EEPKT4_S5_PKS7_SB_S5_SD_S8_SB_S5_SD_SB_S5_PS7_21rocsparse_index_base_SF_SF_SF_bbb
		.amdhsa_group_segment_fixed_size 0
		.amdhsa_private_segment_fixed_size 40
		.amdhsa_kernarg_size 172
		.amdhsa_user_sgpr_count 2
		.amdhsa_user_sgpr_dispatch_ptr 0
		.amdhsa_user_sgpr_queue_ptr 0
		.amdhsa_user_sgpr_kernarg_segment_ptr 1
		.amdhsa_user_sgpr_dispatch_id 0
		.amdhsa_user_sgpr_kernarg_preload_length 0
		.amdhsa_user_sgpr_kernarg_preload_offset 0
		.amdhsa_user_sgpr_private_segment_size 0
		.amdhsa_uses_dynamic_stack 0
		.amdhsa_enable_private_segment 1
		.amdhsa_system_sgpr_workgroup_id_x 1
		.amdhsa_system_sgpr_workgroup_id_y 0
		.amdhsa_system_sgpr_workgroup_id_z 0
		.amdhsa_system_sgpr_workgroup_info 0
		.amdhsa_system_vgpr_workitem_id 0
		.amdhsa_next_free_vgpr 28
		.amdhsa_next_free_sgpr 51
		.amdhsa_accum_offset 28
		.amdhsa_reserve_vcc 1
		.amdhsa_float_round_mode_32 0
		.amdhsa_float_round_mode_16_64 0
		.amdhsa_float_denorm_mode_32 3
		.amdhsa_float_denorm_mode_16_64 3
		.amdhsa_dx10_clamp 1
		.amdhsa_ieee_mode 1
		.amdhsa_fp16_overflow 0
		.amdhsa_tg_split 0
		.amdhsa_exception_fp_ieee_invalid_op 0
		.amdhsa_exception_fp_denorm_src 0
		.amdhsa_exception_fp_ieee_div_zero 0
		.amdhsa_exception_fp_ieee_overflow 0
		.amdhsa_exception_fp_ieee_underflow 0
		.amdhsa_exception_fp_ieee_inexact 0
		.amdhsa_exception_int_div_zero 0
	.end_amdhsa_kernel
	.section	.text._ZN9rocsparseL41csrgemm_numeric_fill_block_per_row_kernelILj256ELj32ELj512ELj137ELj32Eii21rocsparse_complex_numIdEEEvT5_PKS3_S5_NS_24const_host_device_scalarIT6_EEPKT4_S5_PKS7_SB_S5_SD_S8_SB_S5_SD_SB_S5_PS7_21rocsparse_index_base_SF_SF_SF_bbb,"axG",@progbits,_ZN9rocsparseL41csrgemm_numeric_fill_block_per_row_kernelILj256ELj32ELj512ELj137ELj32Eii21rocsparse_complex_numIdEEEvT5_PKS3_S5_NS_24const_host_device_scalarIT6_EEPKT4_S5_PKS7_SB_S5_SD_S8_SB_S5_SD_SB_S5_PS7_21rocsparse_index_base_SF_SF_SF_bbb,comdat
.Lfunc_end64:
	.size	_ZN9rocsparseL41csrgemm_numeric_fill_block_per_row_kernelILj256ELj32ELj512ELj137ELj32Eii21rocsparse_complex_numIdEEEvT5_PKS3_S5_NS_24const_host_device_scalarIT6_EEPKT4_S5_PKS7_SB_S5_SD_S8_SB_S5_SD_SB_S5_PS7_21rocsparse_index_base_SF_SF_SF_bbb, .Lfunc_end64-_ZN9rocsparseL41csrgemm_numeric_fill_block_per_row_kernelILj256ELj32ELj512ELj137ELj32Eii21rocsparse_complex_numIdEEEvT5_PKS3_S5_NS_24const_host_device_scalarIT6_EEPKT4_S5_PKS7_SB_S5_SD_S8_SB_S5_SD_SB_S5_PS7_21rocsparse_index_base_SF_SF_SF_bbb
                                        ; -- End function
	.set _ZN9rocsparseL41csrgemm_numeric_fill_block_per_row_kernelILj256ELj32ELj512ELj137ELj32Eii21rocsparse_complex_numIdEEEvT5_PKS3_S5_NS_24const_host_device_scalarIT6_EEPKT4_S5_PKS7_SB_S5_SD_S8_SB_S5_SD_SB_S5_PS7_21rocsparse_index_base_SF_SF_SF_bbb.num_vgpr, 28
	.set _ZN9rocsparseL41csrgemm_numeric_fill_block_per_row_kernelILj256ELj32ELj512ELj137ELj32Eii21rocsparse_complex_numIdEEEvT5_PKS3_S5_NS_24const_host_device_scalarIT6_EEPKT4_S5_PKS7_SB_S5_SD_S8_SB_S5_SD_SB_S5_PS7_21rocsparse_index_base_SF_SF_SF_bbb.num_agpr, 0
	.set _ZN9rocsparseL41csrgemm_numeric_fill_block_per_row_kernelILj256ELj32ELj512ELj137ELj32Eii21rocsparse_complex_numIdEEEvT5_PKS3_S5_NS_24const_host_device_scalarIT6_EEPKT4_S5_PKS7_SB_S5_SD_S8_SB_S5_SD_SB_S5_PS7_21rocsparse_index_base_SF_SF_SF_bbb.numbered_sgpr, 51
	.set _ZN9rocsparseL41csrgemm_numeric_fill_block_per_row_kernelILj256ELj32ELj512ELj137ELj32Eii21rocsparse_complex_numIdEEEvT5_PKS3_S5_NS_24const_host_device_scalarIT6_EEPKT4_S5_PKS7_SB_S5_SD_S8_SB_S5_SD_SB_S5_PS7_21rocsparse_index_base_SF_SF_SF_bbb.num_named_barrier, 0
	.set _ZN9rocsparseL41csrgemm_numeric_fill_block_per_row_kernelILj256ELj32ELj512ELj137ELj32Eii21rocsparse_complex_numIdEEEvT5_PKS3_S5_NS_24const_host_device_scalarIT6_EEPKT4_S5_PKS7_SB_S5_SD_S8_SB_S5_SD_SB_S5_PS7_21rocsparse_index_base_SF_SF_SF_bbb.private_seg_size, 40
	.set _ZN9rocsparseL41csrgemm_numeric_fill_block_per_row_kernelILj256ELj32ELj512ELj137ELj32Eii21rocsparse_complex_numIdEEEvT5_PKS3_S5_NS_24const_host_device_scalarIT6_EEPKT4_S5_PKS7_SB_S5_SD_S8_SB_S5_SD_SB_S5_PS7_21rocsparse_index_base_SF_SF_SF_bbb.uses_vcc, 1
	.set _ZN9rocsparseL41csrgemm_numeric_fill_block_per_row_kernelILj256ELj32ELj512ELj137ELj32Eii21rocsparse_complex_numIdEEEvT5_PKS3_S5_NS_24const_host_device_scalarIT6_EEPKT4_S5_PKS7_SB_S5_SD_S8_SB_S5_SD_SB_S5_PS7_21rocsparse_index_base_SF_SF_SF_bbb.uses_flat_scratch, 0
	.set _ZN9rocsparseL41csrgemm_numeric_fill_block_per_row_kernelILj256ELj32ELj512ELj137ELj32Eii21rocsparse_complex_numIdEEEvT5_PKS3_S5_NS_24const_host_device_scalarIT6_EEPKT4_S5_PKS7_SB_S5_SD_S8_SB_S5_SD_SB_S5_PS7_21rocsparse_index_base_SF_SF_SF_bbb.has_dyn_sized_stack, 0
	.set _ZN9rocsparseL41csrgemm_numeric_fill_block_per_row_kernelILj256ELj32ELj512ELj137ELj32Eii21rocsparse_complex_numIdEEEvT5_PKS3_S5_NS_24const_host_device_scalarIT6_EEPKT4_S5_PKS7_SB_S5_SD_S8_SB_S5_SD_SB_S5_PS7_21rocsparse_index_base_SF_SF_SF_bbb.has_recursion, 0
	.set _ZN9rocsparseL41csrgemm_numeric_fill_block_per_row_kernelILj256ELj32ELj512ELj137ELj32Eii21rocsparse_complex_numIdEEEvT5_PKS3_S5_NS_24const_host_device_scalarIT6_EEPKT4_S5_PKS7_SB_S5_SD_S8_SB_S5_SD_SB_S5_PS7_21rocsparse_index_base_SF_SF_SF_bbb.has_indirect_call, 0
	.section	.AMDGPU.csdata,"",@progbits
; Kernel info:
; codeLenInByte = 3064
; TotalNumSgprs: 57
; NumVgprs: 28
; NumAgprs: 0
; TotalNumVgprs: 28
; ScratchSize: 40
; MemoryBound: 0
; FloatMode: 240
; IeeeMode: 1
; LDSByteSize: 0 bytes/workgroup (compile time only)
; SGPRBlocks: 7
; VGPRBlocks: 3
; NumSGPRsForWavesPerEU: 57
; NumVGPRsForWavesPerEU: 28
; AccumOffset: 28
; Occupancy: 8
; WaveLimiterHint : 1
; COMPUTE_PGM_RSRC2:SCRATCH_EN: 1
; COMPUTE_PGM_RSRC2:USER_SGPR: 2
; COMPUTE_PGM_RSRC2:TRAP_HANDLER: 0
; COMPUTE_PGM_RSRC2:TGID_X_EN: 1
; COMPUTE_PGM_RSRC2:TGID_Y_EN: 0
; COMPUTE_PGM_RSRC2:TGID_Z_EN: 0
; COMPUTE_PGM_RSRC2:TIDIG_COMP_CNT: 0
; COMPUTE_PGM_RSRC3_GFX90A:ACCUM_OFFSET: 6
; COMPUTE_PGM_RSRC3_GFX90A:TG_SPLIT: 0
	.section	.text._ZN9rocsparseL41csrgemm_numeric_fill_block_per_row_kernelILj256ELj32ELj512ELj137ELj64Eii21rocsparse_complex_numIdEEEvT5_PKS3_S5_NS_24const_host_device_scalarIT6_EEPKT4_S5_PKS7_SB_S5_SD_S8_SB_S5_SD_SB_S5_PS7_21rocsparse_index_base_SF_SF_SF_bbb,"axG",@progbits,_ZN9rocsparseL41csrgemm_numeric_fill_block_per_row_kernelILj256ELj32ELj512ELj137ELj64Eii21rocsparse_complex_numIdEEEvT5_PKS3_S5_NS_24const_host_device_scalarIT6_EEPKT4_S5_PKS7_SB_S5_SD_S8_SB_S5_SD_SB_S5_PS7_21rocsparse_index_base_SF_SF_SF_bbb,comdat
	.globl	_ZN9rocsparseL41csrgemm_numeric_fill_block_per_row_kernelILj256ELj32ELj512ELj137ELj64Eii21rocsparse_complex_numIdEEEvT5_PKS3_S5_NS_24const_host_device_scalarIT6_EEPKT4_S5_PKS7_SB_S5_SD_S8_SB_S5_SD_SB_S5_PS7_21rocsparse_index_base_SF_SF_SF_bbb ; -- Begin function _ZN9rocsparseL41csrgemm_numeric_fill_block_per_row_kernelILj256ELj32ELj512ELj137ELj64Eii21rocsparse_complex_numIdEEEvT5_PKS3_S5_NS_24const_host_device_scalarIT6_EEPKT4_S5_PKS7_SB_S5_SD_S8_SB_S5_SD_SB_S5_PS7_21rocsparse_index_base_SF_SF_SF_bbb
	.p2align	8
	.type	_ZN9rocsparseL41csrgemm_numeric_fill_block_per_row_kernelILj256ELj32ELj512ELj137ELj64Eii21rocsparse_complex_numIdEEEvT5_PKS3_S5_NS_24const_host_device_scalarIT6_EEPKT4_S5_PKS7_SB_S5_SD_S8_SB_S5_SD_SB_S5_PS7_21rocsparse_index_base_SF_SF_SF_bbb,@function
_ZN9rocsparseL41csrgemm_numeric_fill_block_per_row_kernelILj256ELj32ELj512ELj137ELj64Eii21rocsparse_complex_numIdEEEvT5_PKS3_S5_NS_24const_host_device_scalarIT6_EEPKT4_S5_PKS7_SB_S5_SD_S8_SB_S5_SD_SB_S5_PS7_21rocsparse_index_base_SF_SF_SF_bbb: ; @_ZN9rocsparseL41csrgemm_numeric_fill_block_per_row_kernelILj256ELj32ELj512ELj137ELj64Eii21rocsparse_complex_numIdEEEvT5_PKS3_S5_NS_24const_host_device_scalarIT6_EEPKT4_S5_PKS7_SB_S5_SD_S8_SB_S5_SD_SB_S5_PS7_21rocsparse_index_base_SF_SF_SF_bbb
; %bb.0:
	s_load_dword s3, s[0:1], 0xa8
	s_load_dwordx4 s[12:15], s[0:1], 0x18
	s_load_dwordx4 s[8:11], s[0:1], 0x58
	v_mov_b64_e32 v[6:7], 0
	v_mov_b64_e32 v[10:11], 0
	s_waitcnt lgkmcnt(0)
	s_bitcmp1_b32 s3, 0
	s_cselect_b64 s[38:39], -1, 0
	s_bitcmp1_b32 s3, 16
	s_cselect_b64 s[6:7], -1, 0
	s_xor_b64 s[4:5], s[6:7], -1
	v_mov_b64_e32 v[2:3], s[12:13]
	v_cndmask_b32_e64 v1, 0, 1, s[4:5]
	scratch_store_dwordx2 off, v[2:3], off offset:16
	v_mov_b64_e32 v[2:3], s[8:9]
	s_bitcmp0_b32 s3, 0
	v_cmp_ne_u32_e64 s[4:5], 1, v1
	v_mov_b64_e32 v[12:13], 0
	scratch_store_dwordx2 off, v[2:3], off offset:24
	s_cbranch_scc1 .LBB65_3
; %bb.1:
	s_mov_b64 s[16:17], src_private_base
	s_and_b64 s[18:19], s[6:7], exec
	s_cselect_b32 s16, s17, s13
	s_cselect_b32 s17, 16, s12
	v_mov_b32_e32 v2, s17
	v_mov_b32_e32 v3, s16
	flat_load_dwordx2 v[10:11], v[2:3]
	s_and_b64 vcc, exec, s[4:5]
	v_mov_b64_e32 v[12:13], s[14:15]
	s_cbranch_vccnz .LBB65_3
; %bb.2:
	v_mov_b64_e32 v[2:3], s[12:13]
	flat_load_dwordx2 v[12:13], v[2:3] offset:8
.LBB65_3:
	s_load_dwordx4 s[20:23], s[0:1], 0x98
	s_bitcmp1_b32 s3, 8
	s_cselect_b64 s[36:37], -1, 0
	s_bfe_u32 s3, s3, 0x10008
	s_cmp_eq_u32 s3, 0
	v_mov_b64_e32 v[8:9], 0
	s_cbranch_scc1 .LBB65_6
; %bb.4:
	s_mov_b64 s[12:13], src_private_base
	s_and_b64 s[6:7], s[6:7], exec
	s_cselect_b32 s3, s13, s9
	s_cselect_b32 s6, 24, s8
	v_mov_b32_e32 v2, s6
	v_mov_b32_e32 v3, s3
	flat_load_dwordx2 v[8:9], v[2:3]
	s_and_b64 vcc, exec, s[4:5]
	v_mov_b64_e32 v[6:7], s[10:11]
	s_cbranch_vccnz .LBB65_6
; %bb.5:
	v_mov_b64_e32 v[2:3], s[8:9]
	flat_load_dwordx2 v[6:7], v[2:3] offset:8
.LBB65_6:
	s_load_dwordx2 s[34:35], s[0:1], 0x90
	s_load_dwordx8 s[4:11], s[0:1], 0x68
	s_load_dwordx4 s[24:27], s[0:1], 0x48
	s_load_dwordx8 s[12:19], s[0:1], 0x28
	s_load_dwordx4 s[28:31], s[0:1], 0x8
	s_load_dword s33, s[0:1], 0x0
	s_movk_i32 s0, 0x200
	v_cmp_gt_u32_e64 s[0:1], s0, v0
	v_lshl_add_u32 v22, v0, 4, 0
	v_lshl_add_u32 v1, v0, 2, 0
	s_and_saveexec_b64 s[40:41], s[0:1]
	s_cbranch_execz .LBB65_9
; %bb.7:
	s_mov_b32 s44, 0
	s_mov_b32 s45, s44
	s_mov_b32 s46, s44
	s_mov_b32 s47, s44
	v_add_u32_e32 v14, 0x800, v22
	v_or_b32_e32 v15, 0xffffff00, v0
	v_lshl_add_u32 v16, v0, 2, 0
	s_mov_b64 s[42:43], 0
	s_waitcnt lgkmcnt(0)
	v_mov_b32_e32 v17, s33
	v_mov_b64_e32 v[2:3], s[44:45]
	v_mov_b64_e32 v[4:5], s[46:47]
.LBB65_8:                               ; =>This Inner Loop Header: Depth=1
	v_add_co_u32_e32 v15, vcc, 0x100, v15
	s_xor_b64 s[44:45], vcc, -1
	s_and_b64 s[44:45], exec, s[44:45]
	ds_write_b32 v16, v17
	ds_write2_b64 v14, v[2:3], v[4:5] offset1:1
	v_add_u32_e32 v14, 0x1000, v14
	s_or_b64 s[42:43], s[44:45], s[42:43]
	v_add_u32_e32 v16, 0x400, v16
	s_andn2_b64 exec, exec, s[42:43]
	s_cbranch_execnz .LBB65_8
.LBB65_9:
	s_or_b64 exec, exec, s[40:41]
	s_waitcnt lgkmcnt(0)
	s_barrier
	s_load_dword s3, s[28:29], 0x0
	s_waitcnt lgkmcnt(0)
	s_add_i32 s2, s3, s2
	s_mov_b32 s3, 0
	s_lshl_b64 s[2:3], s[2:3], 2
	s_add_u32 s2, s30, s2
	s_addc_u32 s3, s31, s3
	s_load_dword s28, s[2:3], 0x0
	s_and_b64 vcc, exec, s[38:39]
	s_cbranch_vccz .LBB65_27
; %bb.10:
	s_waitcnt lgkmcnt(0)
	s_ashr_i32 s29, s28, 31
	s_lshl_b64 s[2:3], s[28:29], 2
	s_add_u32 s2, s12, s2
	s_addc_u32 s3, s13, s3
	s_load_dwordx2 s[12:13], s[2:3], 0x0
	v_lshrrev_b32_e32 v2, 5, v0
	v_subrev_u32_e32 v2, s20, v2
	s_waitcnt lgkmcnt(0)
	s_sub_i32 s29, s13, s20
	v_add_u32_e32 v14, s12, v2
	v_cmp_gt_i32_e32 vcc, s29, v14
	s_and_saveexec_b64 s[2:3], vcc
	s_cbranch_execz .LBB65_26
; %bb.11:
	v_and_b32_e32 v2, 31, v0
	v_subrev_u32_e32 v23, s21, v2
	s_mov_b64 s[12:13], 0
	s_movk_i32 s50, 0x89
	s_branch .LBB65_13
.LBB65_12:                              ;   in Loop: Header=BB65_13 Depth=1
	s_or_b64 exec, exec, s[30:31]
	v_add_u32_e32 v14, 8, v14
	v_cmp_le_i32_e32 vcc, s29, v14
	s_or_b64 s[12:13], vcc, s[12:13]
	s_andn2_b64 exec, exec, s[12:13]
	s_cbranch_execz .LBB65_26
.LBB65_13:                              ; =>This Loop Header: Depth=1
                                        ;     Child Loop BB65_17 Depth 2
                                        ;       Child Loop BB65_20 Depth 3
	v_ashrrev_i32_e32 v15, 31, v14
	v_lshl_add_u64 v[2:3], v[14:15], 2, s[14:15]
	global_load_dword v2, v[2:3], off
	s_waitcnt vmcnt(0)
	v_subrev_u32_e32 v2, s20, v2
	v_ashrrev_i32_e32 v3, 31, v2
	v_lshl_add_u64 v[2:3], v[2:3], 2, s[18:19]
	global_load_dwordx2 v[2:3], v[2:3], off
	s_waitcnt vmcnt(0)
	v_subrev_u32_e32 v24, s21, v3
	v_add_u32_e32 v16, v2, v23
	v_cmp_lt_i32_e32 vcc, v16, v24
	s_and_saveexec_b64 s[30:31], vcc
	s_cbranch_execz .LBB65_12
; %bb.14:                               ;   in Loop: Header=BB65_13 Depth=1
	v_lshl_add_u64 v[2:3], v[14:15], 4, s[16:17]
	global_load_dwordx4 v[2:5], v[2:3], off
	s_mov_b64 s[38:39], 0
	s_waitcnt vmcnt(0)
	v_mul_f64 v[18:19], v[4:5], -v[12:13]
	v_mul_f64 v[20:21], v[10:11], v[4:5]
	v_fmac_f64_e32 v[18:19], v[10:11], v[2:3]
	v_fmac_f64_e32 v[20:21], v[12:13], v[2:3]
	s_branch .LBB65_17
.LBB65_15:                              ;   in Loop: Header=BB65_17 Depth=2
	s_or_b64 exec, exec, s[42:43]
.LBB65_16:                              ;   in Loop: Header=BB65_17 Depth=2
	s_or_b64 exec, exec, s[40:41]
	s_waitcnt vmcnt(0)
	v_mul_f64 v[26:27], v[4:5], -v[20:21]
	v_mul_f64 v[4:5], v[18:19], v[4:5]
	v_fmac_f64_e32 v[26:27], v[18:19], v[2:3]
	v_fmac_f64_e32 v[4:5], v[20:21], v[2:3]
	v_lshl_add_u32 v2, v15, 4, 0
	ds_add_f64 v2, v[26:27] offset:2048
	ds_add_f64 v2, v[4:5] offset:2056
	v_add_u32_e32 v16, 32, v16
	v_cmp_ge_i32_e32 vcc, v16, v24
	s_or_b64 s[38:39], vcc, s[38:39]
	s_andn2_b64 exec, exec, s[38:39]
	s_cbranch_execz .LBB65_12
.LBB65_17:                              ;   Parent Loop BB65_13 Depth=1
                                        ; =>  This Loop Header: Depth=2
                                        ;       Child Loop BB65_20 Depth 3
	v_ashrrev_i32_e32 v17, 31, v16
	v_lshl_add_u64 v[2:3], v[16:17], 2, s[24:25]
	global_load_dword v15, v[2:3], off
	v_lshl_add_u64 v[2:3], v[16:17], 4, s[26:27]
	global_load_dwordx4 v[2:5], v[2:3], off
	s_waitcnt vmcnt(1)
	v_subrev_u32_e32 v17, s21, v15
	v_mul_lo_u32 v15, v17, s50
	v_and_b32_e32 v15, 0x1ff, v15
	v_lshl_add_u32 v25, v15, 2, 0
	ds_read_b32 v26, v25
	s_waitcnt lgkmcnt(0)
	v_cmp_ne_u32_e32 vcc, v26, v17
	s_and_saveexec_b64 s[40:41], vcc
	s_cbranch_execz .LBB65_16
; %bb.18:                               ;   in Loop: Header=BB65_17 Depth=2
	s_mov_b64 s[42:43], 0
	s_branch .LBB65_20
.LBB65_19:                              ;   in Loop: Header=BB65_20 Depth=3
	s_or_b64 exec, exec, s[48:49]
	s_and_b64 s[44:45], exec, s[46:47]
	s_or_b64 s[42:43], s[44:45], s[42:43]
	s_andn2_b64 exec, exec, s[42:43]
	s_cbranch_execz .LBB65_15
.LBB65_20:                              ;   Parent Loop BB65_13 Depth=1
                                        ;     Parent Loop BB65_17 Depth=2
                                        ; =>    This Inner Loop Header: Depth=3
	v_cmp_ne_u32_e32 vcc, s33, v26
	s_mov_b64 s[44:45], 0
	s_and_saveexec_b64 s[46:47], vcc
	s_xor_b64 s[46:47], exec, s[46:47]
	s_cbranch_execz .LBB65_22
; %bb.21:                               ;   in Loop: Header=BB65_20 Depth=3
	v_add_u32_e32 v15, 1, v15
	s_mov_b64 s[44:45], exec
	v_and_b32_e32 v15, 0x1ff, v15
                                        ; implicit-def: $vgpr25
	s_andn2_saveexec_b64 s[46:47], s[46:47]
	s_cbranch_execz .LBB65_24
	s_branch .LBB65_23
.LBB65_22:                              ;   in Loop: Header=BB65_20 Depth=3
	s_andn2_saveexec_b64 s[46:47], s[46:47]
	s_cbranch_execz .LBB65_24
.LBB65_23:                              ;   in Loop: Header=BB65_20 Depth=3
	v_mov_b32_e32 v26, s33
	ds_cmpst_rtn_b32 v25, v25, v26, v17
	s_andn2_b64 s[44:45], s[44:45], exec
	s_waitcnt lgkmcnt(0)
	v_cmp_ne_u32_e32 vcc, s33, v25
	s_and_b64 s[48:49], vcc, exec
	s_or_b64 s[44:45], s[44:45], s[48:49]
.LBB65_24:                              ;   in Loop: Header=BB65_20 Depth=3
	s_or_b64 exec, exec, s[46:47]
	s_mov_b64 s[46:47], -1
                                        ; implicit-def: $vgpr25
                                        ; implicit-def: $vgpr26
	s_and_saveexec_b64 s[48:49], s[44:45]
	s_cbranch_execz .LBB65_19
; %bb.25:                               ;   in Loop: Header=BB65_20 Depth=3
	v_lshl_add_u32 v25, v15, 2, 0
	ds_read_b32 v26, v25
	s_waitcnt lgkmcnt(0)
	v_cmp_eq_u32_e32 vcc, v26, v17
	s_orn2_b64 s[46:47], vcc, exec
	s_branch .LBB65_19
.LBB65_26:
	s_or_b64 exec, exec, s[2:3]
.LBB65_27:
	s_andn2_b64 vcc, exec, s[36:37]
	s_cbranch_vccnz .LBB65_42
; %bb.28:
	s_waitcnt lgkmcnt(0)
	s_ashr_i32 s29, s28, 31
	s_lshl_b64 s[2:3], s[28:29], 2
	s_add_u32 s2, s4, s2
	s_addc_u32 s3, s5, s3
	s_load_dwordx2 s[4:5], s[2:3], 0x0
	v_subrev_u32_e32 v2, s23, v0
	s_waitcnt lgkmcnt(0)
	s_sub_i32 s24, s5, s23
	s_waitcnt vmcnt(0)
	v_add_u32_e32 v10, s4, v2
	v_cmp_gt_i32_e32 vcc, s24, v10
	s_and_saveexec_b64 s[2:3], vcc
	s_cbranch_execz .LBB65_41
; %bb.29:
	s_mov_b64 s[4:5], 0
	s_movk_i32 s25, 0x89
	s_branch .LBB65_32
.LBB65_30:                              ;   in Loop: Header=BB65_32 Depth=1
	s_or_b64 exec, exec, s[14:15]
.LBB65_31:                              ;   in Loop: Header=BB65_32 Depth=1
	s_or_b64 exec, exec, s[12:13]
	s_waitcnt vmcnt(0)
	v_mul_f64 v[12:13], v[4:5], -v[6:7]
	v_mul_f64 v[4:5], v[8:9], v[4:5]
	v_fmac_f64_e32 v[12:13], v[8:9], v[2:3]
	v_fmac_f64_e32 v[4:5], v[6:7], v[2:3]
	v_lshl_add_u32 v2, v11, 4, 0
	ds_add_f64 v2, v[12:13] offset:2048
	ds_add_f64 v2, v[4:5] offset:2056
	v_add_u32_e32 v10, 0x100, v10
	v_cmp_le_i32_e32 vcc, s24, v10
	s_or_b64 s[4:5], vcc, s[4:5]
	s_andn2_b64 exec, exec, s[4:5]
	s_cbranch_execz .LBB65_41
.LBB65_32:                              ; =>This Loop Header: Depth=1
                                        ;     Child Loop BB65_35 Depth 2
	v_ashrrev_i32_e32 v11, 31, v10
	v_lshl_add_u64 v[2:3], v[10:11], 2, s[6:7]
	global_load_dword v12, v[2:3], off
	v_lshl_add_u64 v[2:3], v[10:11], 4, s[8:9]
	global_load_dwordx4 v[2:5], v[2:3], off
	s_waitcnt vmcnt(1)
	v_subrev_u32_e32 v12, s23, v12
	v_mul_lo_u32 v11, v12, s25
	v_and_b32_e32 v11, 0x1ff, v11
	v_lshl_add_u32 v13, v11, 2, 0
	ds_read_b32 v14, v13
	s_waitcnt lgkmcnt(0)
	v_cmp_ne_u32_e32 vcc, v14, v12
	s_and_saveexec_b64 s[12:13], vcc
	s_cbranch_execz .LBB65_31
; %bb.33:                               ;   in Loop: Header=BB65_32 Depth=1
	s_mov_b64 s[14:15], 0
	s_branch .LBB65_35
.LBB65_34:                              ;   in Loop: Header=BB65_35 Depth=2
	s_or_b64 exec, exec, s[20:21]
	s_and_b64 s[16:17], exec, s[18:19]
	s_or_b64 s[14:15], s[16:17], s[14:15]
	s_andn2_b64 exec, exec, s[14:15]
	s_cbranch_execz .LBB65_30
.LBB65_35:                              ;   Parent Loop BB65_32 Depth=1
                                        ; =>  This Inner Loop Header: Depth=2
	v_cmp_ne_u32_e32 vcc, s33, v14
	s_mov_b64 s[16:17], 0
	s_and_saveexec_b64 s[18:19], vcc
	s_xor_b64 s[18:19], exec, s[18:19]
	s_cbranch_execz .LBB65_37
; %bb.36:                               ;   in Loop: Header=BB65_35 Depth=2
	v_add_u32_e32 v11, 1, v11
	s_mov_b64 s[16:17], exec
	v_and_b32_e32 v11, 0x1ff, v11
                                        ; implicit-def: $vgpr13
	s_andn2_saveexec_b64 s[18:19], s[18:19]
	s_cbranch_execz .LBB65_39
	s_branch .LBB65_38
.LBB65_37:                              ;   in Loop: Header=BB65_35 Depth=2
	s_andn2_saveexec_b64 s[18:19], s[18:19]
	s_cbranch_execz .LBB65_39
.LBB65_38:                              ;   in Loop: Header=BB65_35 Depth=2
	v_mov_b32_e32 v14, s33
	ds_cmpst_rtn_b32 v13, v13, v14, v12
	s_andn2_b64 s[16:17], s[16:17], exec
	s_waitcnt lgkmcnt(0)
	v_cmp_ne_u32_e32 vcc, s33, v13
	s_and_b64 s[20:21], vcc, exec
	s_or_b64 s[16:17], s[16:17], s[20:21]
.LBB65_39:                              ;   in Loop: Header=BB65_35 Depth=2
	s_or_b64 exec, exec, s[18:19]
	s_mov_b64 s[18:19], -1
                                        ; implicit-def: $vgpr13
                                        ; implicit-def: $vgpr14
	s_and_saveexec_b64 s[20:21], s[16:17]
	s_cbranch_execz .LBB65_34
; %bb.40:                               ;   in Loop: Header=BB65_35 Depth=2
	v_lshl_add_u32 v13, v11, 2, 0
	ds_read_b32 v14, v13
	s_waitcnt lgkmcnt(0)
	v_cmp_eq_u32_e32 vcc, v14, v12
	s_orn2_b64 s[18:19], vcc, exec
	s_branch .LBB65_34
.LBB65_41:
	s_or_b64 exec, exec, s[2:3]
.LBB65_42:
	s_waitcnt lgkmcnt(0)
	s_barrier
	s_and_saveexec_b64 s[8:9], s[0:1]
	s_cbranch_execz .LBB65_55
; %bb.43:
	v_mbcnt_lo_u32_b32 v2, -1, 0
	v_mbcnt_hi_u32_b32 v2, -1, v2
	v_lshrrev_b32_e32 v5, 4, v0
	v_sub_u32_e32 v2, 63, v2
	v_and_b32_e32 v5, 12, v5
	s_movk_i32 s0, 0xff
	s_movk_i32 s4, 0x7f
	;; [unrolled: 1-line block ×3, first 2 shown]
	v_mov_b32_e32 v4, 0
	v_lshrrev_b64 v[2:3], v2, -1
	v_add_u32_e32 v5, 0, v5
	v_cmp_eq_u32_e64 s[0:1], s0, v0
	v_cmp_lt_u32_e64 s[2:3], 63, v0
	v_cmp_lt_u32_e64 s[4:5], s4, v0
	;; [unrolled: 1-line block ×3, first 2 shown]
	s_waitcnt vmcnt(0)
	v_add_u32_e32 v6, 0x800, v22
	v_or_b32_e32 v7, 0xffffff00, v0
	s_mov_b64 s[12:13], 0
	v_mov_b32_e32 v8, 0
	s_branch .LBB65_45
.LBB65_44:                              ;   in Loop: Header=BB65_45 Depth=1
	s_or_b64 exec, exec, s[14:15]
	s_waitcnt lgkmcnt(0)
	s_barrier
	ds_read_b32 v9, v4 offset:10252
	v_add_co_u32_e32 v7, vcc, 0x100, v7
	s_xor_b64 s[14:15], vcc, -1
	s_and_b64 s[14:15], exec, s[14:15]
	v_add_u32_e32 v6, 0x1000, v6
	s_waitcnt lgkmcnt(0)
	v_add_u32_e32 v8, v9, v8
	s_or_b64 s[12:13], s[14:15], s[12:13]
	v_add_u32_e32 v1, 0x400, v1
	s_andn2_b64 exec, exec, s[12:13]
	s_cbranch_execz .LBB65_55
.LBB65_45:                              ; =>This Inner Loop Header: Depth=1
	ds_read2_b64 v[12:15], v6 offset1:1
	ds_read_b32 v10, v1
	s_waitcnt lgkmcnt(1)
	scratch_store_dwordx4 off, v[12:15], off
	s_waitcnt lgkmcnt(0)
	v_cmp_gt_i32_e32 vcc, s33, v10
	s_bcnt1_i32_b64 s14, vcc
	s_nop 0
	v_and_b32_e32 v11, vcc_lo, v2
	v_and_b32_e32 v9, vcc_hi, v3
	v_bcnt_u32_b32 v11, v11, 0
	v_bcnt_u32_b32 v9, v9, v11
	v_mov_b32_e32 v11, s14
	s_barrier
	ds_write_b32 v5, v11 offset:10240
	s_waitcnt lgkmcnt(0)
	s_barrier
	s_and_saveexec_b64 s[14:15], s[2:3]
	s_cbranch_execz .LBB65_50
; %bb.46:                               ;   in Loop: Header=BB65_45 Depth=1
	ds_read_b32 v11, v4 offset:10240
	s_waitcnt lgkmcnt(0)
	v_add_u32_e32 v9, v11, v9
	s_or_b64 exec, exec, s[14:15]
	s_and_saveexec_b64 s[14:15], s[4:5]
	s_cbranch_execnz .LBB65_51
.LBB65_47:                              ;   in Loop: Header=BB65_45 Depth=1
	s_or_b64 exec, exec, s[14:15]
	s_and_saveexec_b64 s[14:15], s[6:7]
	s_cbranch_execz .LBB65_52
.LBB65_48:                              ;   in Loop: Header=BB65_45 Depth=1
	ds_read_b32 v11, v4 offset:10248
	s_waitcnt lgkmcnt(0)
	v_add_u32_e32 v9, v11, v9
	s_or_b64 exec, exec, s[14:15]
	s_and_saveexec_b64 s[14:15], vcc
	s_cbranch_execnz .LBB65_53
.LBB65_49:                              ;   in Loop: Header=BB65_45 Depth=1
	s_or_b64 exec, exec, s[14:15]
	s_and_saveexec_b64 s[14:15], s[0:1]
	s_cbranch_execz .LBB65_44
	s_branch .LBB65_54
.LBB65_50:                              ;   in Loop: Header=BB65_45 Depth=1
	s_or_b64 exec, exec, s[14:15]
	s_and_saveexec_b64 s[14:15], s[4:5]
	s_cbranch_execz .LBB65_47
.LBB65_51:                              ;   in Loop: Header=BB65_45 Depth=1
	ds_read_b32 v11, v4 offset:10244
	s_waitcnt lgkmcnt(0)
	v_add_u32_e32 v9, v11, v9
	s_or_b64 exec, exec, s[14:15]
	s_and_saveexec_b64 s[14:15], s[6:7]
	s_cbranch_execnz .LBB65_48
.LBB65_52:                              ;   in Loop: Header=BB65_45 Depth=1
	s_or_b64 exec, exec, s[14:15]
	s_and_saveexec_b64 s[14:15], vcc
	s_cbranch_execz .LBB65_49
.LBB65_53:                              ;   in Loop: Header=BB65_45 Depth=1
	scratch_load_dwordx4 v[12:15], off, off
	v_add3_u32 v11, v8, -1, v9
	v_lshl_add_u32 v11, v11, 2, 0
	v_add_u32_e32 v16, v8, v9
	v_lshl_add_u32 v16, v16, 4, 0
	ds_write_b32 v11, v10
	s_waitcnt vmcnt(0)
	ds_write2_b64 v16, v[12:13], v[14:15] offset0:254 offset1:255
	s_or_b64 exec, exec, s[14:15]
	s_and_saveexec_b64 s[14:15], s[0:1]
	s_cbranch_execz .LBB65_44
.LBB65_54:                              ;   in Loop: Header=BB65_45 Depth=1
	ds_write_b32 v4, v9 offset:10252
	s_branch .LBB65_44
.LBB65_55:
	s_or_b64 exec, exec, s[8:9]
	s_ashr_i32 s29, s28, 31
	s_lshl_b64 s[0:1], s[28:29], 2
	s_add_u32 s2, s10, s0
	s_addc_u32 s3, s11, s1
	s_load_dwordx2 s[0:1], s[2:3], 0x0
	s_waitcnt lgkmcnt(0)
	s_sub_i32 s14, s1, s0
	v_cmp_gt_i32_e32 vcc, s14, v0
	s_and_saveexec_b64 s[2:3], vcc
	s_cbranch_execz .LBB65_69
; %bb.56:
	s_sub_i32 s8, s0, s22
	v_sub_co_u32_e64 v1, s[0:1], s14, 2
	s_nop 0
	v_readfirstlane_b32 s2, v1
	s_lshr_b32 s2, s2, 1
	s_add_i32 s2, s2, 1
	s_xor_b64 s[0:1], s[0:1], -1
	s_and_b32 s15, s14, -2
	s_and_b32 s3, s2, 7
	s_and_b32 s16, s2, -8
	s_cmp_lg_u32 s3, 0
	v_cmp_lt_u32_e32 vcc, 13, v1
	s_cselect_b64 s[4:5], -1, 0
	s_cmp_lg_u32 s14, s15
	v_cndmask_b32_e64 v1, 0, 1, vcc
	s_cselect_b64 s[10:11], -1, 0
	s_lshl_b32 s17, s3, 3
	v_cndmask_b32_e64 v2, 0, 1, s[0:1]
	v_cmp_ne_u32_e64 s[2:3], 1, v1
	v_cndmask_b32_e64 v1, 0, 1, s[4:5]
	s_mov_b32 s9, 0
	s_mov_b64 s[12:13], 0
	v_cmp_ne_u32_e64 s[0:1], 1, v2
	v_cmp_ne_u32_e64 s[4:5], 1, v1
	s_movk_i32 s18, 0x800
	s_waitcnt vmcnt(0)
	s_branch .LBB65_58
.LBB65_57:                              ;   in Loop: Header=BB65_58 Depth=1
	v_mul_lo_u32 v3, v0, 12
	v_add3_u32 v1, v1, v3, s18
	s_waitcnt lgkmcnt(0)
	ds_read2_b64 v[4:7], v1 offset1:1
	v_add_u32_e32 v0, 0x100, v0
	v_ashrrev_i32_e32 v3, 31, v2
	v_cmp_le_i32_e32 vcc, s14, v0
	v_lshl_add_u64 v[2:3], v[2:3], 4, s[34:35]
	s_or_b64 s[12:13], vcc, s[12:13]
	s_waitcnt lgkmcnt(0)
	global_store_dwordx4 v[2:3], v[4:7], off
	s_andn2_b64 exec, exec, s[12:13]
	s_cbranch_execz .LBB65_69
.LBB65_58:                              ; =>This Loop Header: Depth=1
                                        ;     Child Loop BB65_61 Depth 2
                                        ;     Child Loop BB65_64 Depth 2
	;; [unrolled: 1-line block ×3, first 2 shown]
	v_lshl_add_u32 v1, v0, 2, 0
	ds_read_b32 v4, v1
	s_and_b64 vcc, exec, s[0:1]
	v_mov_b32_e32 v2, s8
	s_mov_b32 s19, 0
	s_mov_b64 s[6:7], -1
	s_cbranch_vccnz .LBB65_66
; %bb.59:                               ;   in Loop: Header=BB65_58 Depth=1
	s_and_b64 vcc, exec, s[2:3]
	v_mov_b64_e32 v[2:3], s[8:9]
	s_cbranch_vccnz .LBB65_62
; %bb.60:                               ;   in Loop: Header=BB65_58 Depth=1
	s_mov_b32 s20, 0
	v_mov_b32_e32 v2, s8
	v_mov_b32_e32 v3, 0
	s_mov_b32 s21, s16
.LBB65_61:                              ;   Parent Loop BB65_58 Depth=1
                                        ; =>  This Inner Loop Header: Depth=2
	v_mov_b32_e32 v5, s20
	ds_read2_b32 v[6:7], v5 offset1:1
	ds_read2_b32 v[8:9], v5 offset0:2 offset1:3
	ds_read2_b32 v[10:11], v5 offset0:4 offset1:5
	;; [unrolled: 1-line block ×7, first 2 shown]
	s_waitcnt lgkmcnt(7)
	v_cmp_gt_i32_e32 vcc, v4, v7
	s_waitcnt lgkmcnt(5)
	v_cmp_gt_i32_e64 s[6:7], v4, v10
	s_add_i32 s19, s19, 16
	v_cndmask_b32_e64 v5, 0, 1, vcc
	v_cmp_gt_i32_e32 vcc, v4, v6
	v_cndmask_b32_e64 v7, 0, 1, s[6:7]
	v_cmp_gt_i32_e64 s[6:7], v4, v11
	v_cndmask_b32_e64 v6, 0, 1, vcc
	v_cmp_gt_i32_e32 vcc, v4, v9
	v_cndmask_b32_e64 v9, 0, 1, s[6:7]
	s_waitcnt lgkmcnt(3)
	v_cmp_gt_i32_e64 s[6:7], v4, v15
	v_addc_co_u32_e32 v3, vcc, v3, v5, vcc
	s_nop 0
	v_cndmask_b32_e64 v10, 0, 1, s[6:7]
	v_cmp_gt_i32_e64 s[6:7], v4, v14
	v_cmp_gt_i32_e32 vcc, v4, v12
	s_add_i32 s20, s20, 64
	v_cndmask_b32_e64 v11, 0, 1, s[6:7]
	s_waitcnt lgkmcnt(1)
	v_cmp_gt_i32_e64 s[6:7], v4, v18
	s_add_i32 s21, s21, -8
	s_cmp_lg_u32 s21, 0
	v_cndmask_b32_e64 v14, 0, 1, s[6:7]
	v_cmp_gt_i32_e64 s[6:7], v4, v19
	s_nop 1
	v_cndmask_b32_e64 v15, 0, 1, s[6:7]
	v_cmp_gt_i32_e64 s[6:7], v4, v8
	s_nop 1
	v_addc_co_u32_e64 v2, s[6:7], v2, v6, s[6:7]
	v_cmp_gt_i32_e64 s[6:7], v4, v13
	v_addc_co_u32_e32 v2, vcc, v2, v7, vcc
	s_nop 0
	v_addc_co_u32_e64 v3, s[6:7], v3, v9, s[6:7]
	v_cmp_gt_i32_e32 vcc, v4, v17
	v_cmp_gt_i32_e64 s[6:7], v4, v16
	s_nop 0
	v_addc_co_u32_e32 v3, vcc, v3, v10, vcc
	v_addc_co_u32_e64 v2, s[6:7], v2, v11, s[6:7]
	s_waitcnt lgkmcnt(0)
	v_cmp_gt_i32_e32 vcc, v4, v20
	v_cmp_gt_i32_e64 s[6:7], v4, v21
	s_nop 0
	v_addc_co_u32_e32 v2, vcc, v2, v14, vcc
	v_addc_co_u32_e64 v3, s[6:7], v3, v15, s[6:7]
	s_cbranch_scc1 .LBB65_61
.LBB65_62:                              ;   in Loop: Header=BB65_58 Depth=1
	s_and_b64 vcc, exec, s[4:5]
	s_cbranch_vccnz .LBB65_65
; %bb.63:                               ;   in Loop: Header=BB65_58 Depth=1
	s_lshl_b32 s6, s19, 2
	s_add_i32 s6, s6, 0
	s_mov_b32 s7, s17
.LBB65_64:                              ;   Parent Loop BB65_58 Depth=1
                                        ; =>  This Inner Loop Header: Depth=2
	v_mov_b32_e32 v5, s6
	ds_read2_b32 v[6:7], v5 offset1:1
	s_add_i32 s6, s6, 8
	s_add_i32 s7, s7, -8
	s_cmp_lg_u32 s7, 0
	s_waitcnt lgkmcnt(0)
	v_cmp_gt_i32_e32 vcc, v4, v7
	s_nop 1
	v_addc_co_u32_e32 v3, vcc, 0, v3, vcc
	v_cmp_gt_i32_e32 vcc, v4, v6
	s_nop 1
	v_addc_co_u32_e32 v2, vcc, 0, v2, vcc
	s_cbranch_scc1 .LBB65_64
.LBB65_65:                              ;   in Loop: Header=BB65_58 Depth=1
	v_add_u32_e32 v2, v2, v3
	s_mov_b32 s19, s15
	s_mov_b64 s[6:7], s[10:11]
.LBB65_66:                              ;   in Loop: Header=BB65_58 Depth=1
	s_and_b64 vcc, exec, s[6:7]
	s_cbranch_vccz .LBB65_57
; %bb.67:                               ;   in Loop: Header=BB65_58 Depth=1
	s_lshl_b32 s6, s19, 2
	s_add_i32 s6, s6, 0
.LBB65_68:                              ;   Parent Loop BB65_58 Depth=1
                                        ; =>  This Inner Loop Header: Depth=2
	v_mov_b32_e32 v3, s6
	ds_read_b32 v3, v3
	s_add_i32 s19, s19, 1
	s_add_i32 s6, s6, 4
	s_cmp_ge_i32 s19, s14
	s_waitcnt lgkmcnt(0)
	v_cmp_gt_i32_e32 vcc, v4, v3
	s_nop 1
	v_addc_co_u32_e32 v2, vcc, 0, v2, vcc
	s_cbranch_scc0 .LBB65_68
	s_branch .LBB65_57
.LBB65_69:
	s_endpgm
	.section	.rodata,"a",@progbits
	.p2align	6, 0x0
	.amdhsa_kernel _ZN9rocsparseL41csrgemm_numeric_fill_block_per_row_kernelILj256ELj32ELj512ELj137ELj64Eii21rocsparse_complex_numIdEEEvT5_PKS3_S5_NS_24const_host_device_scalarIT6_EEPKT4_S5_PKS7_SB_S5_SD_S8_SB_S5_SD_SB_S5_PS7_21rocsparse_index_base_SF_SF_SF_bbb
		.amdhsa_group_segment_fixed_size 0
		.amdhsa_private_segment_fixed_size 40
		.amdhsa_kernarg_size 172
		.amdhsa_user_sgpr_count 2
		.amdhsa_user_sgpr_dispatch_ptr 0
		.amdhsa_user_sgpr_queue_ptr 0
		.amdhsa_user_sgpr_kernarg_segment_ptr 1
		.amdhsa_user_sgpr_dispatch_id 0
		.amdhsa_user_sgpr_kernarg_preload_length 0
		.amdhsa_user_sgpr_kernarg_preload_offset 0
		.amdhsa_user_sgpr_private_segment_size 0
		.amdhsa_uses_dynamic_stack 0
		.amdhsa_enable_private_segment 1
		.amdhsa_system_sgpr_workgroup_id_x 1
		.amdhsa_system_sgpr_workgroup_id_y 0
		.amdhsa_system_sgpr_workgroup_id_z 0
		.amdhsa_system_sgpr_workgroup_info 0
		.amdhsa_system_vgpr_workitem_id 0
		.amdhsa_next_free_vgpr 28
		.amdhsa_next_free_sgpr 51
		.amdhsa_accum_offset 28
		.amdhsa_reserve_vcc 1
		.amdhsa_float_round_mode_32 0
		.amdhsa_float_round_mode_16_64 0
		.amdhsa_float_denorm_mode_32 3
		.amdhsa_float_denorm_mode_16_64 3
		.amdhsa_dx10_clamp 1
		.amdhsa_ieee_mode 1
		.amdhsa_fp16_overflow 0
		.amdhsa_tg_split 0
		.amdhsa_exception_fp_ieee_invalid_op 0
		.amdhsa_exception_fp_denorm_src 0
		.amdhsa_exception_fp_ieee_div_zero 0
		.amdhsa_exception_fp_ieee_overflow 0
		.amdhsa_exception_fp_ieee_underflow 0
		.amdhsa_exception_fp_ieee_inexact 0
		.amdhsa_exception_int_div_zero 0
	.end_amdhsa_kernel
	.section	.text._ZN9rocsparseL41csrgemm_numeric_fill_block_per_row_kernelILj256ELj32ELj512ELj137ELj64Eii21rocsparse_complex_numIdEEEvT5_PKS3_S5_NS_24const_host_device_scalarIT6_EEPKT4_S5_PKS7_SB_S5_SD_S8_SB_S5_SD_SB_S5_PS7_21rocsparse_index_base_SF_SF_SF_bbb,"axG",@progbits,_ZN9rocsparseL41csrgemm_numeric_fill_block_per_row_kernelILj256ELj32ELj512ELj137ELj64Eii21rocsparse_complex_numIdEEEvT5_PKS3_S5_NS_24const_host_device_scalarIT6_EEPKT4_S5_PKS7_SB_S5_SD_S8_SB_S5_SD_SB_S5_PS7_21rocsparse_index_base_SF_SF_SF_bbb,comdat
.Lfunc_end65:
	.size	_ZN9rocsparseL41csrgemm_numeric_fill_block_per_row_kernelILj256ELj32ELj512ELj137ELj64Eii21rocsparse_complex_numIdEEEvT5_PKS3_S5_NS_24const_host_device_scalarIT6_EEPKT4_S5_PKS7_SB_S5_SD_S8_SB_S5_SD_SB_S5_PS7_21rocsparse_index_base_SF_SF_SF_bbb, .Lfunc_end65-_ZN9rocsparseL41csrgemm_numeric_fill_block_per_row_kernelILj256ELj32ELj512ELj137ELj64Eii21rocsparse_complex_numIdEEEvT5_PKS3_S5_NS_24const_host_device_scalarIT6_EEPKT4_S5_PKS7_SB_S5_SD_S8_SB_S5_SD_SB_S5_PS7_21rocsparse_index_base_SF_SF_SF_bbb
                                        ; -- End function
	.set _ZN9rocsparseL41csrgemm_numeric_fill_block_per_row_kernelILj256ELj32ELj512ELj137ELj64Eii21rocsparse_complex_numIdEEEvT5_PKS3_S5_NS_24const_host_device_scalarIT6_EEPKT4_S5_PKS7_SB_S5_SD_S8_SB_S5_SD_SB_S5_PS7_21rocsparse_index_base_SF_SF_SF_bbb.num_vgpr, 28
	.set _ZN9rocsparseL41csrgemm_numeric_fill_block_per_row_kernelILj256ELj32ELj512ELj137ELj64Eii21rocsparse_complex_numIdEEEvT5_PKS3_S5_NS_24const_host_device_scalarIT6_EEPKT4_S5_PKS7_SB_S5_SD_S8_SB_S5_SD_SB_S5_PS7_21rocsparse_index_base_SF_SF_SF_bbb.num_agpr, 0
	.set _ZN9rocsparseL41csrgemm_numeric_fill_block_per_row_kernelILj256ELj32ELj512ELj137ELj64Eii21rocsparse_complex_numIdEEEvT5_PKS3_S5_NS_24const_host_device_scalarIT6_EEPKT4_S5_PKS7_SB_S5_SD_S8_SB_S5_SD_SB_S5_PS7_21rocsparse_index_base_SF_SF_SF_bbb.numbered_sgpr, 51
	.set _ZN9rocsparseL41csrgemm_numeric_fill_block_per_row_kernelILj256ELj32ELj512ELj137ELj64Eii21rocsparse_complex_numIdEEEvT5_PKS3_S5_NS_24const_host_device_scalarIT6_EEPKT4_S5_PKS7_SB_S5_SD_S8_SB_S5_SD_SB_S5_PS7_21rocsparse_index_base_SF_SF_SF_bbb.num_named_barrier, 0
	.set _ZN9rocsparseL41csrgemm_numeric_fill_block_per_row_kernelILj256ELj32ELj512ELj137ELj64Eii21rocsparse_complex_numIdEEEvT5_PKS3_S5_NS_24const_host_device_scalarIT6_EEPKT4_S5_PKS7_SB_S5_SD_S8_SB_S5_SD_SB_S5_PS7_21rocsparse_index_base_SF_SF_SF_bbb.private_seg_size, 40
	.set _ZN9rocsparseL41csrgemm_numeric_fill_block_per_row_kernelILj256ELj32ELj512ELj137ELj64Eii21rocsparse_complex_numIdEEEvT5_PKS3_S5_NS_24const_host_device_scalarIT6_EEPKT4_S5_PKS7_SB_S5_SD_S8_SB_S5_SD_SB_S5_PS7_21rocsparse_index_base_SF_SF_SF_bbb.uses_vcc, 1
	.set _ZN9rocsparseL41csrgemm_numeric_fill_block_per_row_kernelILj256ELj32ELj512ELj137ELj64Eii21rocsparse_complex_numIdEEEvT5_PKS3_S5_NS_24const_host_device_scalarIT6_EEPKT4_S5_PKS7_SB_S5_SD_S8_SB_S5_SD_SB_S5_PS7_21rocsparse_index_base_SF_SF_SF_bbb.uses_flat_scratch, 0
	.set _ZN9rocsparseL41csrgemm_numeric_fill_block_per_row_kernelILj256ELj32ELj512ELj137ELj64Eii21rocsparse_complex_numIdEEEvT5_PKS3_S5_NS_24const_host_device_scalarIT6_EEPKT4_S5_PKS7_SB_S5_SD_S8_SB_S5_SD_SB_S5_PS7_21rocsparse_index_base_SF_SF_SF_bbb.has_dyn_sized_stack, 0
	.set _ZN9rocsparseL41csrgemm_numeric_fill_block_per_row_kernelILj256ELj32ELj512ELj137ELj64Eii21rocsparse_complex_numIdEEEvT5_PKS3_S5_NS_24const_host_device_scalarIT6_EEPKT4_S5_PKS7_SB_S5_SD_S8_SB_S5_SD_SB_S5_PS7_21rocsparse_index_base_SF_SF_SF_bbb.has_recursion, 0
	.set _ZN9rocsparseL41csrgemm_numeric_fill_block_per_row_kernelILj256ELj32ELj512ELj137ELj64Eii21rocsparse_complex_numIdEEEvT5_PKS3_S5_NS_24const_host_device_scalarIT6_EEPKT4_S5_PKS7_SB_S5_SD_S8_SB_S5_SD_SB_S5_PS7_21rocsparse_index_base_SF_SF_SF_bbb.has_indirect_call, 0
	.section	.AMDGPU.csdata,"",@progbits
; Kernel info:
; codeLenInByte = 2864
; TotalNumSgprs: 57
; NumVgprs: 28
; NumAgprs: 0
; TotalNumVgprs: 28
; ScratchSize: 40
; MemoryBound: 0
; FloatMode: 240
; IeeeMode: 1
; LDSByteSize: 0 bytes/workgroup (compile time only)
; SGPRBlocks: 7
; VGPRBlocks: 3
; NumSGPRsForWavesPerEU: 57
; NumVGPRsForWavesPerEU: 28
; AccumOffset: 28
; Occupancy: 8
; WaveLimiterHint : 1
; COMPUTE_PGM_RSRC2:SCRATCH_EN: 1
; COMPUTE_PGM_RSRC2:USER_SGPR: 2
; COMPUTE_PGM_RSRC2:TRAP_HANDLER: 0
; COMPUTE_PGM_RSRC2:TGID_X_EN: 1
; COMPUTE_PGM_RSRC2:TGID_Y_EN: 0
; COMPUTE_PGM_RSRC2:TGID_Z_EN: 0
; COMPUTE_PGM_RSRC2:TIDIG_COMP_CNT: 0
; COMPUTE_PGM_RSRC3_GFX90A:ACCUM_OFFSET: 6
; COMPUTE_PGM_RSRC3_GFX90A:TG_SPLIT: 0
	.section	.text._ZN9rocsparseL41csrgemm_numeric_fill_block_per_row_kernelILj512ELj32ELj1024ELj137ELj32Eii21rocsparse_complex_numIdEEEvT5_PKS3_S5_NS_24const_host_device_scalarIT6_EEPKT4_S5_PKS7_SB_S5_SD_S8_SB_S5_SD_SB_S5_PS7_21rocsparse_index_base_SF_SF_SF_bbb,"axG",@progbits,_ZN9rocsparseL41csrgemm_numeric_fill_block_per_row_kernelILj512ELj32ELj1024ELj137ELj32Eii21rocsparse_complex_numIdEEEvT5_PKS3_S5_NS_24const_host_device_scalarIT6_EEPKT4_S5_PKS7_SB_S5_SD_S8_SB_S5_SD_SB_S5_PS7_21rocsparse_index_base_SF_SF_SF_bbb,comdat
	.globl	_ZN9rocsparseL41csrgemm_numeric_fill_block_per_row_kernelILj512ELj32ELj1024ELj137ELj32Eii21rocsparse_complex_numIdEEEvT5_PKS3_S5_NS_24const_host_device_scalarIT6_EEPKT4_S5_PKS7_SB_S5_SD_S8_SB_S5_SD_SB_S5_PS7_21rocsparse_index_base_SF_SF_SF_bbb ; -- Begin function _ZN9rocsparseL41csrgemm_numeric_fill_block_per_row_kernelILj512ELj32ELj1024ELj137ELj32Eii21rocsparse_complex_numIdEEEvT5_PKS3_S5_NS_24const_host_device_scalarIT6_EEPKT4_S5_PKS7_SB_S5_SD_S8_SB_S5_SD_SB_S5_PS7_21rocsparse_index_base_SF_SF_SF_bbb
	.p2align	8
	.type	_ZN9rocsparseL41csrgemm_numeric_fill_block_per_row_kernelILj512ELj32ELj1024ELj137ELj32Eii21rocsparse_complex_numIdEEEvT5_PKS3_S5_NS_24const_host_device_scalarIT6_EEPKT4_S5_PKS7_SB_S5_SD_S8_SB_S5_SD_SB_S5_PS7_21rocsparse_index_base_SF_SF_SF_bbb,@function
_ZN9rocsparseL41csrgemm_numeric_fill_block_per_row_kernelILj512ELj32ELj1024ELj137ELj32Eii21rocsparse_complex_numIdEEEvT5_PKS3_S5_NS_24const_host_device_scalarIT6_EEPKT4_S5_PKS7_SB_S5_SD_S8_SB_S5_SD_SB_S5_PS7_21rocsparse_index_base_SF_SF_SF_bbb: ; @_ZN9rocsparseL41csrgemm_numeric_fill_block_per_row_kernelILj512ELj32ELj1024ELj137ELj32Eii21rocsparse_complex_numIdEEEvT5_PKS3_S5_NS_24const_host_device_scalarIT6_EEPKT4_S5_PKS7_SB_S5_SD_S8_SB_S5_SD_SB_S5_PS7_21rocsparse_index_base_SF_SF_SF_bbb
; %bb.0:
	s_load_dword s3, s[0:1], 0xa8
	s_load_dwordx4 s[44:47], s[0:1], 0x98
	s_load_dwordx4 s[8:11], s[0:1], 0x18
	;; [unrolled: 1-line block ×3, first 2 shown]
	v_mov_b64_e32 v[6:7], 0
	s_waitcnt lgkmcnt(0)
	s_bitcmp1_b32 s3, 0
	s_cselect_b64 s[28:29], -1, 0
	s_bitcmp1_b32 s3, 16
	s_cselect_b64 s[30:31], -1, 0
	s_xor_b64 s[4:5], s[30:31], -1
	v_mov_b64_e32 v[2:3], s[8:9]
	v_cndmask_b32_e64 v1, 0, 1, s[4:5]
	scratch_store_dwordx2 off, v[2:3], off offset:16
	v_mov_b64_e32 v[2:3], s[24:25]
	s_bitcmp0_b32 s3, 0
	v_cmp_ne_u32_e64 s[4:5], 1, v1
	v_mov_b64_e32 v[10:11], 0
	v_mov_b64_e32 v[12:13], 0
	scratch_store_dwordx2 off, v[2:3], off offset:24
	s_cbranch_scc1 .LBB66_3
; %bb.1:
	s_mov_b64 s[6:7], src_private_base
	s_and_b64 s[12:13], s[30:31], exec
	s_cselect_b32 s6, s7, s9
	s_cselect_b32 s7, 16, s8
	v_mov_b32_e32 v2, s7
	v_mov_b32_e32 v3, s6
	flat_load_dwordx2 v[10:11], v[2:3]
	s_and_b64 vcc, exec, s[4:5]
	v_mov_b64_e32 v[12:13], s[10:11]
	s_cbranch_vccnz .LBB66_3
; %bb.2:
	v_mov_b64_e32 v[2:3], s[8:9]
	flat_load_dwordx2 v[12:13], v[2:3] offset:8
.LBB66_3:
	s_load_dwordx2 s[34:35], s[0:1], 0x90
	s_load_dwordx8 s[36:43], s[0:1], 0x68
	s_load_dwordx4 s[16:19], s[0:1], 0x48
	s_load_dwordx4 s[20:23], s[0:1], 0x8
	s_load_dwordx8 s[8:15], s[0:1], 0x28
	s_bitcmp1_b32 s3, 8
	s_cselect_b64 s[6:7], -1, 0
	s_bfe_u32 s3, s3, 0x10008
	s_cmp_eq_u32 s3, 0
	v_mov_b64_e32 v[8:9], 0
	s_cbranch_scc1 .LBB66_6
; %bb.4:
	s_mov_b64 s[48:49], src_private_base
	s_and_b64 s[30:31], s[30:31], exec
	s_cselect_b32 s3, s49, s25
	s_cselect_b32 s30, 24, s24
	v_mov_b32_e32 v2, s30
	v_mov_b32_e32 v3, s3
	flat_load_dwordx2 v[8:9], v[2:3]
	s_and_b64 vcc, exec, s[4:5]
	v_mov_b64_e32 v[6:7], s[26:27]
	s_cbranch_vccnz .LBB66_6
; %bb.5:
	v_mov_b64_e32 v[2:3], s[24:25]
	flat_load_dwordx2 v[6:7], v[2:3] offset:8
.LBB66_6:
	s_load_dword s33, s[0:1], 0x0
	s_mov_b32 s4, 0
	v_lshl_add_u32 v1, v0, 4, 0
	v_add_u32_e32 v1, 0x1000, v1
	v_or_b32_e32 v22, 0xfffffe00, v0
	v_lshl_add_u32 v23, v0, 2, 0
	s_mov_b32 s5, s4
	s_mov_b32 s24, s4
	;; [unrolled: 1-line block ×3, first 2 shown]
	s_mov_b64 s[0:1], 0
	s_waitcnt lgkmcnt(0)
	v_mov_b32_e32 v17, s33
	v_mov_b64_e32 v[2:3], s[4:5]
	v_mov_b64_e32 v[4:5], s[24:25]
	v_mov_b32_e32 v14, v23
	v_mov_b32_e32 v15, v22
	;; [unrolled: 1-line block ×3, first 2 shown]
.LBB66_7:                               ; =>This Inner Loop Header: Depth=1
	v_add_co_u32_e32 v15, vcc, 0x200, v15
	s_xor_b64 s[4:5], vcc, -1
	s_and_b64 s[4:5], exec, s[4:5]
	ds_write_b32 v14, v17
	ds_write2_b64 v16, v[2:3], v[4:5] offset1:1
	v_add_u32_e32 v16, 0x2000, v16
	s_or_b64 s[0:1], s[4:5], s[0:1]
	v_add_u32_e32 v14, 0x800, v14
	s_andn2_b64 exec, exec, s[0:1]
	s_cbranch_execnz .LBB66_7
; %bb.8:
	s_or_b64 exec, exec, s[0:1]
	s_waitcnt lgkmcnt(0)
	s_barrier
	s_load_dword s0, s[20:21], 0x0
	s_mov_b32 s1, 0
	v_lshrrev_b32_e32 v24, 5, v0
	s_waitcnt lgkmcnt(0)
	s_add_i32 s0, s0, s2
	s_lshl_b64 s[0:1], s[0:1], 2
	s_add_u32 s0, s22, s0
	s_addc_u32 s1, s23, s1
	s_load_dword s48, s[0:1], 0x0
	s_and_b64 vcc, exec, s[28:29]
	s_cbranch_vccz .LBB66_26
; %bb.9:
	s_waitcnt lgkmcnt(0)
	s_ashr_i32 s49, s48, 31
	s_lshl_b64 s[0:1], s[48:49], 2
	s_add_u32 s0, s8, s0
	s_addc_u32 s1, s9, s1
	s_load_dwordx2 s[2:3], s[0:1], 0x0
	v_subrev_u32_e32 v2, s44, v24
	s_waitcnt lgkmcnt(0)
	s_sub_i32 s30, s3, s44
	v_add_u32_e32 v14, s2, v2
	v_cmp_gt_i32_e32 vcc, s30, v14
	s_and_saveexec_b64 s[0:1], vcc
	s_cbranch_execz .LBB66_25
; %bb.10:
	v_and_b32_e32 v2, 31, v0
	v_subrev_u32_e32 v25, s45, v2
	s_mov_b64 s[2:3], 0
	s_movk_i32 s31, 0x89
	s_branch .LBB66_12
.LBB66_11:                              ;   in Loop: Header=BB66_12 Depth=1
	s_or_b64 exec, exec, s[4:5]
	v_add_u32_e32 v14, 16, v14
	v_cmp_le_i32_e32 vcc, s30, v14
	s_or_b64 s[2:3], vcc, s[2:3]
	s_andn2_b64 exec, exec, s[2:3]
	s_cbranch_execz .LBB66_25
.LBB66_12:                              ; =>This Loop Header: Depth=1
                                        ;     Child Loop BB66_16 Depth 2
                                        ;       Child Loop BB66_19 Depth 3
	v_ashrrev_i32_e32 v15, 31, v14
	v_lshl_add_u64 v[2:3], v[14:15], 2, s[10:11]
	global_load_dword v2, v[2:3], off
	s_waitcnt vmcnt(0)
	v_subrev_u32_e32 v2, s44, v2
	v_ashrrev_i32_e32 v3, 31, v2
	v_lshl_add_u64 v[2:3], v[2:3], 2, s[14:15]
	global_load_dwordx2 v[2:3], v[2:3], off
	s_waitcnt vmcnt(0)
	v_subrev_u32_e32 v26, s45, v3
	v_add_u32_e32 v16, v2, v25
	v_cmp_lt_i32_e32 vcc, v16, v26
	s_and_saveexec_b64 s[4:5], vcc
	s_cbranch_execz .LBB66_11
; %bb.13:                               ;   in Loop: Header=BB66_12 Depth=1
	v_lshl_add_u64 v[2:3], v[14:15], 4, s[12:13]
	global_load_dwordx4 v[2:5], v[2:3], off
	s_mov_b64 s[8:9], 0
	s_waitcnt vmcnt(0)
	v_mul_f64 v[18:19], v[4:5], -v[12:13]
	v_mul_f64 v[20:21], v[10:11], v[4:5]
	v_fmac_f64_e32 v[18:19], v[10:11], v[2:3]
	v_fmac_f64_e32 v[20:21], v[12:13], v[2:3]
	s_branch .LBB66_16
.LBB66_14:                              ;   in Loop: Header=BB66_16 Depth=2
	s_or_b64 exec, exec, s[22:23]
.LBB66_15:                              ;   in Loop: Header=BB66_16 Depth=2
	s_or_b64 exec, exec, s[20:21]
	s_waitcnt vmcnt(0)
	v_mul_f64 v[28:29], v[4:5], -v[20:21]
	v_mul_f64 v[4:5], v[18:19], v[4:5]
	v_fmac_f64_e32 v[28:29], v[18:19], v[2:3]
	v_fmac_f64_e32 v[4:5], v[20:21], v[2:3]
	v_lshl_add_u32 v2, v15, 4, 0
	ds_add_f64 v2, v[28:29] offset:4096
	ds_add_f64 v2, v[4:5] offset:4104
	v_add_u32_e32 v16, 32, v16
	v_cmp_ge_i32_e32 vcc, v16, v26
	s_or_b64 s[8:9], vcc, s[8:9]
	s_andn2_b64 exec, exec, s[8:9]
	s_cbranch_execz .LBB66_11
.LBB66_16:                              ;   Parent Loop BB66_12 Depth=1
                                        ; =>  This Loop Header: Depth=2
                                        ;       Child Loop BB66_19 Depth 3
	v_ashrrev_i32_e32 v17, 31, v16
	v_lshl_add_u64 v[2:3], v[16:17], 2, s[16:17]
	global_load_dword v15, v[2:3], off
	v_lshl_add_u64 v[2:3], v[16:17], 4, s[18:19]
	global_load_dwordx4 v[2:5], v[2:3], off
	s_waitcnt vmcnt(1)
	v_subrev_u32_e32 v17, s45, v15
	v_mul_lo_u32 v15, v17, s31
	v_and_b32_e32 v15, 0x3ff, v15
	v_lshl_add_u32 v27, v15, 2, 0
	ds_read_b32 v28, v27
	s_waitcnt lgkmcnt(0)
	v_cmp_ne_u32_e32 vcc, v28, v17
	s_and_saveexec_b64 s[20:21], vcc
	s_cbranch_execz .LBB66_15
; %bb.17:                               ;   in Loop: Header=BB66_16 Depth=2
	s_mov_b64 s[22:23], 0
	s_branch .LBB66_19
.LBB66_18:                              ;   in Loop: Header=BB66_19 Depth=3
	s_or_b64 exec, exec, s[28:29]
	s_and_b64 s[24:25], exec, s[26:27]
	s_or_b64 s[22:23], s[24:25], s[22:23]
	s_andn2_b64 exec, exec, s[22:23]
	s_cbranch_execz .LBB66_14
.LBB66_19:                              ;   Parent Loop BB66_12 Depth=1
                                        ;     Parent Loop BB66_16 Depth=2
                                        ; =>    This Inner Loop Header: Depth=3
	v_cmp_ne_u32_e32 vcc, s33, v28
	s_mov_b64 s[24:25], 0
	s_and_saveexec_b64 s[26:27], vcc
	s_xor_b64 s[26:27], exec, s[26:27]
	s_cbranch_execz .LBB66_21
; %bb.20:                               ;   in Loop: Header=BB66_19 Depth=3
	v_add_u32_e32 v15, 1, v15
	s_mov_b64 s[24:25], exec
	v_and_b32_e32 v15, 0x3ff, v15
                                        ; implicit-def: $vgpr27
	s_andn2_saveexec_b64 s[26:27], s[26:27]
	s_cbranch_execz .LBB66_23
	s_branch .LBB66_22
.LBB66_21:                              ;   in Loop: Header=BB66_19 Depth=3
	s_andn2_saveexec_b64 s[26:27], s[26:27]
	s_cbranch_execz .LBB66_23
.LBB66_22:                              ;   in Loop: Header=BB66_19 Depth=3
	v_mov_b32_e32 v28, s33
	ds_cmpst_rtn_b32 v27, v27, v28, v17
	s_andn2_b64 s[24:25], s[24:25], exec
	s_waitcnt lgkmcnt(0)
	v_cmp_ne_u32_e32 vcc, s33, v27
	s_and_b64 s[28:29], vcc, exec
	s_or_b64 s[24:25], s[24:25], s[28:29]
.LBB66_23:                              ;   in Loop: Header=BB66_19 Depth=3
	s_or_b64 exec, exec, s[26:27]
	s_mov_b64 s[26:27], -1
                                        ; implicit-def: $vgpr27
                                        ; implicit-def: $vgpr28
	s_and_saveexec_b64 s[28:29], s[24:25]
	s_cbranch_execz .LBB66_18
; %bb.24:                               ;   in Loop: Header=BB66_19 Depth=3
	v_lshl_add_u32 v27, v15, 2, 0
	ds_read_b32 v28, v27
	s_waitcnt lgkmcnt(0)
	v_cmp_eq_u32_e32 vcc, v28, v17
	s_orn2_b64 s[26:27], vcc, exec
	s_branch .LBB66_18
.LBB66_25:
	s_or_b64 exec, exec, s[0:1]
.LBB66_26:
	s_andn2_b64 vcc, exec, s[6:7]
	s_cbranch_vccnz .LBB66_41
; %bb.27:
	s_waitcnt lgkmcnt(0)
	s_ashr_i32 s49, s48, 31
	s_lshl_b64 s[0:1], s[48:49], 2
	s_add_u32 s0, s36, s0
	s_addc_u32 s1, s37, s1
	s_load_dwordx2 s[2:3], s[0:1], 0x0
	v_subrev_u32_e32 v2, s47, v0
	s_waitcnt lgkmcnt(0)
	s_sub_i32 s14, s3, s47
	s_waitcnt vmcnt(0)
	v_add_u32_e32 v10, s2, v2
	v_cmp_gt_i32_e32 vcc, s14, v10
	s_and_saveexec_b64 s[0:1], vcc
	s_cbranch_execz .LBB66_40
; %bb.28:
	s_mov_b64 s[2:3], 0
	s_movk_i32 s15, 0x89
	s_branch .LBB66_31
.LBB66_29:                              ;   in Loop: Header=BB66_31 Depth=1
	s_or_b64 exec, exec, s[6:7]
.LBB66_30:                              ;   in Loop: Header=BB66_31 Depth=1
	s_or_b64 exec, exec, s[4:5]
	s_waitcnt vmcnt(0)
	v_mul_f64 v[12:13], v[4:5], -v[6:7]
	v_mul_f64 v[4:5], v[8:9], v[4:5]
	v_fmac_f64_e32 v[12:13], v[8:9], v[2:3]
	v_fmac_f64_e32 v[4:5], v[6:7], v[2:3]
	v_lshl_add_u32 v2, v11, 4, 0
	ds_add_f64 v2, v[12:13] offset:4096
	ds_add_f64 v2, v[4:5] offset:4104
	v_add_u32_e32 v10, 0x200, v10
	v_cmp_le_i32_e32 vcc, s14, v10
	s_or_b64 s[2:3], vcc, s[2:3]
	s_andn2_b64 exec, exec, s[2:3]
	s_cbranch_execz .LBB66_40
.LBB66_31:                              ; =>This Loop Header: Depth=1
                                        ;     Child Loop BB66_34 Depth 2
	v_ashrrev_i32_e32 v11, 31, v10
	v_lshl_add_u64 v[2:3], v[10:11], 2, s[38:39]
	global_load_dword v12, v[2:3], off
	v_lshl_add_u64 v[2:3], v[10:11], 4, s[40:41]
	global_load_dwordx4 v[2:5], v[2:3], off
	s_waitcnt vmcnt(1)
	v_subrev_u32_e32 v12, s47, v12
	v_mul_lo_u32 v11, v12, s15
	v_and_b32_e32 v11, 0x3ff, v11
	v_lshl_add_u32 v13, v11, 2, 0
	ds_read_b32 v14, v13
	s_waitcnt lgkmcnt(0)
	v_cmp_ne_u32_e32 vcc, v14, v12
	s_and_saveexec_b64 s[4:5], vcc
	s_cbranch_execz .LBB66_30
; %bb.32:                               ;   in Loop: Header=BB66_31 Depth=1
	s_mov_b64 s[6:7], 0
	s_branch .LBB66_34
.LBB66_33:                              ;   in Loop: Header=BB66_34 Depth=2
	s_or_b64 exec, exec, s[12:13]
	s_and_b64 s[8:9], exec, s[10:11]
	s_or_b64 s[6:7], s[8:9], s[6:7]
	s_andn2_b64 exec, exec, s[6:7]
	s_cbranch_execz .LBB66_29
.LBB66_34:                              ;   Parent Loop BB66_31 Depth=1
                                        ; =>  This Inner Loop Header: Depth=2
	v_cmp_ne_u32_e32 vcc, s33, v14
	s_mov_b64 s[8:9], 0
	s_and_saveexec_b64 s[10:11], vcc
	s_xor_b64 s[10:11], exec, s[10:11]
	s_cbranch_execz .LBB66_36
; %bb.35:                               ;   in Loop: Header=BB66_34 Depth=2
	v_add_u32_e32 v11, 1, v11
	s_mov_b64 s[8:9], exec
	v_and_b32_e32 v11, 0x3ff, v11
                                        ; implicit-def: $vgpr13
	s_andn2_saveexec_b64 s[10:11], s[10:11]
	s_cbranch_execz .LBB66_38
	s_branch .LBB66_37
.LBB66_36:                              ;   in Loop: Header=BB66_34 Depth=2
	s_andn2_saveexec_b64 s[10:11], s[10:11]
	s_cbranch_execz .LBB66_38
.LBB66_37:                              ;   in Loop: Header=BB66_34 Depth=2
	v_mov_b32_e32 v14, s33
	ds_cmpst_rtn_b32 v13, v13, v14, v12
	s_andn2_b64 s[8:9], s[8:9], exec
	s_waitcnt lgkmcnt(0)
	v_cmp_ne_u32_e32 vcc, s33, v13
	s_and_b64 s[12:13], vcc, exec
	s_or_b64 s[8:9], s[8:9], s[12:13]
.LBB66_38:                              ;   in Loop: Header=BB66_34 Depth=2
	s_or_b64 exec, exec, s[10:11]
	s_mov_b64 s[10:11], -1
                                        ; implicit-def: $vgpr13
                                        ; implicit-def: $vgpr14
	s_and_saveexec_b64 s[12:13], s[8:9]
	s_cbranch_execz .LBB66_33
; %bb.39:                               ;   in Loop: Header=BB66_34 Depth=2
	v_lshl_add_u32 v13, v11, 2, 0
	ds_read_b32 v14, v13
	s_waitcnt lgkmcnt(0)
	v_cmp_eq_u32_e32 vcc, v14, v12
	s_orn2_b64 s[10:11], vcc, exec
	s_branch .LBB66_33
.LBB66_40:
	s_or_b64 exec, exec, s[0:1]
.LBB66_41:
	v_mbcnt_lo_u32_b32 v2, -1, 0
	v_mbcnt_hi_u32_b32 v2, -1, v2
	v_sub_u32_e32 v2, 63, v2
	s_movk_i32 s0, 0x1ff
	s_movk_i32 s6, 0x5f
	;; [unrolled: 1-line block ×14, first 2 shown]
	v_mov_b32_e32 v4, 0
	v_lshrrev_b64 v[2:3], v2, -1
	v_lshl_add_u32 v5, v24, 2, 0
	v_cmp_eq_u32_e64 s[0:1], s0, v0
	v_cmp_lt_u32_e64 s[2:3], 31, v0
	v_cmp_lt_u32_e64 s[4:5], 63, v0
	;; [unrolled: 1-line block ×15, first 2 shown]
	s_mov_b64 s[36:37], 0
	s_waitcnt vmcnt(0)
	v_mov_b32_e32 v6, 0
	s_waitcnt lgkmcnt(0)
	s_barrier
	s_branch .LBB66_43
.LBB66_42:                              ;   in Loop: Header=BB66_43 Depth=1
	s_or_b64 exec, exec, s[38:39]
	s_waitcnt lgkmcnt(0)
	s_barrier
	ds_read_b32 v7, v4 offset:20540
	v_add_co_u32_e32 v22, vcc, 0x200, v22
	s_xor_b64 s[38:39], vcc, -1
	s_and_b64 s[38:39], exec, s[38:39]
	v_add_u32_e32 v1, 0x2000, v1
	s_waitcnt lgkmcnt(0)
	v_add_u32_e32 v6, v7, v6
	s_or_b64 s[36:37], s[38:39], s[36:37]
	v_add_u32_e32 v23, 0x800, v23
	s_andn2_b64 exec, exec, s[36:37]
	s_cbranch_execz .LBB66_77
.LBB66_43:                              ; =>This Inner Loop Header: Depth=1
	ds_read2_b64 v[10:13], v1 offset1:1
	ds_read_b32 v8, v23
	s_waitcnt lgkmcnt(1)
	scratch_store_dwordx4 off, v[10:13], off
	s_waitcnt lgkmcnt(0)
	v_cmp_gt_i32_e32 vcc, s33, v8
	s_bcnt1_i32_b64 s38, vcc
	s_nop 0
	v_and_b32_e32 v9, vcc_lo, v2
	v_and_b32_e32 v7, vcc_hi, v3
	v_bcnt_u32_b32 v9, v9, 0
	v_bcnt_u32_b32 v7, v7, v9
	v_mov_b32_e32 v9, s38
	s_barrier
	ds_write_b32 v5, v9 offset:20480
	s_waitcnt lgkmcnt(0)
	s_barrier
	s_and_saveexec_b64 s[38:39], s[2:3]
	s_cbranch_execz .LBB66_60
; %bb.44:                               ;   in Loop: Header=BB66_43 Depth=1
	ds_read_b32 v9, v4 offset:20480
	s_waitcnt lgkmcnt(0)
	v_add_u32_e32 v7, v9, v7
	s_or_b64 exec, exec, s[38:39]
	s_and_saveexec_b64 s[38:39], s[4:5]
	s_cbranch_execnz .LBB66_61
.LBB66_45:                              ;   in Loop: Header=BB66_43 Depth=1
	s_or_b64 exec, exec, s[38:39]
	s_and_saveexec_b64 s[38:39], s[6:7]
	s_cbranch_execz .LBB66_62
.LBB66_46:                              ;   in Loop: Header=BB66_43 Depth=1
	ds_read_b32 v9, v4 offset:20488
	s_waitcnt lgkmcnt(0)
	v_add_u32_e32 v7, v9, v7
	s_or_b64 exec, exec, s[38:39]
	s_and_saveexec_b64 s[38:39], s[8:9]
	s_cbranch_execnz .LBB66_63
.LBB66_47:                              ;   in Loop: Header=BB66_43 Depth=1
	s_or_b64 exec, exec, s[38:39]
	s_and_saveexec_b64 s[38:39], s[10:11]
	s_cbranch_execz .LBB66_64
.LBB66_48:                              ;   in Loop: Header=BB66_43 Depth=1
	ds_read_b32 v9, v4 offset:20496
	s_waitcnt lgkmcnt(0)
	v_add_u32_e32 v7, v9, v7
	s_or_b64 exec, exec, s[38:39]
	s_and_saveexec_b64 s[38:39], s[12:13]
	s_cbranch_execnz .LBB66_65
.LBB66_49:                              ;   in Loop: Header=BB66_43 Depth=1
	s_or_b64 exec, exec, s[38:39]
	s_and_saveexec_b64 s[38:39], s[14:15]
	s_cbranch_execz .LBB66_66
.LBB66_50:                              ;   in Loop: Header=BB66_43 Depth=1
	ds_read_b32 v9, v4 offset:20504
	s_waitcnt lgkmcnt(0)
	v_add_u32_e32 v7, v9, v7
	s_or_b64 exec, exec, s[38:39]
	s_and_saveexec_b64 s[38:39], s[16:17]
	s_cbranch_execnz .LBB66_67
.LBB66_51:                              ;   in Loop: Header=BB66_43 Depth=1
	s_or_b64 exec, exec, s[38:39]
	s_and_saveexec_b64 s[38:39], s[18:19]
	s_cbranch_execz .LBB66_68
.LBB66_52:                              ;   in Loop: Header=BB66_43 Depth=1
	ds_read_b32 v9, v4 offset:20512
	s_waitcnt lgkmcnt(0)
	v_add_u32_e32 v7, v9, v7
	s_or_b64 exec, exec, s[38:39]
	s_and_saveexec_b64 s[38:39], s[20:21]
	s_cbranch_execnz .LBB66_69
.LBB66_53:                              ;   in Loop: Header=BB66_43 Depth=1
	s_or_b64 exec, exec, s[38:39]
	s_and_saveexec_b64 s[38:39], s[22:23]
	s_cbranch_execz .LBB66_70
.LBB66_54:                              ;   in Loop: Header=BB66_43 Depth=1
	ds_read_b32 v9, v4 offset:20520
	s_waitcnt lgkmcnt(0)
	v_add_u32_e32 v7, v9, v7
	s_or_b64 exec, exec, s[38:39]
	s_and_saveexec_b64 s[38:39], s[24:25]
	s_cbranch_execnz .LBB66_71
.LBB66_55:                              ;   in Loop: Header=BB66_43 Depth=1
	s_or_b64 exec, exec, s[38:39]
	s_and_saveexec_b64 s[38:39], s[26:27]
	s_cbranch_execz .LBB66_72
.LBB66_56:                              ;   in Loop: Header=BB66_43 Depth=1
	ds_read_b32 v9, v4 offset:20528
	s_waitcnt lgkmcnt(0)
	v_add_u32_e32 v7, v9, v7
	s_or_b64 exec, exec, s[38:39]
	s_and_saveexec_b64 s[38:39], s[28:29]
	s_cbranch_execnz .LBB66_73
.LBB66_57:                              ;   in Loop: Header=BB66_43 Depth=1
	s_or_b64 exec, exec, s[38:39]
	s_and_saveexec_b64 s[38:39], s[30:31]
	s_cbranch_execz .LBB66_74
.LBB66_58:                              ;   in Loop: Header=BB66_43 Depth=1
	ds_read_b32 v9, v4 offset:20536
	s_waitcnt lgkmcnt(0)
	v_add_u32_e32 v7, v9, v7
	s_or_b64 exec, exec, s[38:39]
	s_and_saveexec_b64 s[38:39], vcc
	s_cbranch_execnz .LBB66_75
.LBB66_59:                              ;   in Loop: Header=BB66_43 Depth=1
	s_or_b64 exec, exec, s[38:39]
	s_and_saveexec_b64 s[38:39], s[0:1]
	s_cbranch_execz .LBB66_42
	s_branch .LBB66_76
.LBB66_60:                              ;   in Loop: Header=BB66_43 Depth=1
	s_or_b64 exec, exec, s[38:39]
	s_and_saveexec_b64 s[38:39], s[4:5]
	s_cbranch_execz .LBB66_45
.LBB66_61:                              ;   in Loop: Header=BB66_43 Depth=1
	ds_read_b32 v9, v4 offset:20484
	s_waitcnt lgkmcnt(0)
	v_add_u32_e32 v7, v9, v7
	s_or_b64 exec, exec, s[38:39]
	s_and_saveexec_b64 s[38:39], s[6:7]
	s_cbranch_execnz .LBB66_46
.LBB66_62:                              ;   in Loop: Header=BB66_43 Depth=1
	s_or_b64 exec, exec, s[38:39]
	s_and_saveexec_b64 s[38:39], s[8:9]
	s_cbranch_execz .LBB66_47
.LBB66_63:                              ;   in Loop: Header=BB66_43 Depth=1
	ds_read_b32 v9, v4 offset:20492
	s_waitcnt lgkmcnt(0)
	v_add_u32_e32 v7, v9, v7
	s_or_b64 exec, exec, s[38:39]
	s_and_saveexec_b64 s[38:39], s[10:11]
	s_cbranch_execnz .LBB66_48
.LBB66_64:                              ;   in Loop: Header=BB66_43 Depth=1
	s_or_b64 exec, exec, s[38:39]
	s_and_saveexec_b64 s[38:39], s[12:13]
	s_cbranch_execz .LBB66_49
.LBB66_65:                              ;   in Loop: Header=BB66_43 Depth=1
	ds_read_b32 v9, v4 offset:20500
	s_waitcnt lgkmcnt(0)
	v_add_u32_e32 v7, v9, v7
	s_or_b64 exec, exec, s[38:39]
	s_and_saveexec_b64 s[38:39], s[14:15]
	s_cbranch_execnz .LBB66_50
.LBB66_66:                              ;   in Loop: Header=BB66_43 Depth=1
	s_or_b64 exec, exec, s[38:39]
	s_and_saveexec_b64 s[38:39], s[16:17]
	s_cbranch_execz .LBB66_51
.LBB66_67:                              ;   in Loop: Header=BB66_43 Depth=1
	ds_read_b32 v9, v4 offset:20508
	s_waitcnt lgkmcnt(0)
	v_add_u32_e32 v7, v9, v7
	s_or_b64 exec, exec, s[38:39]
	s_and_saveexec_b64 s[38:39], s[18:19]
	s_cbranch_execnz .LBB66_52
.LBB66_68:                              ;   in Loop: Header=BB66_43 Depth=1
	s_or_b64 exec, exec, s[38:39]
	s_and_saveexec_b64 s[38:39], s[20:21]
	s_cbranch_execz .LBB66_53
.LBB66_69:                              ;   in Loop: Header=BB66_43 Depth=1
	ds_read_b32 v9, v4 offset:20516
	s_waitcnt lgkmcnt(0)
	v_add_u32_e32 v7, v9, v7
	s_or_b64 exec, exec, s[38:39]
	s_and_saveexec_b64 s[38:39], s[22:23]
	s_cbranch_execnz .LBB66_54
.LBB66_70:                              ;   in Loop: Header=BB66_43 Depth=1
	s_or_b64 exec, exec, s[38:39]
	s_and_saveexec_b64 s[38:39], s[24:25]
	s_cbranch_execz .LBB66_55
.LBB66_71:                              ;   in Loop: Header=BB66_43 Depth=1
	ds_read_b32 v9, v4 offset:20524
	s_waitcnt lgkmcnt(0)
	v_add_u32_e32 v7, v9, v7
	s_or_b64 exec, exec, s[38:39]
	s_and_saveexec_b64 s[38:39], s[26:27]
	s_cbranch_execnz .LBB66_56
.LBB66_72:                              ;   in Loop: Header=BB66_43 Depth=1
	s_or_b64 exec, exec, s[38:39]
	s_and_saveexec_b64 s[38:39], s[28:29]
	s_cbranch_execz .LBB66_57
.LBB66_73:                              ;   in Loop: Header=BB66_43 Depth=1
	ds_read_b32 v9, v4 offset:20532
	s_waitcnt lgkmcnt(0)
	v_add_u32_e32 v7, v9, v7
	s_or_b64 exec, exec, s[38:39]
	s_and_saveexec_b64 s[38:39], s[30:31]
	s_cbranch_execnz .LBB66_58
.LBB66_74:                              ;   in Loop: Header=BB66_43 Depth=1
	s_or_b64 exec, exec, s[38:39]
	s_and_saveexec_b64 s[38:39], vcc
	s_cbranch_execz .LBB66_59
.LBB66_75:                              ;   in Loop: Header=BB66_43 Depth=1
	scratch_load_dwordx4 v[10:13], off, off
	v_add3_u32 v9, v6, -1, v7
	v_add_u32_e32 v14, v6, v7
	v_lshl_add_u32 v9, v9, 2, 0
	v_lshl_add_u32 v14, v14, 4, 0
	v_add_u32_e32 v14, 0xff0, v14
	ds_write_b32 v9, v8
	s_waitcnt vmcnt(0)
	ds_write2_b64 v14, v[10:11], v[12:13] offset1:1
	s_or_b64 exec, exec, s[38:39]
	s_and_saveexec_b64 s[38:39], s[0:1]
	s_cbranch_execz .LBB66_42
.LBB66_76:                              ;   in Loop: Header=BB66_43 Depth=1
	ds_write_b32 v4, v7 offset:20540
	s_branch .LBB66_42
.LBB66_77:
	s_or_b64 exec, exec, s[36:37]
	s_ashr_i32 s49, s48, 31
	s_lshl_b64 s[0:1], s[48:49], 2
	s_add_u32 s2, s42, s0
	s_addc_u32 s3, s43, s1
	s_load_dwordx2 s[0:1], s[2:3], 0x0
	s_waitcnt lgkmcnt(0)
	s_sub_i32 s14, s1, s0
	v_cmp_gt_i32_e32 vcc, s14, v0
	s_and_saveexec_b64 s[2:3], vcc
	s_cbranch_execz .LBB66_91
; %bb.78:
	s_sub_i32 s8, s0, s46
	v_sub_co_u32_e64 v1, s[0:1], s14, 2
	s_nop 0
	v_readfirstlane_b32 s2, v1
	s_lshr_b32 s2, s2, 1
	s_add_i32 s2, s2, 1
	s_xor_b64 s[0:1], s[0:1], -1
	s_and_b32 s15, s14, -2
	s_and_b32 s3, s2, 7
	s_and_b32 s16, s2, -8
	s_cmp_lg_u32 s3, 0
	v_cmp_lt_u32_e32 vcc, 13, v1
	s_cselect_b64 s[4:5], -1, 0
	s_cmp_lg_u32 s14, s15
	v_cndmask_b32_e64 v1, 0, 1, vcc
	s_cselect_b64 s[10:11], -1, 0
	s_lshl_b32 s17, s3, 3
	v_cndmask_b32_e64 v2, 0, 1, s[0:1]
	v_cmp_ne_u32_e64 s[2:3], 1, v1
	v_cndmask_b32_e64 v1, 0, 1, s[4:5]
	s_mov_b32 s9, 0
	s_mov_b64 s[12:13], 0
	v_cmp_ne_u32_e64 s[0:1], 1, v2
	v_cmp_ne_u32_e64 s[4:5], 1, v1
	s_movk_i32 s18, 0x1000
	s_branch .LBB66_80
.LBB66_79:                              ;   in Loop: Header=BB66_80 Depth=1
	v_mul_lo_u32 v3, v0, 12
	v_add3_u32 v1, v1, v3, s18
	s_waitcnt lgkmcnt(0)
	ds_read2_b64 v[4:7], v1 offset1:1
	v_add_u32_e32 v0, 0x200, v0
	v_ashrrev_i32_e32 v3, 31, v2
	v_cmp_le_i32_e32 vcc, s14, v0
	v_lshl_add_u64 v[2:3], v[2:3], 4, s[34:35]
	s_or_b64 s[12:13], vcc, s[12:13]
	s_waitcnt lgkmcnt(0)
	global_store_dwordx4 v[2:3], v[4:7], off
	s_andn2_b64 exec, exec, s[12:13]
	s_cbranch_execz .LBB66_91
.LBB66_80:                              ; =>This Loop Header: Depth=1
                                        ;     Child Loop BB66_83 Depth 2
                                        ;     Child Loop BB66_86 Depth 2
	;; [unrolled: 1-line block ×3, first 2 shown]
	v_lshl_add_u32 v1, v0, 2, 0
	ds_read_b32 v4, v1
	s_and_b64 vcc, exec, s[0:1]
	v_mov_b32_e32 v2, s8
	s_mov_b32 s19, 0
	s_mov_b64 s[6:7], -1
	s_cbranch_vccnz .LBB66_88
; %bb.81:                               ;   in Loop: Header=BB66_80 Depth=1
	s_and_b64 vcc, exec, s[2:3]
	v_mov_b64_e32 v[2:3], s[8:9]
	s_cbranch_vccnz .LBB66_84
; %bb.82:                               ;   in Loop: Header=BB66_80 Depth=1
	s_mov_b32 s20, 0
	v_mov_b32_e32 v2, s8
	v_mov_b32_e32 v3, 0
	s_mov_b32 s21, s16
.LBB66_83:                              ;   Parent Loop BB66_80 Depth=1
                                        ; =>  This Inner Loop Header: Depth=2
	v_mov_b32_e32 v5, s20
	ds_read2_b32 v[6:7], v5 offset1:1
	ds_read2_b32 v[8:9], v5 offset0:2 offset1:3
	ds_read2_b32 v[10:11], v5 offset0:4 offset1:5
	;; [unrolled: 1-line block ×7, first 2 shown]
	s_waitcnt lgkmcnt(7)
	v_cmp_gt_i32_e32 vcc, v4, v7
	s_waitcnt lgkmcnt(5)
	v_cmp_gt_i32_e64 s[6:7], v4, v10
	s_add_i32 s19, s19, 16
	v_cndmask_b32_e64 v5, 0, 1, vcc
	v_cmp_gt_i32_e32 vcc, v4, v6
	v_cndmask_b32_e64 v7, 0, 1, s[6:7]
	v_cmp_gt_i32_e64 s[6:7], v4, v11
	v_cndmask_b32_e64 v6, 0, 1, vcc
	v_cmp_gt_i32_e32 vcc, v4, v9
	v_cndmask_b32_e64 v9, 0, 1, s[6:7]
	s_waitcnt lgkmcnt(3)
	v_cmp_gt_i32_e64 s[6:7], v4, v15
	v_addc_co_u32_e32 v3, vcc, v3, v5, vcc
	s_nop 0
	v_cndmask_b32_e64 v10, 0, 1, s[6:7]
	v_cmp_gt_i32_e64 s[6:7], v4, v14
	v_cmp_gt_i32_e32 vcc, v4, v12
	s_add_i32 s20, s20, 64
	v_cndmask_b32_e64 v11, 0, 1, s[6:7]
	s_waitcnt lgkmcnt(1)
	v_cmp_gt_i32_e64 s[6:7], v4, v18
	s_add_i32 s21, s21, -8
	s_cmp_lg_u32 s21, 0
	v_cndmask_b32_e64 v14, 0, 1, s[6:7]
	v_cmp_gt_i32_e64 s[6:7], v4, v19
	s_nop 1
	v_cndmask_b32_e64 v15, 0, 1, s[6:7]
	v_cmp_gt_i32_e64 s[6:7], v4, v8
	s_nop 1
	v_addc_co_u32_e64 v2, s[6:7], v2, v6, s[6:7]
	v_cmp_gt_i32_e64 s[6:7], v4, v13
	v_addc_co_u32_e32 v2, vcc, v2, v7, vcc
	s_nop 0
	v_addc_co_u32_e64 v3, s[6:7], v3, v9, s[6:7]
	v_cmp_gt_i32_e32 vcc, v4, v17
	v_cmp_gt_i32_e64 s[6:7], v4, v16
	s_nop 0
	v_addc_co_u32_e32 v3, vcc, v3, v10, vcc
	v_addc_co_u32_e64 v2, s[6:7], v2, v11, s[6:7]
	s_waitcnt lgkmcnt(0)
	v_cmp_gt_i32_e32 vcc, v4, v20
	v_cmp_gt_i32_e64 s[6:7], v4, v21
	s_nop 0
	v_addc_co_u32_e32 v2, vcc, v2, v14, vcc
	v_addc_co_u32_e64 v3, s[6:7], v3, v15, s[6:7]
	s_cbranch_scc1 .LBB66_83
.LBB66_84:                              ;   in Loop: Header=BB66_80 Depth=1
	s_and_b64 vcc, exec, s[4:5]
	s_cbranch_vccnz .LBB66_87
; %bb.85:                               ;   in Loop: Header=BB66_80 Depth=1
	s_lshl_b32 s6, s19, 2
	s_add_i32 s6, s6, 0
	s_mov_b32 s7, s17
.LBB66_86:                              ;   Parent Loop BB66_80 Depth=1
                                        ; =>  This Inner Loop Header: Depth=2
	v_mov_b32_e32 v5, s6
	ds_read2_b32 v[6:7], v5 offset1:1
	s_add_i32 s6, s6, 8
	s_add_i32 s7, s7, -8
	s_cmp_lg_u32 s7, 0
	s_waitcnt lgkmcnt(0)
	v_cmp_gt_i32_e32 vcc, v4, v7
	s_nop 1
	v_addc_co_u32_e32 v3, vcc, 0, v3, vcc
	v_cmp_gt_i32_e32 vcc, v4, v6
	s_nop 1
	v_addc_co_u32_e32 v2, vcc, 0, v2, vcc
	s_cbranch_scc1 .LBB66_86
.LBB66_87:                              ;   in Loop: Header=BB66_80 Depth=1
	v_add_u32_e32 v2, v2, v3
	s_mov_b32 s19, s15
	s_mov_b64 s[6:7], s[10:11]
.LBB66_88:                              ;   in Loop: Header=BB66_80 Depth=1
	s_and_b64 vcc, exec, s[6:7]
	s_cbranch_vccz .LBB66_79
; %bb.89:                               ;   in Loop: Header=BB66_80 Depth=1
	s_lshl_b32 s6, s19, 2
	s_add_i32 s6, s6, 0
.LBB66_90:                              ;   Parent Loop BB66_80 Depth=1
                                        ; =>  This Inner Loop Header: Depth=2
	v_mov_b32_e32 v3, s6
	ds_read_b32 v3, v3
	s_add_i32 s19, s19, 1
	s_add_i32 s6, s6, 4
	s_cmp_ge_i32 s19, s14
	s_waitcnt lgkmcnt(0)
	v_cmp_gt_i32_e32 vcc, v4, v3
	s_nop 1
	v_addc_co_u32_e32 v2, vcc, 0, v2, vcc
	s_cbranch_scc0 .LBB66_90
	s_branch .LBB66_79
.LBB66_91:
	s_endpgm
	.section	.rodata,"a",@progbits
	.p2align	6, 0x0
	.amdhsa_kernel _ZN9rocsparseL41csrgemm_numeric_fill_block_per_row_kernelILj512ELj32ELj1024ELj137ELj32Eii21rocsparse_complex_numIdEEEvT5_PKS3_S5_NS_24const_host_device_scalarIT6_EEPKT4_S5_PKS7_SB_S5_SD_S8_SB_S5_SD_SB_S5_PS7_21rocsparse_index_base_SF_SF_SF_bbb
		.amdhsa_group_segment_fixed_size 0
		.amdhsa_private_segment_fixed_size 40
		.amdhsa_kernarg_size 172
		.amdhsa_user_sgpr_count 2
		.amdhsa_user_sgpr_dispatch_ptr 0
		.amdhsa_user_sgpr_queue_ptr 0
		.amdhsa_user_sgpr_kernarg_segment_ptr 1
		.amdhsa_user_sgpr_dispatch_id 0
		.amdhsa_user_sgpr_kernarg_preload_length 0
		.amdhsa_user_sgpr_kernarg_preload_offset 0
		.amdhsa_user_sgpr_private_segment_size 0
		.amdhsa_uses_dynamic_stack 0
		.amdhsa_enable_private_segment 1
		.amdhsa_system_sgpr_workgroup_id_x 1
		.amdhsa_system_sgpr_workgroup_id_y 0
		.amdhsa_system_sgpr_workgroup_id_z 0
		.amdhsa_system_sgpr_workgroup_info 0
		.amdhsa_system_vgpr_workitem_id 0
		.amdhsa_next_free_vgpr 30
		.amdhsa_next_free_sgpr 50
		.amdhsa_accum_offset 32
		.amdhsa_reserve_vcc 1
		.amdhsa_float_round_mode_32 0
		.amdhsa_float_round_mode_16_64 0
		.amdhsa_float_denorm_mode_32 3
		.amdhsa_float_denorm_mode_16_64 3
		.amdhsa_dx10_clamp 1
		.amdhsa_ieee_mode 1
		.amdhsa_fp16_overflow 0
		.amdhsa_tg_split 0
		.amdhsa_exception_fp_ieee_invalid_op 0
		.amdhsa_exception_fp_denorm_src 0
		.amdhsa_exception_fp_ieee_div_zero 0
		.amdhsa_exception_fp_ieee_overflow 0
		.amdhsa_exception_fp_ieee_underflow 0
		.amdhsa_exception_fp_ieee_inexact 0
		.amdhsa_exception_int_div_zero 0
	.end_amdhsa_kernel
	.section	.text._ZN9rocsparseL41csrgemm_numeric_fill_block_per_row_kernelILj512ELj32ELj1024ELj137ELj32Eii21rocsparse_complex_numIdEEEvT5_PKS3_S5_NS_24const_host_device_scalarIT6_EEPKT4_S5_PKS7_SB_S5_SD_S8_SB_S5_SD_SB_S5_PS7_21rocsparse_index_base_SF_SF_SF_bbb,"axG",@progbits,_ZN9rocsparseL41csrgemm_numeric_fill_block_per_row_kernelILj512ELj32ELj1024ELj137ELj32Eii21rocsparse_complex_numIdEEEvT5_PKS3_S5_NS_24const_host_device_scalarIT6_EEPKT4_S5_PKS7_SB_S5_SD_S8_SB_S5_SD_SB_S5_PS7_21rocsparse_index_base_SF_SF_SF_bbb,comdat
.Lfunc_end66:
	.size	_ZN9rocsparseL41csrgemm_numeric_fill_block_per_row_kernelILj512ELj32ELj1024ELj137ELj32Eii21rocsparse_complex_numIdEEEvT5_PKS3_S5_NS_24const_host_device_scalarIT6_EEPKT4_S5_PKS7_SB_S5_SD_S8_SB_S5_SD_SB_S5_PS7_21rocsparse_index_base_SF_SF_SF_bbb, .Lfunc_end66-_ZN9rocsparseL41csrgemm_numeric_fill_block_per_row_kernelILj512ELj32ELj1024ELj137ELj32Eii21rocsparse_complex_numIdEEEvT5_PKS3_S5_NS_24const_host_device_scalarIT6_EEPKT4_S5_PKS7_SB_S5_SD_S8_SB_S5_SD_SB_S5_PS7_21rocsparse_index_base_SF_SF_SF_bbb
                                        ; -- End function
	.set _ZN9rocsparseL41csrgemm_numeric_fill_block_per_row_kernelILj512ELj32ELj1024ELj137ELj32Eii21rocsparse_complex_numIdEEEvT5_PKS3_S5_NS_24const_host_device_scalarIT6_EEPKT4_S5_PKS7_SB_S5_SD_S8_SB_S5_SD_SB_S5_PS7_21rocsparse_index_base_SF_SF_SF_bbb.num_vgpr, 30
	.set _ZN9rocsparseL41csrgemm_numeric_fill_block_per_row_kernelILj512ELj32ELj1024ELj137ELj32Eii21rocsparse_complex_numIdEEEvT5_PKS3_S5_NS_24const_host_device_scalarIT6_EEPKT4_S5_PKS7_SB_S5_SD_S8_SB_S5_SD_SB_S5_PS7_21rocsparse_index_base_SF_SF_SF_bbb.num_agpr, 0
	.set _ZN9rocsparseL41csrgemm_numeric_fill_block_per_row_kernelILj512ELj32ELj1024ELj137ELj32Eii21rocsparse_complex_numIdEEEvT5_PKS3_S5_NS_24const_host_device_scalarIT6_EEPKT4_S5_PKS7_SB_S5_SD_S8_SB_S5_SD_SB_S5_PS7_21rocsparse_index_base_SF_SF_SF_bbb.numbered_sgpr, 50
	.set _ZN9rocsparseL41csrgemm_numeric_fill_block_per_row_kernelILj512ELj32ELj1024ELj137ELj32Eii21rocsparse_complex_numIdEEEvT5_PKS3_S5_NS_24const_host_device_scalarIT6_EEPKT4_S5_PKS7_SB_S5_SD_S8_SB_S5_SD_SB_S5_PS7_21rocsparse_index_base_SF_SF_SF_bbb.num_named_barrier, 0
	.set _ZN9rocsparseL41csrgemm_numeric_fill_block_per_row_kernelILj512ELj32ELj1024ELj137ELj32Eii21rocsparse_complex_numIdEEEvT5_PKS3_S5_NS_24const_host_device_scalarIT6_EEPKT4_S5_PKS7_SB_S5_SD_S8_SB_S5_SD_SB_S5_PS7_21rocsparse_index_base_SF_SF_SF_bbb.private_seg_size, 40
	.set _ZN9rocsparseL41csrgemm_numeric_fill_block_per_row_kernelILj512ELj32ELj1024ELj137ELj32Eii21rocsparse_complex_numIdEEEvT5_PKS3_S5_NS_24const_host_device_scalarIT6_EEPKT4_S5_PKS7_SB_S5_SD_S8_SB_S5_SD_SB_S5_PS7_21rocsparse_index_base_SF_SF_SF_bbb.uses_vcc, 1
	.set _ZN9rocsparseL41csrgemm_numeric_fill_block_per_row_kernelILj512ELj32ELj1024ELj137ELj32Eii21rocsparse_complex_numIdEEEvT5_PKS3_S5_NS_24const_host_device_scalarIT6_EEPKT4_S5_PKS7_SB_S5_SD_S8_SB_S5_SD_SB_S5_PS7_21rocsparse_index_base_SF_SF_SF_bbb.uses_flat_scratch, 0
	.set _ZN9rocsparseL41csrgemm_numeric_fill_block_per_row_kernelILj512ELj32ELj1024ELj137ELj32Eii21rocsparse_complex_numIdEEEvT5_PKS3_S5_NS_24const_host_device_scalarIT6_EEPKT4_S5_PKS7_SB_S5_SD_S8_SB_S5_SD_SB_S5_PS7_21rocsparse_index_base_SF_SF_SF_bbb.has_dyn_sized_stack, 0
	.set _ZN9rocsparseL41csrgemm_numeric_fill_block_per_row_kernelILj512ELj32ELj1024ELj137ELj32Eii21rocsparse_complex_numIdEEEvT5_PKS3_S5_NS_24const_host_device_scalarIT6_EEPKT4_S5_PKS7_SB_S5_SD_S8_SB_S5_SD_SB_S5_PS7_21rocsparse_index_base_SF_SF_SF_bbb.has_recursion, 0
	.set _ZN9rocsparseL41csrgemm_numeric_fill_block_per_row_kernelILj512ELj32ELj1024ELj137ELj32Eii21rocsparse_complex_numIdEEEvT5_PKS3_S5_NS_24const_host_device_scalarIT6_EEPKT4_S5_PKS7_SB_S5_SD_S8_SB_S5_SD_SB_S5_PS7_21rocsparse_index_base_SF_SF_SF_bbb.has_indirect_call, 0
	.section	.AMDGPU.csdata,"",@progbits
; Kernel info:
; codeLenInByte = 3444
; TotalNumSgprs: 56
; NumVgprs: 30
; NumAgprs: 0
; TotalNumVgprs: 30
; ScratchSize: 40
; MemoryBound: 0
; FloatMode: 240
; IeeeMode: 1
; LDSByteSize: 0 bytes/workgroup (compile time only)
; SGPRBlocks: 6
; VGPRBlocks: 3
; NumSGPRsForWavesPerEU: 56
; NumVGPRsForWavesPerEU: 30
; AccumOffset: 32
; Occupancy: 8
; WaveLimiterHint : 1
; COMPUTE_PGM_RSRC2:SCRATCH_EN: 1
; COMPUTE_PGM_RSRC2:USER_SGPR: 2
; COMPUTE_PGM_RSRC2:TRAP_HANDLER: 0
; COMPUTE_PGM_RSRC2:TGID_X_EN: 1
; COMPUTE_PGM_RSRC2:TGID_Y_EN: 0
; COMPUTE_PGM_RSRC2:TGID_Z_EN: 0
; COMPUTE_PGM_RSRC2:TIDIG_COMP_CNT: 0
; COMPUTE_PGM_RSRC3_GFX90A:ACCUM_OFFSET: 7
; COMPUTE_PGM_RSRC3_GFX90A:TG_SPLIT: 0
	.section	.text._ZN9rocsparseL41csrgemm_numeric_fill_block_per_row_kernelILj512ELj32ELj1024ELj137ELj64Eii21rocsparse_complex_numIdEEEvT5_PKS3_S5_NS_24const_host_device_scalarIT6_EEPKT4_S5_PKS7_SB_S5_SD_S8_SB_S5_SD_SB_S5_PS7_21rocsparse_index_base_SF_SF_SF_bbb,"axG",@progbits,_ZN9rocsparseL41csrgemm_numeric_fill_block_per_row_kernelILj512ELj32ELj1024ELj137ELj64Eii21rocsparse_complex_numIdEEEvT5_PKS3_S5_NS_24const_host_device_scalarIT6_EEPKT4_S5_PKS7_SB_S5_SD_S8_SB_S5_SD_SB_S5_PS7_21rocsparse_index_base_SF_SF_SF_bbb,comdat
	.globl	_ZN9rocsparseL41csrgemm_numeric_fill_block_per_row_kernelILj512ELj32ELj1024ELj137ELj64Eii21rocsparse_complex_numIdEEEvT5_PKS3_S5_NS_24const_host_device_scalarIT6_EEPKT4_S5_PKS7_SB_S5_SD_S8_SB_S5_SD_SB_S5_PS7_21rocsparse_index_base_SF_SF_SF_bbb ; -- Begin function _ZN9rocsparseL41csrgemm_numeric_fill_block_per_row_kernelILj512ELj32ELj1024ELj137ELj64Eii21rocsparse_complex_numIdEEEvT5_PKS3_S5_NS_24const_host_device_scalarIT6_EEPKT4_S5_PKS7_SB_S5_SD_S8_SB_S5_SD_SB_S5_PS7_21rocsparse_index_base_SF_SF_SF_bbb
	.p2align	8
	.type	_ZN9rocsparseL41csrgemm_numeric_fill_block_per_row_kernelILj512ELj32ELj1024ELj137ELj64Eii21rocsparse_complex_numIdEEEvT5_PKS3_S5_NS_24const_host_device_scalarIT6_EEPKT4_S5_PKS7_SB_S5_SD_S8_SB_S5_SD_SB_S5_PS7_21rocsparse_index_base_SF_SF_SF_bbb,@function
_ZN9rocsparseL41csrgemm_numeric_fill_block_per_row_kernelILj512ELj32ELj1024ELj137ELj64Eii21rocsparse_complex_numIdEEEvT5_PKS3_S5_NS_24const_host_device_scalarIT6_EEPKT4_S5_PKS7_SB_S5_SD_S8_SB_S5_SD_SB_S5_PS7_21rocsparse_index_base_SF_SF_SF_bbb: ; @_ZN9rocsparseL41csrgemm_numeric_fill_block_per_row_kernelILj512ELj32ELj1024ELj137ELj64Eii21rocsparse_complex_numIdEEEvT5_PKS3_S5_NS_24const_host_device_scalarIT6_EEPKT4_S5_PKS7_SB_S5_SD_S8_SB_S5_SD_SB_S5_PS7_21rocsparse_index_base_SF_SF_SF_bbb
; %bb.0:
	s_load_dword s3, s[0:1], 0xa8
	s_load_dwordx4 s[28:31], s[0:1], 0x98
	s_load_dwordx4 s[8:11], s[0:1], 0x18
	;; [unrolled: 1-line block ×3, first 2 shown]
	v_mov_b64_e32 v[6:7], 0
	s_waitcnt lgkmcnt(0)
	s_bitcmp1_b32 s3, 0
	s_cselect_b64 s[44:45], -1, 0
	s_bitcmp1_b32 s3, 16
	s_cselect_b64 s[46:47], -1, 0
	s_xor_b64 s[4:5], s[46:47], -1
	v_mov_b64_e32 v[2:3], s[8:9]
	v_cndmask_b32_e64 v1, 0, 1, s[4:5]
	scratch_store_dwordx2 off, v[2:3], off offset:16
	v_mov_b64_e32 v[2:3], s[40:41]
	s_bitcmp0_b32 s3, 0
	v_cmp_ne_u32_e64 s[4:5], 1, v1
	v_mov_b64_e32 v[10:11], 0
	v_mov_b64_e32 v[12:13], 0
	scratch_store_dwordx2 off, v[2:3], off offset:24
	s_cbranch_scc1 .LBB67_3
; %bb.1:
	s_mov_b64 s[6:7], src_private_base
	s_and_b64 s[12:13], s[46:47], exec
	s_cselect_b32 s6, s7, s9
	s_cselect_b32 s7, 16, s8
	v_mov_b32_e32 v2, s7
	v_mov_b32_e32 v3, s6
	flat_load_dwordx2 v[10:11], v[2:3]
	s_and_b64 vcc, exec, s[4:5]
	v_mov_b64_e32 v[12:13], s[10:11]
	s_cbranch_vccnz .LBB67_3
; %bb.2:
	v_mov_b64_e32 v[2:3], s[8:9]
	flat_load_dwordx2 v[12:13], v[2:3] offset:8
.LBB67_3:
	s_load_dwordx2 s[34:35], s[0:1], 0x90
	s_load_dwordx8 s[12:19], s[0:1], 0x68
	s_load_dwordx4 s[8:11], s[0:1], 0x48
	s_load_dwordx4 s[36:39], s[0:1], 0x8
	s_load_dwordx8 s[20:27], s[0:1], 0x28
	s_bitcmp1_b32 s3, 8
	s_cselect_b64 s[6:7], -1, 0
	s_bfe_u32 s3, s3, 0x10008
	s_cmp_eq_u32 s3, 0
	v_mov_b64_e32 v[8:9], 0
	s_cbranch_scc1 .LBB67_6
; %bb.4:
	s_mov_b64 s[48:49], src_private_base
	s_and_b64 s[46:47], s[46:47], exec
	s_cselect_b32 s3, s49, s41
	s_cselect_b32 s33, 24, s40
	v_mov_b32_e32 v2, s33
	v_mov_b32_e32 v3, s3
	flat_load_dwordx2 v[8:9], v[2:3]
	s_and_b64 vcc, exec, s[4:5]
	v_mov_b64_e32 v[6:7], s[42:43]
	s_cbranch_vccnz .LBB67_6
; %bb.5:
	v_mov_b64_e32 v[2:3], s[40:41]
	flat_load_dwordx2 v[6:7], v[2:3] offset:8
.LBB67_6:
	s_load_dword s33, s[0:1], 0x0
	s_mov_b32 s4, 0
	v_lshl_add_u32 v1, v0, 4, 0
	v_add_u32_e32 v1, 0x1000, v1
	v_or_b32_e32 v22, 0xfffffe00, v0
	v_lshl_add_u32 v23, v0, 2, 0
	s_mov_b32 s5, s4
	s_mov_b32 s40, s4
	;; [unrolled: 1-line block ×3, first 2 shown]
	s_mov_b64 s[0:1], 0
	s_waitcnt lgkmcnt(0)
	v_mov_b32_e32 v17, s33
	v_mov_b64_e32 v[2:3], s[4:5]
	v_mov_b64_e32 v[4:5], s[40:41]
	v_mov_b32_e32 v14, v23
	v_mov_b32_e32 v15, v22
	;; [unrolled: 1-line block ×3, first 2 shown]
.LBB67_7:                               ; =>This Inner Loop Header: Depth=1
	v_add_co_u32_e32 v15, vcc, 0x200, v15
	s_xor_b64 s[4:5], vcc, -1
	s_and_b64 s[4:5], exec, s[4:5]
	ds_write_b32 v14, v17
	ds_write2_b64 v16, v[2:3], v[4:5] offset1:1
	v_add_u32_e32 v16, 0x2000, v16
	s_or_b64 s[0:1], s[4:5], s[0:1]
	v_add_u32_e32 v14, 0x800, v14
	s_andn2_b64 exec, exec, s[0:1]
	s_cbranch_execnz .LBB67_7
; %bb.8:
	s_or_b64 exec, exec, s[0:1]
	s_waitcnt lgkmcnt(0)
	s_barrier
	s_load_dword s0, s[36:37], 0x0
	s_mov_b32 s1, 0
	s_waitcnt lgkmcnt(0)
	s_add_i32 s0, s0, s2
	s_lshl_b64 s[0:1], s[0:1], 2
	s_add_u32 s0, s38, s0
	s_addc_u32 s1, s39, s1
	s_load_dword s36, s[0:1], 0x0
	s_and_b64 vcc, exec, s[44:45]
	s_cbranch_vccz .LBB67_26
; %bb.9:
	s_waitcnt lgkmcnt(0)
	s_ashr_i32 s37, s36, 31
	s_lshl_b64 s[0:1], s[36:37], 2
	s_add_u32 s0, s20, s0
	s_addc_u32 s1, s21, s1
	s_load_dwordx2 s[2:3], s[0:1], 0x0
	v_lshrrev_b32_e32 v2, 5, v0
	v_subrev_u32_e32 v2, s28, v2
	s_waitcnt lgkmcnt(0)
	s_sub_i32 s37, s3, s28
	v_add_u32_e32 v14, s2, v2
	v_cmp_gt_i32_e32 vcc, s37, v14
	s_and_saveexec_b64 s[0:1], vcc
	s_cbranch_execz .LBB67_25
; %bb.10:
	v_and_b32_e32 v2, 31, v0
	v_subrev_u32_e32 v24, s29, v2
	s_mov_b64 s[2:3], 0
	s_movk_i32 s48, 0x89
	s_branch .LBB67_12
.LBB67_11:                              ;   in Loop: Header=BB67_12 Depth=1
	s_or_b64 exec, exec, s[4:5]
	v_add_u32_e32 v14, 16, v14
	v_cmp_le_i32_e32 vcc, s37, v14
	s_or_b64 s[2:3], vcc, s[2:3]
	s_andn2_b64 exec, exec, s[2:3]
	s_cbranch_execz .LBB67_25
.LBB67_12:                              ; =>This Loop Header: Depth=1
                                        ;     Child Loop BB67_16 Depth 2
                                        ;       Child Loop BB67_19 Depth 3
	v_ashrrev_i32_e32 v15, 31, v14
	v_lshl_add_u64 v[2:3], v[14:15], 2, s[22:23]
	global_load_dword v2, v[2:3], off
	s_waitcnt vmcnt(0)
	v_subrev_u32_e32 v2, s28, v2
	v_ashrrev_i32_e32 v3, 31, v2
	v_lshl_add_u64 v[2:3], v[2:3], 2, s[26:27]
	global_load_dwordx2 v[2:3], v[2:3], off
	s_waitcnt vmcnt(0)
	v_subrev_u32_e32 v25, s29, v3
	v_add_u32_e32 v16, v2, v24
	v_cmp_lt_i32_e32 vcc, v16, v25
	s_and_saveexec_b64 s[4:5], vcc
	s_cbranch_execz .LBB67_11
; %bb.13:                               ;   in Loop: Header=BB67_12 Depth=1
	v_lshl_add_u64 v[2:3], v[14:15], 4, s[24:25]
	global_load_dwordx4 v[2:5], v[2:3], off
	s_mov_b64 s[20:21], 0
	s_waitcnt vmcnt(0)
	v_mul_f64 v[18:19], v[4:5], -v[12:13]
	v_mul_f64 v[20:21], v[10:11], v[4:5]
	v_fmac_f64_e32 v[18:19], v[10:11], v[2:3]
	v_fmac_f64_e32 v[20:21], v[12:13], v[2:3]
	s_branch .LBB67_16
.LBB67_14:                              ;   in Loop: Header=BB67_16 Depth=2
	s_or_b64 exec, exec, s[40:41]
.LBB67_15:                              ;   in Loop: Header=BB67_16 Depth=2
	s_or_b64 exec, exec, s[38:39]
	s_waitcnt vmcnt(0)
	v_mul_f64 v[26:27], v[4:5], -v[20:21]
	v_mul_f64 v[4:5], v[18:19], v[4:5]
	v_fmac_f64_e32 v[26:27], v[18:19], v[2:3]
	v_fmac_f64_e32 v[4:5], v[20:21], v[2:3]
	v_lshl_add_u32 v2, v15, 4, 0
	ds_add_f64 v2, v[26:27] offset:4096
	ds_add_f64 v2, v[4:5] offset:4104
	v_add_u32_e32 v16, 32, v16
	v_cmp_ge_i32_e32 vcc, v16, v25
	s_or_b64 s[20:21], vcc, s[20:21]
	s_andn2_b64 exec, exec, s[20:21]
	s_cbranch_execz .LBB67_11
.LBB67_16:                              ;   Parent Loop BB67_12 Depth=1
                                        ; =>  This Loop Header: Depth=2
                                        ;       Child Loop BB67_19 Depth 3
	v_ashrrev_i32_e32 v17, 31, v16
	v_lshl_add_u64 v[2:3], v[16:17], 2, s[8:9]
	global_load_dword v15, v[2:3], off
	v_lshl_add_u64 v[2:3], v[16:17], 4, s[10:11]
	global_load_dwordx4 v[2:5], v[2:3], off
	s_waitcnt vmcnt(1)
	v_subrev_u32_e32 v17, s29, v15
	v_mul_lo_u32 v15, v17, s48
	v_and_b32_e32 v15, 0x3ff, v15
	v_lshl_add_u32 v26, v15, 2, 0
	ds_read_b32 v27, v26
	s_waitcnt lgkmcnt(0)
	v_cmp_ne_u32_e32 vcc, v27, v17
	s_and_saveexec_b64 s[38:39], vcc
	s_cbranch_execz .LBB67_15
; %bb.17:                               ;   in Loop: Header=BB67_16 Depth=2
	s_mov_b64 s[40:41], 0
	s_branch .LBB67_19
.LBB67_18:                              ;   in Loop: Header=BB67_19 Depth=3
	s_or_b64 exec, exec, s[46:47]
	s_and_b64 s[42:43], exec, s[44:45]
	s_or_b64 s[40:41], s[42:43], s[40:41]
	s_andn2_b64 exec, exec, s[40:41]
	s_cbranch_execz .LBB67_14
.LBB67_19:                              ;   Parent Loop BB67_12 Depth=1
                                        ;     Parent Loop BB67_16 Depth=2
                                        ; =>    This Inner Loop Header: Depth=3
	v_cmp_ne_u32_e32 vcc, s33, v27
	s_mov_b64 s[42:43], 0
	s_and_saveexec_b64 s[44:45], vcc
	s_xor_b64 s[44:45], exec, s[44:45]
	s_cbranch_execz .LBB67_21
; %bb.20:                               ;   in Loop: Header=BB67_19 Depth=3
	v_add_u32_e32 v15, 1, v15
	s_mov_b64 s[42:43], exec
	v_and_b32_e32 v15, 0x3ff, v15
                                        ; implicit-def: $vgpr26
	s_andn2_saveexec_b64 s[44:45], s[44:45]
	s_cbranch_execz .LBB67_23
	s_branch .LBB67_22
.LBB67_21:                              ;   in Loop: Header=BB67_19 Depth=3
	s_andn2_saveexec_b64 s[44:45], s[44:45]
	s_cbranch_execz .LBB67_23
.LBB67_22:                              ;   in Loop: Header=BB67_19 Depth=3
	v_mov_b32_e32 v27, s33
	ds_cmpst_rtn_b32 v26, v26, v27, v17
	s_andn2_b64 s[42:43], s[42:43], exec
	s_waitcnt lgkmcnt(0)
	v_cmp_ne_u32_e32 vcc, s33, v26
	s_and_b64 s[46:47], vcc, exec
	s_or_b64 s[42:43], s[42:43], s[46:47]
.LBB67_23:                              ;   in Loop: Header=BB67_19 Depth=3
	s_or_b64 exec, exec, s[44:45]
	s_mov_b64 s[44:45], -1
                                        ; implicit-def: $vgpr26
                                        ; implicit-def: $vgpr27
	s_and_saveexec_b64 s[46:47], s[42:43]
	s_cbranch_execz .LBB67_18
; %bb.24:                               ;   in Loop: Header=BB67_19 Depth=3
	v_lshl_add_u32 v26, v15, 2, 0
	ds_read_b32 v27, v26
	s_waitcnt lgkmcnt(0)
	v_cmp_eq_u32_e32 vcc, v27, v17
	s_orn2_b64 s[44:45], vcc, exec
	s_branch .LBB67_18
.LBB67_25:
	s_or_b64 exec, exec, s[0:1]
.LBB67_26:
	s_andn2_b64 vcc, exec, s[6:7]
	s_cbranch_vccnz .LBB67_41
; %bb.27:
	s_waitcnt lgkmcnt(0)
	s_ashr_i32 s37, s36, 31
	s_lshl_b64 s[0:1], s[36:37], 2
	s_add_u32 s0, s12, s0
	s_addc_u32 s1, s13, s1
	s_load_dwordx2 s[2:3], s[0:1], 0x0
	v_subrev_u32_e32 v2, s31, v0
	s_waitcnt lgkmcnt(0)
	s_sub_i32 s20, s3, s31
	s_waitcnt vmcnt(0)
	v_add_u32_e32 v10, s2, v2
	v_cmp_gt_i32_e32 vcc, s20, v10
	s_and_saveexec_b64 s[0:1], vcc
	s_cbranch_execz .LBB67_40
; %bb.28:
	s_mov_b64 s[2:3], 0
	s_movk_i32 s21, 0x89
	s_branch .LBB67_31
.LBB67_29:                              ;   in Loop: Header=BB67_31 Depth=1
	s_or_b64 exec, exec, s[6:7]
.LBB67_30:                              ;   in Loop: Header=BB67_31 Depth=1
	s_or_b64 exec, exec, s[4:5]
	s_waitcnt vmcnt(0)
	v_mul_f64 v[12:13], v[4:5], -v[6:7]
	v_mul_f64 v[4:5], v[8:9], v[4:5]
	v_fmac_f64_e32 v[12:13], v[8:9], v[2:3]
	v_fmac_f64_e32 v[4:5], v[6:7], v[2:3]
	v_lshl_add_u32 v2, v11, 4, 0
	ds_add_f64 v2, v[12:13] offset:4096
	ds_add_f64 v2, v[4:5] offset:4104
	v_add_u32_e32 v10, 0x200, v10
	v_cmp_le_i32_e32 vcc, s20, v10
	s_or_b64 s[2:3], vcc, s[2:3]
	s_andn2_b64 exec, exec, s[2:3]
	s_cbranch_execz .LBB67_40
.LBB67_31:                              ; =>This Loop Header: Depth=1
                                        ;     Child Loop BB67_34 Depth 2
	v_ashrrev_i32_e32 v11, 31, v10
	v_lshl_add_u64 v[2:3], v[10:11], 2, s[14:15]
	global_load_dword v12, v[2:3], off
	v_lshl_add_u64 v[2:3], v[10:11], 4, s[16:17]
	global_load_dwordx4 v[2:5], v[2:3], off
	s_waitcnt vmcnt(1)
	v_subrev_u32_e32 v12, s31, v12
	v_mul_lo_u32 v11, v12, s21
	v_and_b32_e32 v11, 0x3ff, v11
	v_lshl_add_u32 v13, v11, 2, 0
	ds_read_b32 v14, v13
	s_waitcnt lgkmcnt(0)
	v_cmp_ne_u32_e32 vcc, v14, v12
	s_and_saveexec_b64 s[4:5], vcc
	s_cbranch_execz .LBB67_30
; %bb.32:                               ;   in Loop: Header=BB67_31 Depth=1
	s_mov_b64 s[6:7], 0
	s_branch .LBB67_34
.LBB67_33:                              ;   in Loop: Header=BB67_34 Depth=2
	s_or_b64 exec, exec, s[12:13]
	s_and_b64 s[8:9], exec, s[10:11]
	s_or_b64 s[6:7], s[8:9], s[6:7]
	s_andn2_b64 exec, exec, s[6:7]
	s_cbranch_execz .LBB67_29
.LBB67_34:                              ;   Parent Loop BB67_31 Depth=1
                                        ; =>  This Inner Loop Header: Depth=2
	v_cmp_ne_u32_e32 vcc, s33, v14
	s_mov_b64 s[8:9], 0
	s_and_saveexec_b64 s[10:11], vcc
	s_xor_b64 s[10:11], exec, s[10:11]
	s_cbranch_execz .LBB67_36
; %bb.35:                               ;   in Loop: Header=BB67_34 Depth=2
	v_add_u32_e32 v11, 1, v11
	s_mov_b64 s[8:9], exec
	v_and_b32_e32 v11, 0x3ff, v11
                                        ; implicit-def: $vgpr13
	s_andn2_saveexec_b64 s[10:11], s[10:11]
	s_cbranch_execz .LBB67_38
	s_branch .LBB67_37
.LBB67_36:                              ;   in Loop: Header=BB67_34 Depth=2
	s_andn2_saveexec_b64 s[10:11], s[10:11]
	s_cbranch_execz .LBB67_38
.LBB67_37:                              ;   in Loop: Header=BB67_34 Depth=2
	v_mov_b32_e32 v14, s33
	ds_cmpst_rtn_b32 v13, v13, v14, v12
	s_andn2_b64 s[8:9], s[8:9], exec
	s_waitcnt lgkmcnt(0)
	v_cmp_ne_u32_e32 vcc, s33, v13
	s_and_b64 s[12:13], vcc, exec
	s_or_b64 s[8:9], s[8:9], s[12:13]
.LBB67_38:                              ;   in Loop: Header=BB67_34 Depth=2
	s_or_b64 exec, exec, s[10:11]
	s_mov_b64 s[10:11], -1
                                        ; implicit-def: $vgpr13
                                        ; implicit-def: $vgpr14
	s_and_saveexec_b64 s[12:13], s[8:9]
	s_cbranch_execz .LBB67_33
; %bb.39:                               ;   in Loop: Header=BB67_34 Depth=2
	v_lshl_add_u32 v13, v11, 2, 0
	ds_read_b32 v14, v13
	s_waitcnt lgkmcnt(0)
	v_cmp_eq_u32_e32 vcc, v14, v12
	s_orn2_b64 s[10:11], vcc, exec
	s_branch .LBB67_33
.LBB67_40:
	s_or_b64 exec, exec, s[0:1]
.LBB67_41:
	v_mbcnt_lo_u32_b32 v2, -1, 0
	v_mbcnt_hi_u32_b32 v2, -1, v2
	v_lshrrev_b32_e32 v5, 4, v0
	v_sub_u32_e32 v2, 63, v2
	v_and_b32_e32 v5, 28, v5
	s_movk_i32 s0, 0x1ff
	s_movk_i32 s4, 0x7f
	;; [unrolled: 1-line block ×7, first 2 shown]
	v_mov_b32_e32 v4, 0
	v_lshrrev_b64 v[2:3], v2, -1
	v_add_u32_e32 v5, 0, v5
	v_cmp_eq_u32_e64 s[0:1], s0, v0
	v_cmp_lt_u32_e64 s[2:3], 63, v0
	v_cmp_lt_u32_e64 s[4:5], s4, v0
	;; [unrolled: 1-line block ×7, first 2 shown]
	s_mov_b64 s[16:17], 0
	s_waitcnt vmcnt(0)
	v_mov_b32_e32 v6, 0
	s_waitcnt lgkmcnt(0)
	s_barrier
	s_branch .LBB67_43
.LBB67_42:                              ;   in Loop: Header=BB67_43 Depth=1
	s_or_b64 exec, exec, s[20:21]
	s_waitcnt lgkmcnt(0)
	s_barrier
	ds_read_b32 v7, v4 offset:20508
	v_add_co_u32_e32 v22, vcc, 0x200, v22
	s_xor_b64 s[20:21], vcc, -1
	s_and_b64 s[20:21], exec, s[20:21]
	v_add_u32_e32 v1, 0x2000, v1
	s_waitcnt lgkmcnt(0)
	v_add_u32_e32 v6, v7, v6
	s_or_b64 s[16:17], s[20:21], s[16:17]
	v_add_u32_e32 v23, 0x800, v23
	s_andn2_b64 exec, exec, s[16:17]
	s_cbranch_execz .LBB67_61
.LBB67_43:                              ; =>This Inner Loop Header: Depth=1
	ds_read2_b64 v[10:13], v1 offset1:1
	ds_read_b32 v8, v23
	s_waitcnt lgkmcnt(1)
	scratch_store_dwordx4 off, v[10:13], off
	s_waitcnt lgkmcnt(0)
	v_cmp_gt_i32_e32 vcc, s33, v8
	s_bcnt1_i32_b64 s20, vcc
	s_nop 0
	v_and_b32_e32 v9, vcc_lo, v2
	v_and_b32_e32 v7, vcc_hi, v3
	v_bcnt_u32_b32 v9, v9, 0
	v_bcnt_u32_b32 v7, v7, v9
	v_mov_b32_e32 v9, s20
	s_barrier
	ds_write_b32 v5, v9 offset:20480
	s_waitcnt lgkmcnt(0)
	s_barrier
	s_and_saveexec_b64 s[20:21], s[2:3]
	s_cbranch_execz .LBB67_52
; %bb.44:                               ;   in Loop: Header=BB67_43 Depth=1
	ds_read_b32 v9, v4 offset:20480
	s_waitcnt lgkmcnt(0)
	v_add_u32_e32 v7, v9, v7
	s_or_b64 exec, exec, s[20:21]
	s_and_saveexec_b64 s[20:21], s[4:5]
	s_cbranch_execnz .LBB67_53
.LBB67_45:                              ;   in Loop: Header=BB67_43 Depth=1
	s_or_b64 exec, exec, s[20:21]
	s_and_saveexec_b64 s[20:21], s[6:7]
	s_cbranch_execz .LBB67_54
.LBB67_46:                              ;   in Loop: Header=BB67_43 Depth=1
	ds_read_b32 v9, v4 offset:20488
	s_waitcnt lgkmcnt(0)
	v_add_u32_e32 v7, v9, v7
	s_or_b64 exec, exec, s[20:21]
	s_and_saveexec_b64 s[20:21], s[8:9]
	s_cbranch_execnz .LBB67_55
.LBB67_47:                              ;   in Loop: Header=BB67_43 Depth=1
	s_or_b64 exec, exec, s[20:21]
	s_and_saveexec_b64 s[20:21], s[10:11]
	s_cbranch_execz .LBB67_56
.LBB67_48:                              ;   in Loop: Header=BB67_43 Depth=1
	ds_read_b32 v9, v4 offset:20496
	s_waitcnt lgkmcnt(0)
	v_add_u32_e32 v7, v9, v7
	s_or_b64 exec, exec, s[20:21]
	s_and_saveexec_b64 s[20:21], s[12:13]
	s_cbranch_execnz .LBB67_57
.LBB67_49:                              ;   in Loop: Header=BB67_43 Depth=1
	s_or_b64 exec, exec, s[20:21]
	s_and_saveexec_b64 s[20:21], s[14:15]
	s_cbranch_execz .LBB67_58
.LBB67_50:                              ;   in Loop: Header=BB67_43 Depth=1
	ds_read_b32 v9, v4 offset:20504
	s_waitcnt lgkmcnt(0)
	v_add_u32_e32 v7, v9, v7
	s_or_b64 exec, exec, s[20:21]
	s_and_saveexec_b64 s[20:21], vcc
	s_cbranch_execnz .LBB67_59
.LBB67_51:                              ;   in Loop: Header=BB67_43 Depth=1
	s_or_b64 exec, exec, s[20:21]
	s_and_saveexec_b64 s[20:21], s[0:1]
	s_cbranch_execz .LBB67_42
	s_branch .LBB67_60
.LBB67_52:                              ;   in Loop: Header=BB67_43 Depth=1
	s_or_b64 exec, exec, s[20:21]
	s_and_saveexec_b64 s[20:21], s[4:5]
	s_cbranch_execz .LBB67_45
.LBB67_53:                              ;   in Loop: Header=BB67_43 Depth=1
	ds_read_b32 v9, v4 offset:20484
	s_waitcnt lgkmcnt(0)
	v_add_u32_e32 v7, v9, v7
	s_or_b64 exec, exec, s[20:21]
	s_and_saveexec_b64 s[20:21], s[6:7]
	s_cbranch_execnz .LBB67_46
.LBB67_54:                              ;   in Loop: Header=BB67_43 Depth=1
	s_or_b64 exec, exec, s[20:21]
	s_and_saveexec_b64 s[20:21], s[8:9]
	s_cbranch_execz .LBB67_47
.LBB67_55:                              ;   in Loop: Header=BB67_43 Depth=1
	ds_read_b32 v9, v4 offset:20492
	s_waitcnt lgkmcnt(0)
	v_add_u32_e32 v7, v9, v7
	s_or_b64 exec, exec, s[20:21]
	s_and_saveexec_b64 s[20:21], s[10:11]
	s_cbranch_execnz .LBB67_48
.LBB67_56:                              ;   in Loop: Header=BB67_43 Depth=1
	s_or_b64 exec, exec, s[20:21]
	s_and_saveexec_b64 s[20:21], s[12:13]
	s_cbranch_execz .LBB67_49
.LBB67_57:                              ;   in Loop: Header=BB67_43 Depth=1
	ds_read_b32 v9, v4 offset:20500
	s_waitcnt lgkmcnt(0)
	v_add_u32_e32 v7, v9, v7
	s_or_b64 exec, exec, s[20:21]
	s_and_saveexec_b64 s[20:21], s[14:15]
	s_cbranch_execnz .LBB67_50
.LBB67_58:                              ;   in Loop: Header=BB67_43 Depth=1
	s_or_b64 exec, exec, s[20:21]
	s_and_saveexec_b64 s[20:21], vcc
	s_cbranch_execz .LBB67_51
.LBB67_59:                              ;   in Loop: Header=BB67_43 Depth=1
	scratch_load_dwordx4 v[10:13], off, off
	v_add3_u32 v9, v6, -1, v7
	v_add_u32_e32 v14, v6, v7
	v_lshl_add_u32 v9, v9, 2, 0
	v_lshl_add_u32 v14, v14, 4, 0
	v_add_u32_e32 v14, 0xff0, v14
	ds_write_b32 v9, v8
	s_waitcnt vmcnt(0)
	ds_write2_b64 v14, v[10:11], v[12:13] offset1:1
	s_or_b64 exec, exec, s[20:21]
	s_and_saveexec_b64 s[20:21], s[0:1]
	s_cbranch_execz .LBB67_42
.LBB67_60:                              ;   in Loop: Header=BB67_43 Depth=1
	ds_write_b32 v4, v7 offset:20508
	s_branch .LBB67_42
.LBB67_61:
	s_or_b64 exec, exec, s[16:17]
	s_ashr_i32 s37, s36, 31
	s_lshl_b64 s[0:1], s[36:37], 2
	s_add_u32 s2, s18, s0
	s_addc_u32 s3, s19, s1
	s_load_dwordx2 s[0:1], s[2:3], 0x0
	s_waitcnt lgkmcnt(0)
	s_sub_i32 s14, s1, s0
	v_cmp_gt_i32_e32 vcc, s14, v0
	s_and_saveexec_b64 s[2:3], vcc
	s_cbranch_execz .LBB67_75
; %bb.62:
	s_sub_i32 s8, s0, s30
	v_sub_co_u32_e64 v1, s[0:1], s14, 2
	s_nop 0
	v_readfirstlane_b32 s2, v1
	s_lshr_b32 s2, s2, 1
	s_add_i32 s2, s2, 1
	s_xor_b64 s[0:1], s[0:1], -1
	s_and_b32 s15, s14, -2
	s_and_b32 s3, s2, 7
	s_and_b32 s16, s2, -8
	s_cmp_lg_u32 s3, 0
	v_cmp_lt_u32_e32 vcc, 13, v1
	s_cselect_b64 s[4:5], -1, 0
	s_cmp_lg_u32 s14, s15
	v_cndmask_b32_e64 v1, 0, 1, vcc
	s_cselect_b64 s[10:11], -1, 0
	s_lshl_b32 s17, s3, 3
	v_cndmask_b32_e64 v2, 0, 1, s[0:1]
	v_cmp_ne_u32_e64 s[2:3], 1, v1
	v_cndmask_b32_e64 v1, 0, 1, s[4:5]
	s_mov_b32 s9, 0
	s_mov_b64 s[12:13], 0
	v_cmp_ne_u32_e64 s[0:1], 1, v2
	v_cmp_ne_u32_e64 s[4:5], 1, v1
	s_movk_i32 s18, 0x1000
	s_branch .LBB67_64
.LBB67_63:                              ;   in Loop: Header=BB67_64 Depth=1
	v_mul_lo_u32 v3, v0, 12
	v_add3_u32 v1, v1, v3, s18
	s_waitcnt lgkmcnt(0)
	ds_read2_b64 v[4:7], v1 offset1:1
	v_add_u32_e32 v0, 0x200, v0
	v_ashrrev_i32_e32 v3, 31, v2
	v_cmp_le_i32_e32 vcc, s14, v0
	v_lshl_add_u64 v[2:3], v[2:3], 4, s[34:35]
	s_or_b64 s[12:13], vcc, s[12:13]
	s_waitcnt lgkmcnt(0)
	global_store_dwordx4 v[2:3], v[4:7], off
	s_andn2_b64 exec, exec, s[12:13]
	s_cbranch_execz .LBB67_75
.LBB67_64:                              ; =>This Loop Header: Depth=1
                                        ;     Child Loop BB67_67 Depth 2
                                        ;     Child Loop BB67_70 Depth 2
	;; [unrolled: 1-line block ×3, first 2 shown]
	v_lshl_add_u32 v1, v0, 2, 0
	ds_read_b32 v4, v1
	s_and_b64 vcc, exec, s[0:1]
	v_mov_b32_e32 v2, s8
	s_mov_b32 s19, 0
	s_mov_b64 s[6:7], -1
	s_cbranch_vccnz .LBB67_72
; %bb.65:                               ;   in Loop: Header=BB67_64 Depth=1
	s_and_b64 vcc, exec, s[2:3]
	v_mov_b64_e32 v[2:3], s[8:9]
	s_cbranch_vccnz .LBB67_68
; %bb.66:                               ;   in Loop: Header=BB67_64 Depth=1
	s_mov_b32 s20, 0
	v_mov_b32_e32 v2, s8
	v_mov_b32_e32 v3, 0
	s_mov_b32 s21, s16
.LBB67_67:                              ;   Parent Loop BB67_64 Depth=1
                                        ; =>  This Inner Loop Header: Depth=2
	v_mov_b32_e32 v5, s20
	ds_read2_b32 v[6:7], v5 offset1:1
	ds_read2_b32 v[8:9], v5 offset0:2 offset1:3
	ds_read2_b32 v[10:11], v5 offset0:4 offset1:5
	;; [unrolled: 1-line block ×7, first 2 shown]
	s_waitcnt lgkmcnt(7)
	v_cmp_gt_i32_e32 vcc, v4, v7
	s_waitcnt lgkmcnt(5)
	v_cmp_gt_i32_e64 s[6:7], v4, v10
	s_add_i32 s19, s19, 16
	v_cndmask_b32_e64 v5, 0, 1, vcc
	v_cmp_gt_i32_e32 vcc, v4, v6
	v_cndmask_b32_e64 v7, 0, 1, s[6:7]
	v_cmp_gt_i32_e64 s[6:7], v4, v11
	v_cndmask_b32_e64 v6, 0, 1, vcc
	v_cmp_gt_i32_e32 vcc, v4, v9
	v_cndmask_b32_e64 v9, 0, 1, s[6:7]
	s_waitcnt lgkmcnt(3)
	v_cmp_gt_i32_e64 s[6:7], v4, v15
	v_addc_co_u32_e32 v3, vcc, v3, v5, vcc
	s_nop 0
	v_cndmask_b32_e64 v10, 0, 1, s[6:7]
	v_cmp_gt_i32_e64 s[6:7], v4, v14
	v_cmp_gt_i32_e32 vcc, v4, v12
	s_add_i32 s20, s20, 64
	v_cndmask_b32_e64 v11, 0, 1, s[6:7]
	s_waitcnt lgkmcnt(1)
	v_cmp_gt_i32_e64 s[6:7], v4, v18
	s_add_i32 s21, s21, -8
	s_cmp_lg_u32 s21, 0
	v_cndmask_b32_e64 v14, 0, 1, s[6:7]
	v_cmp_gt_i32_e64 s[6:7], v4, v19
	s_nop 1
	v_cndmask_b32_e64 v15, 0, 1, s[6:7]
	v_cmp_gt_i32_e64 s[6:7], v4, v8
	s_nop 1
	v_addc_co_u32_e64 v2, s[6:7], v2, v6, s[6:7]
	v_cmp_gt_i32_e64 s[6:7], v4, v13
	v_addc_co_u32_e32 v2, vcc, v2, v7, vcc
	s_nop 0
	v_addc_co_u32_e64 v3, s[6:7], v3, v9, s[6:7]
	v_cmp_gt_i32_e32 vcc, v4, v17
	v_cmp_gt_i32_e64 s[6:7], v4, v16
	s_nop 0
	v_addc_co_u32_e32 v3, vcc, v3, v10, vcc
	v_addc_co_u32_e64 v2, s[6:7], v2, v11, s[6:7]
	s_waitcnt lgkmcnt(0)
	v_cmp_gt_i32_e32 vcc, v4, v20
	v_cmp_gt_i32_e64 s[6:7], v4, v21
	s_nop 0
	v_addc_co_u32_e32 v2, vcc, v2, v14, vcc
	v_addc_co_u32_e64 v3, s[6:7], v3, v15, s[6:7]
	s_cbranch_scc1 .LBB67_67
.LBB67_68:                              ;   in Loop: Header=BB67_64 Depth=1
	s_and_b64 vcc, exec, s[4:5]
	s_cbranch_vccnz .LBB67_71
; %bb.69:                               ;   in Loop: Header=BB67_64 Depth=1
	s_lshl_b32 s6, s19, 2
	s_add_i32 s6, s6, 0
	s_mov_b32 s7, s17
.LBB67_70:                              ;   Parent Loop BB67_64 Depth=1
                                        ; =>  This Inner Loop Header: Depth=2
	v_mov_b32_e32 v5, s6
	ds_read2_b32 v[6:7], v5 offset1:1
	s_add_i32 s6, s6, 8
	s_add_i32 s7, s7, -8
	s_cmp_lg_u32 s7, 0
	s_waitcnt lgkmcnt(0)
	v_cmp_gt_i32_e32 vcc, v4, v7
	s_nop 1
	v_addc_co_u32_e32 v3, vcc, 0, v3, vcc
	v_cmp_gt_i32_e32 vcc, v4, v6
	s_nop 1
	v_addc_co_u32_e32 v2, vcc, 0, v2, vcc
	s_cbranch_scc1 .LBB67_70
.LBB67_71:                              ;   in Loop: Header=BB67_64 Depth=1
	v_add_u32_e32 v2, v2, v3
	s_mov_b32 s19, s15
	s_mov_b64 s[6:7], s[10:11]
.LBB67_72:                              ;   in Loop: Header=BB67_64 Depth=1
	s_and_b64 vcc, exec, s[6:7]
	s_cbranch_vccz .LBB67_63
; %bb.73:                               ;   in Loop: Header=BB67_64 Depth=1
	s_lshl_b32 s6, s19, 2
	s_add_i32 s6, s6, 0
.LBB67_74:                              ;   Parent Loop BB67_64 Depth=1
                                        ; =>  This Inner Loop Header: Depth=2
	v_mov_b32_e32 v3, s6
	ds_read_b32 v3, v3
	s_add_i32 s19, s19, 1
	s_add_i32 s6, s6, 4
	s_cmp_ge_i32 s19, s14
	s_waitcnt lgkmcnt(0)
	v_cmp_gt_i32_e32 vcc, v4, v3
	s_nop 1
	v_addc_co_u32_e32 v2, vcc, 0, v2, vcc
	s_cbranch_scc0 .LBB67_74
	s_branch .LBB67_63
.LBB67_75:
	s_endpgm
	.section	.rodata,"a",@progbits
	.p2align	6, 0x0
	.amdhsa_kernel _ZN9rocsparseL41csrgemm_numeric_fill_block_per_row_kernelILj512ELj32ELj1024ELj137ELj64Eii21rocsparse_complex_numIdEEEvT5_PKS3_S5_NS_24const_host_device_scalarIT6_EEPKT4_S5_PKS7_SB_S5_SD_S8_SB_S5_SD_SB_S5_PS7_21rocsparse_index_base_SF_SF_SF_bbb
		.amdhsa_group_segment_fixed_size 0
		.amdhsa_private_segment_fixed_size 40
		.amdhsa_kernarg_size 172
		.amdhsa_user_sgpr_count 2
		.amdhsa_user_sgpr_dispatch_ptr 0
		.amdhsa_user_sgpr_queue_ptr 0
		.amdhsa_user_sgpr_kernarg_segment_ptr 1
		.amdhsa_user_sgpr_dispatch_id 0
		.amdhsa_user_sgpr_kernarg_preload_length 0
		.amdhsa_user_sgpr_kernarg_preload_offset 0
		.amdhsa_user_sgpr_private_segment_size 0
		.amdhsa_uses_dynamic_stack 0
		.amdhsa_enable_private_segment 1
		.amdhsa_system_sgpr_workgroup_id_x 1
		.amdhsa_system_sgpr_workgroup_id_y 0
		.amdhsa_system_sgpr_workgroup_id_z 0
		.amdhsa_system_sgpr_workgroup_info 0
		.amdhsa_system_vgpr_workitem_id 0
		.amdhsa_next_free_vgpr 28
		.amdhsa_next_free_sgpr 50
		.amdhsa_accum_offset 28
		.amdhsa_reserve_vcc 1
		.amdhsa_float_round_mode_32 0
		.amdhsa_float_round_mode_16_64 0
		.amdhsa_float_denorm_mode_32 3
		.amdhsa_float_denorm_mode_16_64 3
		.amdhsa_dx10_clamp 1
		.amdhsa_ieee_mode 1
		.amdhsa_fp16_overflow 0
		.amdhsa_tg_split 0
		.amdhsa_exception_fp_ieee_invalid_op 0
		.amdhsa_exception_fp_denorm_src 0
		.amdhsa_exception_fp_ieee_div_zero 0
		.amdhsa_exception_fp_ieee_overflow 0
		.amdhsa_exception_fp_ieee_underflow 0
		.amdhsa_exception_fp_ieee_inexact 0
		.amdhsa_exception_int_div_zero 0
	.end_amdhsa_kernel
	.section	.text._ZN9rocsparseL41csrgemm_numeric_fill_block_per_row_kernelILj512ELj32ELj1024ELj137ELj64Eii21rocsparse_complex_numIdEEEvT5_PKS3_S5_NS_24const_host_device_scalarIT6_EEPKT4_S5_PKS7_SB_S5_SD_S8_SB_S5_SD_SB_S5_PS7_21rocsparse_index_base_SF_SF_SF_bbb,"axG",@progbits,_ZN9rocsparseL41csrgemm_numeric_fill_block_per_row_kernelILj512ELj32ELj1024ELj137ELj64Eii21rocsparse_complex_numIdEEEvT5_PKS3_S5_NS_24const_host_device_scalarIT6_EEPKT4_S5_PKS7_SB_S5_SD_S8_SB_S5_SD_SB_S5_PS7_21rocsparse_index_base_SF_SF_SF_bbb,comdat
.Lfunc_end67:
	.size	_ZN9rocsparseL41csrgemm_numeric_fill_block_per_row_kernelILj512ELj32ELj1024ELj137ELj64Eii21rocsparse_complex_numIdEEEvT5_PKS3_S5_NS_24const_host_device_scalarIT6_EEPKT4_S5_PKS7_SB_S5_SD_S8_SB_S5_SD_SB_S5_PS7_21rocsparse_index_base_SF_SF_SF_bbb, .Lfunc_end67-_ZN9rocsparseL41csrgemm_numeric_fill_block_per_row_kernelILj512ELj32ELj1024ELj137ELj64Eii21rocsparse_complex_numIdEEEvT5_PKS3_S5_NS_24const_host_device_scalarIT6_EEPKT4_S5_PKS7_SB_S5_SD_S8_SB_S5_SD_SB_S5_PS7_21rocsparse_index_base_SF_SF_SF_bbb
                                        ; -- End function
	.set _ZN9rocsparseL41csrgemm_numeric_fill_block_per_row_kernelILj512ELj32ELj1024ELj137ELj64Eii21rocsparse_complex_numIdEEEvT5_PKS3_S5_NS_24const_host_device_scalarIT6_EEPKT4_S5_PKS7_SB_S5_SD_S8_SB_S5_SD_SB_S5_PS7_21rocsparse_index_base_SF_SF_SF_bbb.num_vgpr, 28
	.set _ZN9rocsparseL41csrgemm_numeric_fill_block_per_row_kernelILj512ELj32ELj1024ELj137ELj64Eii21rocsparse_complex_numIdEEEvT5_PKS3_S5_NS_24const_host_device_scalarIT6_EEPKT4_S5_PKS7_SB_S5_SD_S8_SB_S5_SD_SB_S5_PS7_21rocsparse_index_base_SF_SF_SF_bbb.num_agpr, 0
	.set _ZN9rocsparseL41csrgemm_numeric_fill_block_per_row_kernelILj512ELj32ELj1024ELj137ELj64Eii21rocsparse_complex_numIdEEEvT5_PKS3_S5_NS_24const_host_device_scalarIT6_EEPKT4_S5_PKS7_SB_S5_SD_S8_SB_S5_SD_SB_S5_PS7_21rocsparse_index_base_SF_SF_SF_bbb.numbered_sgpr, 50
	.set _ZN9rocsparseL41csrgemm_numeric_fill_block_per_row_kernelILj512ELj32ELj1024ELj137ELj64Eii21rocsparse_complex_numIdEEEvT5_PKS3_S5_NS_24const_host_device_scalarIT6_EEPKT4_S5_PKS7_SB_S5_SD_S8_SB_S5_SD_SB_S5_PS7_21rocsparse_index_base_SF_SF_SF_bbb.num_named_barrier, 0
	.set _ZN9rocsparseL41csrgemm_numeric_fill_block_per_row_kernelILj512ELj32ELj1024ELj137ELj64Eii21rocsparse_complex_numIdEEEvT5_PKS3_S5_NS_24const_host_device_scalarIT6_EEPKT4_S5_PKS7_SB_S5_SD_S8_SB_S5_SD_SB_S5_PS7_21rocsparse_index_base_SF_SF_SF_bbb.private_seg_size, 40
	.set _ZN9rocsparseL41csrgemm_numeric_fill_block_per_row_kernelILj512ELj32ELj1024ELj137ELj64Eii21rocsparse_complex_numIdEEEvT5_PKS3_S5_NS_24const_host_device_scalarIT6_EEPKT4_S5_PKS7_SB_S5_SD_S8_SB_S5_SD_SB_S5_PS7_21rocsparse_index_base_SF_SF_SF_bbb.uses_vcc, 1
	.set _ZN9rocsparseL41csrgemm_numeric_fill_block_per_row_kernelILj512ELj32ELj1024ELj137ELj64Eii21rocsparse_complex_numIdEEEvT5_PKS3_S5_NS_24const_host_device_scalarIT6_EEPKT4_S5_PKS7_SB_S5_SD_S8_SB_S5_SD_SB_S5_PS7_21rocsparse_index_base_SF_SF_SF_bbb.uses_flat_scratch, 0
	.set _ZN9rocsparseL41csrgemm_numeric_fill_block_per_row_kernelILj512ELj32ELj1024ELj137ELj64Eii21rocsparse_complex_numIdEEEvT5_PKS3_S5_NS_24const_host_device_scalarIT6_EEPKT4_S5_PKS7_SB_S5_SD_S8_SB_S5_SD_SB_S5_PS7_21rocsparse_index_base_SF_SF_SF_bbb.has_dyn_sized_stack, 0
	.set _ZN9rocsparseL41csrgemm_numeric_fill_block_per_row_kernelILj512ELj32ELj1024ELj137ELj64Eii21rocsparse_complex_numIdEEEvT5_PKS3_S5_NS_24const_host_device_scalarIT6_EEPKT4_S5_PKS7_SB_S5_SD_S8_SB_S5_SD_SB_S5_PS7_21rocsparse_index_base_SF_SF_SF_bbb.has_recursion, 0
	.set _ZN9rocsparseL41csrgemm_numeric_fill_block_per_row_kernelILj512ELj32ELj1024ELj137ELj64Eii21rocsparse_complex_numIdEEEvT5_PKS3_S5_NS_24const_host_device_scalarIT6_EEPKT4_S5_PKS7_SB_S5_SD_S8_SB_S5_SD_SB_S5_PS7_21rocsparse_index_base_SF_SF_SF_bbb.has_indirect_call, 0
	.section	.AMDGPU.csdata,"",@progbits
; Kernel info:
; codeLenInByte = 3036
; TotalNumSgprs: 56
; NumVgprs: 28
; NumAgprs: 0
; TotalNumVgprs: 28
; ScratchSize: 40
; MemoryBound: 0
; FloatMode: 240
; IeeeMode: 1
; LDSByteSize: 0 bytes/workgroup (compile time only)
; SGPRBlocks: 6
; VGPRBlocks: 3
; NumSGPRsForWavesPerEU: 56
; NumVGPRsForWavesPerEU: 28
; AccumOffset: 28
; Occupancy: 8
; WaveLimiterHint : 1
; COMPUTE_PGM_RSRC2:SCRATCH_EN: 1
; COMPUTE_PGM_RSRC2:USER_SGPR: 2
; COMPUTE_PGM_RSRC2:TRAP_HANDLER: 0
; COMPUTE_PGM_RSRC2:TGID_X_EN: 1
; COMPUTE_PGM_RSRC2:TGID_Y_EN: 0
; COMPUTE_PGM_RSRC2:TGID_Z_EN: 0
; COMPUTE_PGM_RSRC2:TIDIG_COMP_CNT: 0
; COMPUTE_PGM_RSRC3_GFX90A:ACCUM_OFFSET: 6
; COMPUTE_PGM_RSRC3_GFX90A:TG_SPLIT: 0
	.section	.text._ZN9rocsparseL41csrgemm_numeric_fill_block_per_row_kernelILj1024ELj32ELj2048ELj137ELj32Eii21rocsparse_complex_numIdEEEvT5_PKS3_S5_NS_24const_host_device_scalarIT6_EEPKT4_S5_PKS7_SB_S5_SD_S8_SB_S5_SD_SB_S5_PS7_21rocsparse_index_base_SF_SF_SF_bbb,"axG",@progbits,_ZN9rocsparseL41csrgemm_numeric_fill_block_per_row_kernelILj1024ELj32ELj2048ELj137ELj32Eii21rocsparse_complex_numIdEEEvT5_PKS3_S5_NS_24const_host_device_scalarIT6_EEPKT4_S5_PKS7_SB_S5_SD_S8_SB_S5_SD_SB_S5_PS7_21rocsparse_index_base_SF_SF_SF_bbb,comdat
	.globl	_ZN9rocsparseL41csrgemm_numeric_fill_block_per_row_kernelILj1024ELj32ELj2048ELj137ELj32Eii21rocsparse_complex_numIdEEEvT5_PKS3_S5_NS_24const_host_device_scalarIT6_EEPKT4_S5_PKS7_SB_S5_SD_S8_SB_S5_SD_SB_S5_PS7_21rocsparse_index_base_SF_SF_SF_bbb ; -- Begin function _ZN9rocsparseL41csrgemm_numeric_fill_block_per_row_kernelILj1024ELj32ELj2048ELj137ELj32Eii21rocsparse_complex_numIdEEEvT5_PKS3_S5_NS_24const_host_device_scalarIT6_EEPKT4_S5_PKS7_SB_S5_SD_S8_SB_S5_SD_SB_S5_PS7_21rocsparse_index_base_SF_SF_SF_bbb
	.p2align	8
	.type	_ZN9rocsparseL41csrgemm_numeric_fill_block_per_row_kernelILj1024ELj32ELj2048ELj137ELj32Eii21rocsparse_complex_numIdEEEvT5_PKS3_S5_NS_24const_host_device_scalarIT6_EEPKT4_S5_PKS7_SB_S5_SD_S8_SB_S5_SD_SB_S5_PS7_21rocsparse_index_base_SF_SF_SF_bbb,@function
_ZN9rocsparseL41csrgemm_numeric_fill_block_per_row_kernelILj1024ELj32ELj2048ELj137ELj32Eii21rocsparse_complex_numIdEEEvT5_PKS3_S5_NS_24const_host_device_scalarIT6_EEPKT4_S5_PKS7_SB_S5_SD_S8_SB_S5_SD_SB_S5_PS7_21rocsparse_index_base_SF_SF_SF_bbb: ; @_ZN9rocsparseL41csrgemm_numeric_fill_block_per_row_kernelILj1024ELj32ELj2048ELj137ELj32Eii21rocsparse_complex_numIdEEEvT5_PKS3_S5_NS_24const_host_device_scalarIT6_EEPKT4_S5_PKS7_SB_S5_SD_S8_SB_S5_SD_SB_S5_PS7_21rocsparse_index_base_SF_SF_SF_bbb
; %bb.0:
	s_load_dword s3, s[0:1], 0xa8
	s_load_dwordx4 s[68:71], s[0:1], 0x98
	s_load_dwordx4 s[8:11], s[0:1], 0x18
	;; [unrolled: 1-line block ×3, first 2 shown]
	v_mov_b64_e32 v[6:7], 0
	s_waitcnt lgkmcnt(0)
	s_bitcmp1_b32 s3, 0
	s_cselect_b64 s[28:29], -1, 0
	s_bitcmp1_b32 s3, 16
	s_cselect_b64 s[30:31], -1, 0
	s_xor_b64 s[4:5], s[30:31], -1
	v_mov_b64_e32 v[2:3], s[8:9]
	v_cndmask_b32_e64 v1, 0, 1, s[4:5]
	scratch_store_dwordx2 off, v[2:3], off offset:16
	v_mov_b64_e32 v[2:3], s[24:25]
	s_bitcmp0_b32 s3, 0
	v_cmp_ne_u32_e64 s[4:5], 1, v1
	v_mov_b64_e32 v[10:11], 0
	v_mov_b64_e32 v[12:13], 0
	scratch_store_dwordx2 off, v[2:3], off offset:24
	s_cbranch_scc1 .LBB68_3
; %bb.1:
	s_mov_b64 s[6:7], src_private_base
	s_and_b64 s[12:13], s[30:31], exec
	s_cselect_b32 s6, s7, s9
	s_cselect_b32 s7, 16, s8
	v_mov_b32_e32 v2, s7
	v_mov_b32_e32 v3, s6
	flat_load_dwordx2 v[10:11], v[2:3]
	s_and_b64 vcc, exec, s[4:5]
	v_mov_b64_e32 v[12:13], s[10:11]
	s_cbranch_vccnz .LBB68_3
; %bb.2:
	v_mov_b64_e32 v[2:3], s[8:9]
	flat_load_dwordx2 v[12:13], v[2:3] offset:8
.LBB68_3:
	s_load_dwordx2 s[72:73], s[0:1], 0x90
	s_load_dwordx8 s[60:67], s[0:1], 0x68
	s_load_dwordx4 s[16:19], s[0:1], 0x48
	s_load_dwordx4 s[20:23], s[0:1], 0x8
	s_load_dwordx8 s[8:15], s[0:1], 0x28
	s_bitcmp1_b32 s3, 8
	s_cselect_b64 s[6:7], -1, 0
	s_bfe_u32 s3, s3, 0x10008
	s_cmp_eq_u32 s3, 0
	v_mov_b64_e32 v[8:9], 0
	s_cbranch_scc1 .LBB68_6
; %bb.4:
	s_mov_b64 s[34:35], src_private_base
	s_and_b64 s[30:31], s[30:31], exec
	s_cselect_b32 s3, s35, s25
	s_cselect_b32 s30, 24, s24
	v_mov_b32_e32 v2, s30
	v_mov_b32_e32 v3, s3
	flat_load_dwordx2 v[8:9], v[2:3]
	s_and_b64 vcc, exec, s[4:5]
	v_mov_b64_e32 v[6:7], s[26:27]
	s_cbranch_vccnz .LBB68_6
; %bb.5:
	v_mov_b64_e32 v[2:3], s[24:25]
	flat_load_dwordx2 v[6:7], v[2:3] offset:8
.LBB68_6:
	s_load_dword s33, s[0:1], 0x0
	s_mov_b32 s4, 0
	v_lshl_add_u32 v1, v0, 4, 0
	v_add_u32_e32 v1, 0x2000, v1
	v_or_b32_e32 v22, 0xfffffc00, v0
	v_lshl_add_u32 v23, v0, 2, 0
	s_mov_b32 s5, s4
	s_mov_b32 s24, s4
	;; [unrolled: 1-line block ×3, first 2 shown]
	s_mov_b64 s[0:1], 0
	s_waitcnt lgkmcnt(0)
	v_mov_b32_e32 v17, s33
	v_mov_b64_e32 v[2:3], s[4:5]
	v_mov_b64_e32 v[4:5], s[24:25]
	v_mov_b32_e32 v14, v23
	v_mov_b32_e32 v15, v22
	;; [unrolled: 1-line block ×3, first 2 shown]
.LBB68_7:                               ; =>This Inner Loop Header: Depth=1
	v_add_co_u32_e32 v15, vcc, 0x400, v15
	s_xor_b64 s[4:5], vcc, -1
	s_and_b64 s[4:5], exec, s[4:5]
	ds_write_b32 v14, v17
	ds_write2_b64 v16, v[2:3], v[4:5] offset1:1
	v_add_u32_e32 v16, 0x4000, v16
	s_or_b64 s[0:1], s[4:5], s[0:1]
	v_add_u32_e32 v14, 0x1000, v14
	s_andn2_b64 exec, exec, s[0:1]
	s_cbranch_execnz .LBB68_7
; %bb.8:
	s_or_b64 exec, exec, s[0:1]
	s_waitcnt lgkmcnt(0)
	s_barrier
	s_load_dword s0, s[20:21], 0x0
	s_mov_b32 s1, 0
	v_lshrrev_b32_e32 v24, 5, v0
	s_waitcnt lgkmcnt(0)
	s_add_i32 s0, s0, s2
	s_lshl_b64 s[0:1], s[0:1], 2
	s_add_u32 s0, s22, s0
	s_addc_u32 s1, s23, s1
	s_load_dword s74, s[0:1], 0x0
	s_and_b64 vcc, exec, s[28:29]
	s_cbranch_vccz .LBB68_26
; %bb.9:
	s_waitcnt lgkmcnt(0)
	s_ashr_i32 s75, s74, 31
	s_lshl_b64 s[0:1], s[74:75], 2
	s_add_u32 s0, s8, s0
	s_addc_u32 s1, s9, s1
	s_load_dwordx2 s[2:3], s[0:1], 0x0
	v_subrev_u32_e32 v2, s68, v24
	s_waitcnt lgkmcnt(0)
	s_sub_i32 s30, s3, s68
	v_add_u32_e32 v14, s2, v2
	v_cmp_gt_i32_e32 vcc, s30, v14
	s_and_saveexec_b64 s[0:1], vcc
	s_cbranch_execz .LBB68_25
; %bb.10:
	v_and_b32_e32 v2, 31, v0
	v_subrev_u32_e32 v25, s69, v2
	s_mov_b64 s[2:3], 0
	s_movk_i32 s31, 0x89
	s_branch .LBB68_12
.LBB68_11:                              ;   in Loop: Header=BB68_12 Depth=1
	s_or_b64 exec, exec, s[4:5]
	v_add_u32_e32 v14, 32, v14
	v_cmp_le_i32_e32 vcc, s30, v14
	s_or_b64 s[2:3], vcc, s[2:3]
	s_andn2_b64 exec, exec, s[2:3]
	s_cbranch_execz .LBB68_25
.LBB68_12:                              ; =>This Loop Header: Depth=1
                                        ;     Child Loop BB68_16 Depth 2
                                        ;       Child Loop BB68_19 Depth 3
	v_ashrrev_i32_e32 v15, 31, v14
	v_lshl_add_u64 v[2:3], v[14:15], 2, s[10:11]
	global_load_dword v2, v[2:3], off
	s_waitcnt vmcnt(0)
	v_subrev_u32_e32 v2, s68, v2
	v_ashrrev_i32_e32 v3, 31, v2
	v_lshl_add_u64 v[2:3], v[2:3], 2, s[14:15]
	global_load_dwordx2 v[2:3], v[2:3], off
	s_waitcnt vmcnt(0)
	v_subrev_u32_e32 v26, s69, v3
	v_add_u32_e32 v16, v2, v25
	v_cmp_lt_i32_e32 vcc, v16, v26
	s_and_saveexec_b64 s[4:5], vcc
	s_cbranch_execz .LBB68_11
; %bb.13:                               ;   in Loop: Header=BB68_12 Depth=1
	v_lshl_add_u64 v[2:3], v[14:15], 4, s[12:13]
	global_load_dwordx4 v[2:5], v[2:3], off
	s_mov_b64 s[8:9], 0
	s_waitcnt vmcnt(0)
	v_mul_f64 v[18:19], v[4:5], -v[12:13]
	v_mul_f64 v[20:21], v[10:11], v[4:5]
	v_fmac_f64_e32 v[18:19], v[10:11], v[2:3]
	v_fmac_f64_e32 v[20:21], v[12:13], v[2:3]
	s_branch .LBB68_16
.LBB68_14:                              ;   in Loop: Header=BB68_16 Depth=2
	s_or_b64 exec, exec, s[22:23]
.LBB68_15:                              ;   in Loop: Header=BB68_16 Depth=2
	s_or_b64 exec, exec, s[20:21]
	s_waitcnt vmcnt(0)
	v_mul_f64 v[28:29], v[4:5], -v[20:21]
	v_mul_f64 v[4:5], v[18:19], v[4:5]
	v_fmac_f64_e32 v[28:29], v[18:19], v[2:3]
	v_fmac_f64_e32 v[4:5], v[20:21], v[2:3]
	v_lshl_add_u32 v2, v15, 4, 0
	ds_add_f64 v2, v[28:29] offset:8192
	ds_add_f64 v2, v[4:5] offset:8200
	v_add_u32_e32 v16, 32, v16
	v_cmp_ge_i32_e32 vcc, v16, v26
	s_or_b64 s[8:9], vcc, s[8:9]
	s_andn2_b64 exec, exec, s[8:9]
	s_cbranch_execz .LBB68_11
.LBB68_16:                              ;   Parent Loop BB68_12 Depth=1
                                        ; =>  This Loop Header: Depth=2
                                        ;       Child Loop BB68_19 Depth 3
	v_ashrrev_i32_e32 v17, 31, v16
	v_lshl_add_u64 v[2:3], v[16:17], 2, s[16:17]
	global_load_dword v15, v[2:3], off
	v_lshl_add_u64 v[2:3], v[16:17], 4, s[18:19]
	global_load_dwordx4 v[2:5], v[2:3], off
	s_waitcnt vmcnt(1)
	v_subrev_u32_e32 v17, s69, v15
	v_mul_lo_u32 v15, v17, s31
	v_and_b32_e32 v15, 0x7ff, v15
	v_lshl_add_u32 v27, v15, 2, 0
	ds_read_b32 v28, v27
	s_waitcnt lgkmcnt(0)
	v_cmp_ne_u32_e32 vcc, v28, v17
	s_and_saveexec_b64 s[20:21], vcc
	s_cbranch_execz .LBB68_15
; %bb.17:                               ;   in Loop: Header=BB68_16 Depth=2
	s_mov_b64 s[22:23], 0
	s_branch .LBB68_19
.LBB68_18:                              ;   in Loop: Header=BB68_19 Depth=3
	s_or_b64 exec, exec, s[28:29]
	s_and_b64 s[24:25], exec, s[26:27]
	s_or_b64 s[22:23], s[24:25], s[22:23]
	s_andn2_b64 exec, exec, s[22:23]
	s_cbranch_execz .LBB68_14
.LBB68_19:                              ;   Parent Loop BB68_12 Depth=1
                                        ;     Parent Loop BB68_16 Depth=2
                                        ; =>    This Inner Loop Header: Depth=3
	v_cmp_ne_u32_e32 vcc, s33, v28
	s_mov_b64 s[24:25], 0
	s_and_saveexec_b64 s[26:27], vcc
	s_xor_b64 s[26:27], exec, s[26:27]
	s_cbranch_execz .LBB68_21
; %bb.20:                               ;   in Loop: Header=BB68_19 Depth=3
	v_add_u32_e32 v15, 1, v15
	s_mov_b64 s[24:25], exec
	v_and_b32_e32 v15, 0x7ff, v15
                                        ; implicit-def: $vgpr27
	s_andn2_saveexec_b64 s[26:27], s[26:27]
	s_cbranch_execz .LBB68_23
	s_branch .LBB68_22
.LBB68_21:                              ;   in Loop: Header=BB68_19 Depth=3
	s_andn2_saveexec_b64 s[26:27], s[26:27]
	s_cbranch_execz .LBB68_23
.LBB68_22:                              ;   in Loop: Header=BB68_19 Depth=3
	v_mov_b32_e32 v28, s33
	ds_cmpst_rtn_b32 v27, v27, v28, v17
	s_andn2_b64 s[24:25], s[24:25], exec
	s_waitcnt lgkmcnt(0)
	v_cmp_ne_u32_e32 vcc, s33, v27
	s_and_b64 s[28:29], vcc, exec
	s_or_b64 s[24:25], s[24:25], s[28:29]
.LBB68_23:                              ;   in Loop: Header=BB68_19 Depth=3
	s_or_b64 exec, exec, s[26:27]
	s_mov_b64 s[26:27], -1
                                        ; implicit-def: $vgpr27
                                        ; implicit-def: $vgpr28
	s_and_saveexec_b64 s[28:29], s[24:25]
	s_cbranch_execz .LBB68_18
; %bb.24:                               ;   in Loop: Header=BB68_19 Depth=3
	v_lshl_add_u32 v27, v15, 2, 0
	ds_read_b32 v28, v27
	s_waitcnt lgkmcnt(0)
	v_cmp_eq_u32_e32 vcc, v28, v17
	s_orn2_b64 s[26:27], vcc, exec
	s_branch .LBB68_18
.LBB68_25:
	s_or_b64 exec, exec, s[0:1]
.LBB68_26:
	s_andn2_b64 vcc, exec, s[6:7]
	s_cbranch_vccnz .LBB68_41
; %bb.27:
	s_waitcnt lgkmcnt(0)
	s_ashr_i32 s75, s74, 31
	s_lshl_b64 s[0:1], s[74:75], 2
	s_add_u32 s0, s60, s0
	s_addc_u32 s1, s61, s1
	s_load_dwordx2 s[2:3], s[0:1], 0x0
	v_subrev_u32_e32 v2, s71, v0
	s_waitcnt lgkmcnt(0)
	s_sub_i32 s14, s3, s71
	s_waitcnt vmcnt(0)
	v_add_u32_e32 v10, s2, v2
	v_cmp_gt_i32_e32 vcc, s14, v10
	s_and_saveexec_b64 s[0:1], vcc
	s_cbranch_execz .LBB68_40
; %bb.28:
	s_mov_b64 s[2:3], 0
	s_movk_i32 s15, 0x89
	s_branch .LBB68_31
.LBB68_29:                              ;   in Loop: Header=BB68_31 Depth=1
	s_or_b64 exec, exec, s[6:7]
.LBB68_30:                              ;   in Loop: Header=BB68_31 Depth=1
	s_or_b64 exec, exec, s[4:5]
	s_waitcnt vmcnt(0)
	v_mul_f64 v[12:13], v[4:5], -v[6:7]
	v_mul_f64 v[4:5], v[8:9], v[4:5]
	v_fmac_f64_e32 v[12:13], v[8:9], v[2:3]
	v_fmac_f64_e32 v[4:5], v[6:7], v[2:3]
	v_lshl_add_u32 v2, v11, 4, 0
	ds_add_f64 v2, v[12:13] offset:8192
	ds_add_f64 v2, v[4:5] offset:8200
	v_add_u32_e32 v10, 0x400, v10
	v_cmp_le_i32_e32 vcc, s14, v10
	s_or_b64 s[2:3], vcc, s[2:3]
	s_andn2_b64 exec, exec, s[2:3]
	s_cbranch_execz .LBB68_40
.LBB68_31:                              ; =>This Loop Header: Depth=1
                                        ;     Child Loop BB68_34 Depth 2
	v_ashrrev_i32_e32 v11, 31, v10
	v_lshl_add_u64 v[2:3], v[10:11], 2, s[62:63]
	global_load_dword v12, v[2:3], off
	v_lshl_add_u64 v[2:3], v[10:11], 4, s[64:65]
	global_load_dwordx4 v[2:5], v[2:3], off
	s_waitcnt vmcnt(1)
	v_subrev_u32_e32 v12, s71, v12
	v_mul_lo_u32 v11, v12, s15
	v_and_b32_e32 v11, 0x7ff, v11
	v_lshl_add_u32 v13, v11, 2, 0
	ds_read_b32 v14, v13
	s_waitcnt lgkmcnt(0)
	v_cmp_ne_u32_e32 vcc, v14, v12
	s_and_saveexec_b64 s[4:5], vcc
	s_cbranch_execz .LBB68_30
; %bb.32:                               ;   in Loop: Header=BB68_31 Depth=1
	s_mov_b64 s[6:7], 0
	s_branch .LBB68_34
.LBB68_33:                              ;   in Loop: Header=BB68_34 Depth=2
	s_or_b64 exec, exec, s[12:13]
	s_and_b64 s[8:9], exec, s[10:11]
	s_or_b64 s[6:7], s[8:9], s[6:7]
	s_andn2_b64 exec, exec, s[6:7]
	s_cbranch_execz .LBB68_29
.LBB68_34:                              ;   Parent Loop BB68_31 Depth=1
                                        ; =>  This Inner Loop Header: Depth=2
	v_cmp_ne_u32_e32 vcc, s33, v14
	s_mov_b64 s[8:9], 0
	s_and_saveexec_b64 s[10:11], vcc
	s_xor_b64 s[10:11], exec, s[10:11]
	s_cbranch_execz .LBB68_36
; %bb.35:                               ;   in Loop: Header=BB68_34 Depth=2
	v_add_u32_e32 v11, 1, v11
	s_mov_b64 s[8:9], exec
	v_and_b32_e32 v11, 0x7ff, v11
                                        ; implicit-def: $vgpr13
	s_andn2_saveexec_b64 s[10:11], s[10:11]
	s_cbranch_execz .LBB68_38
	s_branch .LBB68_37
.LBB68_36:                              ;   in Loop: Header=BB68_34 Depth=2
	s_andn2_saveexec_b64 s[10:11], s[10:11]
	s_cbranch_execz .LBB68_38
.LBB68_37:                              ;   in Loop: Header=BB68_34 Depth=2
	v_mov_b32_e32 v14, s33
	ds_cmpst_rtn_b32 v13, v13, v14, v12
	s_andn2_b64 s[8:9], s[8:9], exec
	s_waitcnt lgkmcnt(0)
	v_cmp_ne_u32_e32 vcc, s33, v13
	s_and_b64 s[12:13], vcc, exec
	s_or_b64 s[8:9], s[8:9], s[12:13]
.LBB68_38:                              ;   in Loop: Header=BB68_34 Depth=2
	s_or_b64 exec, exec, s[10:11]
	s_mov_b64 s[10:11], -1
                                        ; implicit-def: $vgpr13
                                        ; implicit-def: $vgpr14
	s_and_saveexec_b64 s[12:13], s[8:9]
	s_cbranch_execz .LBB68_33
; %bb.39:                               ;   in Loop: Header=BB68_34 Depth=2
	v_lshl_add_u32 v13, v11, 2, 0
	ds_read_b32 v14, v13
	s_waitcnt lgkmcnt(0)
	v_cmp_eq_u32_e32 vcc, v14, v12
	s_orn2_b64 s[10:11], vcc, exec
	s_branch .LBB68_33
.LBB68_40:
	s_or_b64 exec, exec, s[0:1]
.LBB68_41:
	v_mbcnt_lo_u32_b32 v2, -1, 0
	v_mbcnt_hi_u32_b32 v2, -1, v2
	v_sub_u32_e32 v2, 63, v2
	s_movk_i32 s0, 0x3ff
	s_movk_i32 s6, 0x5f
	;; [unrolled: 1-line block ×30, first 2 shown]
	v_mov_b32_e32 v4, 0
	v_lshrrev_b64 v[2:3], v2, -1
	v_lshl_add_u32 v5, v24, 2, 0
	v_cmp_eq_u32_e64 s[0:1], s0, v0
	v_cmp_lt_u32_e64 s[2:3], 31, v0
	v_cmp_lt_u32_e64 s[4:5], 63, v0
	;; [unrolled: 1-line block ×31, first 2 shown]
	s_mov_b64 s[68:69], 0
	s_waitcnt vmcnt(0)
	v_mov_b32_e32 v6, 0
	s_waitcnt lgkmcnt(0)
	s_barrier
	s_branch .LBB68_43
.LBB68_42:                              ;   in Loop: Header=BB68_43 Depth=1
	s_or_b64 exec, exec, s[76:77]
	s_waitcnt lgkmcnt(0)
	s_barrier
	ds_read_b32 v7, v4 offset:41084
	v_add_co_u32_e32 v22, vcc, 0x400, v22
	s_xor_b64 s[76:77], vcc, -1
	s_and_b64 s[76:77], exec, s[76:77]
	v_add_u32_e32 v1, 0x4000, v1
	s_waitcnt lgkmcnt(0)
	v_add_u32_e32 v6, v7, v6
	s_or_b64 s[68:69], s[76:77], s[68:69]
	v_add_u32_e32 v23, 0x1000, v23
	s_andn2_b64 exec, exec, s[68:69]
	s_cbranch_execz .LBB68_109
.LBB68_43:                              ; =>This Inner Loop Header: Depth=1
	ds_read2_b64 v[10:13], v1 offset1:1
	ds_read_b32 v8, v23
	s_waitcnt lgkmcnt(1)
	scratch_store_dwordx4 off, v[10:13], off
	s_waitcnt lgkmcnt(0)
	v_cmp_gt_i32_e32 vcc, s33, v8
	s_bcnt1_i32_b64 s71, vcc
	s_nop 0
	v_and_b32_e32 v9, vcc_lo, v2
	v_and_b32_e32 v7, vcc_hi, v3
	v_bcnt_u32_b32 v9, v9, 0
	v_bcnt_u32_b32 v7, v7, v9
	v_mov_b32_e32 v9, s71
	s_barrier
	ds_write_b32 v5, v9 offset:40960
	s_waitcnt lgkmcnt(0)
	s_barrier
	s_and_saveexec_b64 s[76:77], s[2:3]
	s_cbranch_execz .LBB68_76
; %bb.44:                               ;   in Loop: Header=BB68_43 Depth=1
	ds_read_b32 v9, v4 offset:40960
	s_waitcnt lgkmcnt(0)
	v_add_u32_e32 v7, v9, v7
	s_or_b64 exec, exec, s[76:77]
	s_and_saveexec_b64 s[76:77], s[4:5]
	s_cbranch_execnz .LBB68_77
.LBB68_45:                              ;   in Loop: Header=BB68_43 Depth=1
	s_or_b64 exec, exec, s[76:77]
	s_and_saveexec_b64 s[76:77], s[6:7]
	s_cbranch_execz .LBB68_78
.LBB68_46:                              ;   in Loop: Header=BB68_43 Depth=1
	ds_read_b32 v9, v4 offset:40968
	s_waitcnt lgkmcnt(0)
	v_add_u32_e32 v7, v9, v7
	s_or_b64 exec, exec, s[76:77]
	s_and_saveexec_b64 s[76:77], s[8:9]
	s_cbranch_execnz .LBB68_79
.LBB68_47:                              ;   in Loop: Header=BB68_43 Depth=1
	s_or_b64 exec, exec, s[76:77]
	s_and_saveexec_b64 s[76:77], s[10:11]
	s_cbranch_execz .LBB68_80
.LBB68_48:                              ;   in Loop: Header=BB68_43 Depth=1
	ds_read_b32 v9, v4 offset:40976
	s_waitcnt lgkmcnt(0)
	v_add_u32_e32 v7, v9, v7
	s_or_b64 exec, exec, s[76:77]
	s_and_saveexec_b64 s[76:77], s[12:13]
	s_cbranch_execnz .LBB68_81
.LBB68_49:                              ;   in Loop: Header=BB68_43 Depth=1
	s_or_b64 exec, exec, s[76:77]
	s_and_saveexec_b64 s[76:77], s[14:15]
	s_cbranch_execz .LBB68_82
.LBB68_50:                              ;   in Loop: Header=BB68_43 Depth=1
	ds_read_b32 v9, v4 offset:40984
	s_waitcnt lgkmcnt(0)
	v_add_u32_e32 v7, v9, v7
	s_or_b64 exec, exec, s[76:77]
	s_and_saveexec_b64 s[76:77], s[16:17]
	s_cbranch_execnz .LBB68_83
.LBB68_51:                              ;   in Loop: Header=BB68_43 Depth=1
	s_or_b64 exec, exec, s[76:77]
	s_and_saveexec_b64 s[76:77], s[18:19]
	s_cbranch_execz .LBB68_84
.LBB68_52:                              ;   in Loop: Header=BB68_43 Depth=1
	ds_read_b32 v9, v4 offset:40992
	s_waitcnt lgkmcnt(0)
	v_add_u32_e32 v7, v9, v7
	s_or_b64 exec, exec, s[76:77]
	s_and_saveexec_b64 s[76:77], s[20:21]
	s_cbranch_execnz .LBB68_85
.LBB68_53:                              ;   in Loop: Header=BB68_43 Depth=1
	s_or_b64 exec, exec, s[76:77]
	s_and_saveexec_b64 s[76:77], s[22:23]
	s_cbranch_execz .LBB68_86
.LBB68_54:                              ;   in Loop: Header=BB68_43 Depth=1
	ds_read_b32 v9, v4 offset:41000
	s_waitcnt lgkmcnt(0)
	v_add_u32_e32 v7, v9, v7
	s_or_b64 exec, exec, s[76:77]
	s_and_saveexec_b64 s[76:77], s[24:25]
	s_cbranch_execnz .LBB68_87
.LBB68_55:                              ;   in Loop: Header=BB68_43 Depth=1
	s_or_b64 exec, exec, s[76:77]
	s_and_saveexec_b64 s[76:77], s[26:27]
	s_cbranch_execz .LBB68_88
.LBB68_56:                              ;   in Loop: Header=BB68_43 Depth=1
	ds_read_b32 v9, v4 offset:41008
	s_waitcnt lgkmcnt(0)
	v_add_u32_e32 v7, v9, v7
	s_or_b64 exec, exec, s[76:77]
	s_and_saveexec_b64 s[76:77], s[28:29]
	s_cbranch_execnz .LBB68_89
.LBB68_57:                              ;   in Loop: Header=BB68_43 Depth=1
	s_or_b64 exec, exec, s[76:77]
	s_and_saveexec_b64 s[76:77], s[30:31]
	s_cbranch_execz .LBB68_90
.LBB68_58:                              ;   in Loop: Header=BB68_43 Depth=1
	ds_read_b32 v9, v4 offset:41016
	s_waitcnt lgkmcnt(0)
	v_add_u32_e32 v7, v9, v7
	s_or_b64 exec, exec, s[76:77]
	s_and_saveexec_b64 s[76:77], s[34:35]
	s_cbranch_execnz .LBB68_91
.LBB68_59:                              ;   in Loop: Header=BB68_43 Depth=1
	s_or_b64 exec, exec, s[76:77]
	s_and_saveexec_b64 s[76:77], s[36:37]
	s_cbranch_execz .LBB68_92
.LBB68_60:                              ;   in Loop: Header=BB68_43 Depth=1
	ds_read_b32 v9, v4 offset:41024
	s_waitcnt lgkmcnt(0)
	v_add_u32_e32 v7, v9, v7
	s_or_b64 exec, exec, s[76:77]
	s_and_saveexec_b64 s[76:77], s[38:39]
	s_cbranch_execnz .LBB68_93
.LBB68_61:                              ;   in Loop: Header=BB68_43 Depth=1
	s_or_b64 exec, exec, s[76:77]
	s_and_saveexec_b64 s[76:77], s[40:41]
	s_cbranch_execz .LBB68_94
.LBB68_62:                              ;   in Loop: Header=BB68_43 Depth=1
	ds_read_b32 v9, v4 offset:41032
	s_waitcnt lgkmcnt(0)
	v_add_u32_e32 v7, v9, v7
	s_or_b64 exec, exec, s[76:77]
	s_and_saveexec_b64 s[76:77], s[42:43]
	s_cbranch_execnz .LBB68_95
.LBB68_63:                              ;   in Loop: Header=BB68_43 Depth=1
	s_or_b64 exec, exec, s[76:77]
	s_and_saveexec_b64 s[76:77], s[44:45]
	s_cbranch_execz .LBB68_96
.LBB68_64:                              ;   in Loop: Header=BB68_43 Depth=1
	ds_read_b32 v9, v4 offset:41040
	s_waitcnt lgkmcnt(0)
	v_add_u32_e32 v7, v9, v7
	s_or_b64 exec, exec, s[76:77]
	s_and_saveexec_b64 s[76:77], s[46:47]
	s_cbranch_execnz .LBB68_97
.LBB68_65:                              ;   in Loop: Header=BB68_43 Depth=1
	s_or_b64 exec, exec, s[76:77]
	s_and_saveexec_b64 s[76:77], s[48:49]
	s_cbranch_execz .LBB68_98
.LBB68_66:                              ;   in Loop: Header=BB68_43 Depth=1
	ds_read_b32 v9, v4 offset:41048
	s_waitcnt lgkmcnt(0)
	v_add_u32_e32 v7, v9, v7
	s_or_b64 exec, exec, s[76:77]
	s_and_saveexec_b64 s[76:77], s[50:51]
	s_cbranch_execnz .LBB68_99
.LBB68_67:                              ;   in Loop: Header=BB68_43 Depth=1
	s_or_b64 exec, exec, s[76:77]
	s_and_saveexec_b64 s[76:77], s[52:53]
	s_cbranch_execz .LBB68_100
.LBB68_68:                              ;   in Loop: Header=BB68_43 Depth=1
	ds_read_b32 v9, v4 offset:41056
	s_waitcnt lgkmcnt(0)
	v_add_u32_e32 v7, v9, v7
	s_or_b64 exec, exec, s[76:77]
	s_and_saveexec_b64 s[76:77], s[54:55]
	s_cbranch_execnz .LBB68_101
.LBB68_69:                              ;   in Loop: Header=BB68_43 Depth=1
	s_or_b64 exec, exec, s[76:77]
	s_and_saveexec_b64 s[76:77], s[56:57]
	s_cbranch_execz .LBB68_102
.LBB68_70:                              ;   in Loop: Header=BB68_43 Depth=1
	ds_read_b32 v9, v4 offset:41064
	s_waitcnt lgkmcnt(0)
	v_add_u32_e32 v7, v9, v7
	s_or_b64 exec, exec, s[76:77]
	s_and_saveexec_b64 s[76:77], s[58:59]
	s_cbranch_execnz .LBB68_103
.LBB68_71:                              ;   in Loop: Header=BB68_43 Depth=1
	s_or_b64 exec, exec, s[76:77]
	s_and_saveexec_b64 s[76:77], s[60:61]
	s_cbranch_execz .LBB68_104
.LBB68_72:                              ;   in Loop: Header=BB68_43 Depth=1
	ds_read_b32 v9, v4 offset:41072
	s_waitcnt lgkmcnt(0)
	v_add_u32_e32 v7, v9, v7
	s_or_b64 exec, exec, s[76:77]
	s_and_saveexec_b64 s[76:77], s[62:63]
	s_cbranch_execnz .LBB68_105
.LBB68_73:                              ;   in Loop: Header=BB68_43 Depth=1
	s_or_b64 exec, exec, s[76:77]
	s_and_saveexec_b64 s[76:77], s[64:65]
	s_cbranch_execz .LBB68_106
.LBB68_74:                              ;   in Loop: Header=BB68_43 Depth=1
	ds_read_b32 v9, v4 offset:41080
	s_waitcnt lgkmcnt(0)
	v_add_u32_e32 v7, v9, v7
	s_or_b64 exec, exec, s[76:77]
	s_and_saveexec_b64 s[76:77], vcc
	s_cbranch_execnz .LBB68_107
.LBB68_75:                              ;   in Loop: Header=BB68_43 Depth=1
	s_or_b64 exec, exec, s[76:77]
	s_and_saveexec_b64 s[76:77], s[0:1]
	s_cbranch_execz .LBB68_42
	s_branch .LBB68_108
.LBB68_76:                              ;   in Loop: Header=BB68_43 Depth=1
	s_or_b64 exec, exec, s[76:77]
	s_and_saveexec_b64 s[76:77], s[4:5]
	s_cbranch_execz .LBB68_45
.LBB68_77:                              ;   in Loop: Header=BB68_43 Depth=1
	ds_read_b32 v9, v4 offset:40964
	s_waitcnt lgkmcnt(0)
	v_add_u32_e32 v7, v9, v7
	s_or_b64 exec, exec, s[76:77]
	s_and_saveexec_b64 s[76:77], s[6:7]
	s_cbranch_execnz .LBB68_46
.LBB68_78:                              ;   in Loop: Header=BB68_43 Depth=1
	s_or_b64 exec, exec, s[76:77]
	s_and_saveexec_b64 s[76:77], s[8:9]
	s_cbranch_execz .LBB68_47
.LBB68_79:                              ;   in Loop: Header=BB68_43 Depth=1
	ds_read_b32 v9, v4 offset:40972
	s_waitcnt lgkmcnt(0)
	v_add_u32_e32 v7, v9, v7
	s_or_b64 exec, exec, s[76:77]
	s_and_saveexec_b64 s[76:77], s[10:11]
	s_cbranch_execnz .LBB68_48
.LBB68_80:                              ;   in Loop: Header=BB68_43 Depth=1
	s_or_b64 exec, exec, s[76:77]
	s_and_saveexec_b64 s[76:77], s[12:13]
	s_cbranch_execz .LBB68_49
.LBB68_81:                              ;   in Loop: Header=BB68_43 Depth=1
	ds_read_b32 v9, v4 offset:40980
	s_waitcnt lgkmcnt(0)
	v_add_u32_e32 v7, v9, v7
	s_or_b64 exec, exec, s[76:77]
	s_and_saveexec_b64 s[76:77], s[14:15]
	s_cbranch_execnz .LBB68_50
.LBB68_82:                              ;   in Loop: Header=BB68_43 Depth=1
	s_or_b64 exec, exec, s[76:77]
	s_and_saveexec_b64 s[76:77], s[16:17]
	s_cbranch_execz .LBB68_51
.LBB68_83:                              ;   in Loop: Header=BB68_43 Depth=1
	ds_read_b32 v9, v4 offset:40988
	s_waitcnt lgkmcnt(0)
	v_add_u32_e32 v7, v9, v7
	s_or_b64 exec, exec, s[76:77]
	s_and_saveexec_b64 s[76:77], s[18:19]
	s_cbranch_execnz .LBB68_52
.LBB68_84:                              ;   in Loop: Header=BB68_43 Depth=1
	s_or_b64 exec, exec, s[76:77]
	s_and_saveexec_b64 s[76:77], s[20:21]
	s_cbranch_execz .LBB68_53
.LBB68_85:                              ;   in Loop: Header=BB68_43 Depth=1
	ds_read_b32 v9, v4 offset:40996
	s_waitcnt lgkmcnt(0)
	v_add_u32_e32 v7, v9, v7
	s_or_b64 exec, exec, s[76:77]
	s_and_saveexec_b64 s[76:77], s[22:23]
	s_cbranch_execnz .LBB68_54
.LBB68_86:                              ;   in Loop: Header=BB68_43 Depth=1
	s_or_b64 exec, exec, s[76:77]
	s_and_saveexec_b64 s[76:77], s[24:25]
	s_cbranch_execz .LBB68_55
.LBB68_87:                              ;   in Loop: Header=BB68_43 Depth=1
	ds_read_b32 v9, v4 offset:41004
	s_waitcnt lgkmcnt(0)
	v_add_u32_e32 v7, v9, v7
	s_or_b64 exec, exec, s[76:77]
	s_and_saveexec_b64 s[76:77], s[26:27]
	s_cbranch_execnz .LBB68_56
.LBB68_88:                              ;   in Loop: Header=BB68_43 Depth=1
	s_or_b64 exec, exec, s[76:77]
	s_and_saveexec_b64 s[76:77], s[28:29]
	s_cbranch_execz .LBB68_57
.LBB68_89:                              ;   in Loop: Header=BB68_43 Depth=1
	ds_read_b32 v9, v4 offset:41012
	s_waitcnt lgkmcnt(0)
	v_add_u32_e32 v7, v9, v7
	s_or_b64 exec, exec, s[76:77]
	s_and_saveexec_b64 s[76:77], s[30:31]
	s_cbranch_execnz .LBB68_58
.LBB68_90:                              ;   in Loop: Header=BB68_43 Depth=1
	s_or_b64 exec, exec, s[76:77]
	s_and_saveexec_b64 s[76:77], s[34:35]
	s_cbranch_execz .LBB68_59
.LBB68_91:                              ;   in Loop: Header=BB68_43 Depth=1
	ds_read_b32 v9, v4 offset:41020
	s_waitcnt lgkmcnt(0)
	v_add_u32_e32 v7, v9, v7
	s_or_b64 exec, exec, s[76:77]
	s_and_saveexec_b64 s[76:77], s[36:37]
	s_cbranch_execnz .LBB68_60
.LBB68_92:                              ;   in Loop: Header=BB68_43 Depth=1
	s_or_b64 exec, exec, s[76:77]
	s_and_saveexec_b64 s[76:77], s[38:39]
	s_cbranch_execz .LBB68_61
.LBB68_93:                              ;   in Loop: Header=BB68_43 Depth=1
	ds_read_b32 v9, v4 offset:41028
	s_waitcnt lgkmcnt(0)
	v_add_u32_e32 v7, v9, v7
	s_or_b64 exec, exec, s[76:77]
	s_and_saveexec_b64 s[76:77], s[40:41]
	s_cbranch_execnz .LBB68_62
.LBB68_94:                              ;   in Loop: Header=BB68_43 Depth=1
	s_or_b64 exec, exec, s[76:77]
	s_and_saveexec_b64 s[76:77], s[42:43]
	s_cbranch_execz .LBB68_63
.LBB68_95:                              ;   in Loop: Header=BB68_43 Depth=1
	ds_read_b32 v9, v4 offset:41036
	s_waitcnt lgkmcnt(0)
	v_add_u32_e32 v7, v9, v7
	s_or_b64 exec, exec, s[76:77]
	s_and_saveexec_b64 s[76:77], s[44:45]
	s_cbranch_execnz .LBB68_64
.LBB68_96:                              ;   in Loop: Header=BB68_43 Depth=1
	s_or_b64 exec, exec, s[76:77]
	s_and_saveexec_b64 s[76:77], s[46:47]
	s_cbranch_execz .LBB68_65
.LBB68_97:                              ;   in Loop: Header=BB68_43 Depth=1
	ds_read_b32 v9, v4 offset:41044
	s_waitcnt lgkmcnt(0)
	v_add_u32_e32 v7, v9, v7
	s_or_b64 exec, exec, s[76:77]
	s_and_saveexec_b64 s[76:77], s[48:49]
	s_cbranch_execnz .LBB68_66
.LBB68_98:                              ;   in Loop: Header=BB68_43 Depth=1
	s_or_b64 exec, exec, s[76:77]
	s_and_saveexec_b64 s[76:77], s[50:51]
	s_cbranch_execz .LBB68_67
.LBB68_99:                              ;   in Loop: Header=BB68_43 Depth=1
	ds_read_b32 v9, v4 offset:41052
	s_waitcnt lgkmcnt(0)
	v_add_u32_e32 v7, v9, v7
	s_or_b64 exec, exec, s[76:77]
	s_and_saveexec_b64 s[76:77], s[52:53]
	s_cbranch_execnz .LBB68_68
.LBB68_100:                             ;   in Loop: Header=BB68_43 Depth=1
	s_or_b64 exec, exec, s[76:77]
	s_and_saveexec_b64 s[76:77], s[54:55]
	s_cbranch_execz .LBB68_69
.LBB68_101:                             ;   in Loop: Header=BB68_43 Depth=1
	ds_read_b32 v9, v4 offset:41060
	s_waitcnt lgkmcnt(0)
	v_add_u32_e32 v7, v9, v7
	s_or_b64 exec, exec, s[76:77]
	s_and_saveexec_b64 s[76:77], s[56:57]
	s_cbranch_execnz .LBB68_70
.LBB68_102:                             ;   in Loop: Header=BB68_43 Depth=1
	s_or_b64 exec, exec, s[76:77]
	s_and_saveexec_b64 s[76:77], s[58:59]
	s_cbranch_execz .LBB68_71
.LBB68_103:                             ;   in Loop: Header=BB68_43 Depth=1
	ds_read_b32 v9, v4 offset:41068
	s_waitcnt lgkmcnt(0)
	v_add_u32_e32 v7, v9, v7
	s_or_b64 exec, exec, s[76:77]
	s_and_saveexec_b64 s[76:77], s[60:61]
	s_cbranch_execnz .LBB68_72
.LBB68_104:                             ;   in Loop: Header=BB68_43 Depth=1
	s_or_b64 exec, exec, s[76:77]
	s_and_saveexec_b64 s[76:77], s[62:63]
	s_cbranch_execz .LBB68_73
.LBB68_105:                             ;   in Loop: Header=BB68_43 Depth=1
	ds_read_b32 v9, v4 offset:41076
	s_waitcnt lgkmcnt(0)
	v_add_u32_e32 v7, v9, v7
	s_or_b64 exec, exec, s[76:77]
	s_and_saveexec_b64 s[76:77], s[64:65]
	s_cbranch_execnz .LBB68_74
.LBB68_106:                             ;   in Loop: Header=BB68_43 Depth=1
	s_or_b64 exec, exec, s[76:77]
	s_and_saveexec_b64 s[76:77], vcc
	s_cbranch_execz .LBB68_75
.LBB68_107:                             ;   in Loop: Header=BB68_43 Depth=1
	scratch_load_dwordx4 v[10:13], off, off
	v_add3_u32 v9, v6, -1, v7
	v_add_u32_e32 v14, v6, v7
	v_lshl_add_u32 v9, v9, 2, 0
	v_lshl_add_u32 v14, v14, 4, 0
	v_add_u32_e32 v14, 0x1ff0, v14
	ds_write_b32 v9, v8
	s_waitcnt vmcnt(0)
	ds_write2_b64 v14, v[10:11], v[12:13] offset1:1
	s_or_b64 exec, exec, s[76:77]
	s_and_saveexec_b64 s[76:77], s[0:1]
	s_cbranch_execz .LBB68_42
.LBB68_108:                             ;   in Loop: Header=BB68_43 Depth=1
	ds_write_b32 v4, v7 offset:41084
	s_branch .LBB68_42
.LBB68_109:
	s_or_b64 exec, exec, s[68:69]
	s_ashr_i32 s75, s74, 31
	s_lshl_b64 s[0:1], s[74:75], 2
	s_add_u32 s2, s66, s0
	s_addc_u32 s3, s67, s1
	s_load_dwordx2 s[0:1], s[2:3], 0x0
	s_waitcnt lgkmcnt(0)
	s_sub_i32 s14, s1, s0
	v_cmp_gt_i32_e32 vcc, s14, v0
	s_and_saveexec_b64 s[2:3], vcc
	s_cbranch_execz .LBB68_123
; %bb.110:
	s_sub_i32 s8, s0, s70
	v_sub_co_u32_e64 v1, s[0:1], s14, 2
	s_nop 0
	v_readfirstlane_b32 s2, v1
	s_lshr_b32 s2, s2, 1
	s_add_i32 s2, s2, 1
	s_xor_b64 s[0:1], s[0:1], -1
	s_and_b32 s15, s14, -2
	s_and_b32 s3, s2, 7
	s_and_b32 s16, s2, -8
	s_cmp_lg_u32 s3, 0
	v_cmp_lt_u32_e32 vcc, 13, v1
	s_cselect_b64 s[4:5], -1, 0
	s_cmp_lg_u32 s14, s15
	v_cndmask_b32_e64 v1, 0, 1, vcc
	s_cselect_b64 s[10:11], -1, 0
	s_lshl_b32 s17, s3, 3
	v_cndmask_b32_e64 v2, 0, 1, s[0:1]
	v_cmp_ne_u32_e64 s[2:3], 1, v1
	v_cndmask_b32_e64 v1, 0, 1, s[4:5]
	s_mov_b32 s9, 0
	s_mov_b64 s[12:13], 0
	v_cmp_ne_u32_e64 s[0:1], 1, v2
	v_cmp_ne_u32_e64 s[4:5], 1, v1
	s_movk_i32 s18, 0x2000
	s_branch .LBB68_112
.LBB68_111:                             ;   in Loop: Header=BB68_112 Depth=1
	v_mul_lo_u32 v3, v0, 12
	v_add3_u32 v1, v1, v3, s18
	s_waitcnt lgkmcnt(0)
	ds_read2_b64 v[4:7], v1 offset1:1
	v_add_u32_e32 v0, 0x400, v0
	v_ashrrev_i32_e32 v3, 31, v2
	v_cmp_le_i32_e32 vcc, s14, v0
	v_lshl_add_u64 v[2:3], v[2:3], 4, s[72:73]
	s_or_b64 s[12:13], vcc, s[12:13]
	s_waitcnt lgkmcnt(0)
	global_store_dwordx4 v[2:3], v[4:7], off
	s_andn2_b64 exec, exec, s[12:13]
	s_cbranch_execz .LBB68_123
.LBB68_112:                             ; =>This Loop Header: Depth=1
                                        ;     Child Loop BB68_115 Depth 2
                                        ;     Child Loop BB68_118 Depth 2
	;; [unrolled: 1-line block ×3, first 2 shown]
	v_lshl_add_u32 v1, v0, 2, 0
	ds_read_b32 v4, v1
	s_and_b64 vcc, exec, s[0:1]
	v_mov_b32_e32 v2, s8
	s_mov_b32 s19, 0
	s_mov_b64 s[6:7], -1
	s_cbranch_vccnz .LBB68_120
; %bb.113:                              ;   in Loop: Header=BB68_112 Depth=1
	s_and_b64 vcc, exec, s[2:3]
	v_mov_b64_e32 v[2:3], s[8:9]
	s_cbranch_vccnz .LBB68_116
; %bb.114:                              ;   in Loop: Header=BB68_112 Depth=1
	s_mov_b32 s20, 0
	v_mov_b32_e32 v2, s8
	v_mov_b32_e32 v3, 0
	s_mov_b32 s21, s16
.LBB68_115:                             ;   Parent Loop BB68_112 Depth=1
                                        ; =>  This Inner Loop Header: Depth=2
	v_mov_b32_e32 v5, s20
	ds_read2_b32 v[6:7], v5 offset1:1
	ds_read2_b32 v[8:9], v5 offset0:2 offset1:3
	ds_read2_b32 v[10:11], v5 offset0:4 offset1:5
	;; [unrolled: 1-line block ×7, first 2 shown]
	s_waitcnt lgkmcnt(7)
	v_cmp_gt_i32_e32 vcc, v4, v7
	s_waitcnt lgkmcnt(5)
	v_cmp_gt_i32_e64 s[6:7], v4, v10
	s_add_i32 s19, s19, 16
	v_cndmask_b32_e64 v5, 0, 1, vcc
	v_cmp_gt_i32_e32 vcc, v4, v6
	v_cndmask_b32_e64 v7, 0, 1, s[6:7]
	v_cmp_gt_i32_e64 s[6:7], v4, v11
	v_cndmask_b32_e64 v6, 0, 1, vcc
	v_cmp_gt_i32_e32 vcc, v4, v9
	v_cndmask_b32_e64 v9, 0, 1, s[6:7]
	s_waitcnt lgkmcnt(3)
	v_cmp_gt_i32_e64 s[6:7], v4, v15
	v_addc_co_u32_e32 v3, vcc, v3, v5, vcc
	s_nop 0
	v_cndmask_b32_e64 v10, 0, 1, s[6:7]
	v_cmp_gt_i32_e64 s[6:7], v4, v14
	v_cmp_gt_i32_e32 vcc, v4, v12
	s_add_i32 s20, s20, 64
	v_cndmask_b32_e64 v11, 0, 1, s[6:7]
	s_waitcnt lgkmcnt(1)
	v_cmp_gt_i32_e64 s[6:7], v4, v18
	s_add_i32 s21, s21, -8
	s_cmp_lg_u32 s21, 0
	v_cndmask_b32_e64 v14, 0, 1, s[6:7]
	v_cmp_gt_i32_e64 s[6:7], v4, v19
	s_nop 1
	v_cndmask_b32_e64 v15, 0, 1, s[6:7]
	v_cmp_gt_i32_e64 s[6:7], v4, v8
	s_nop 1
	v_addc_co_u32_e64 v2, s[6:7], v2, v6, s[6:7]
	v_cmp_gt_i32_e64 s[6:7], v4, v13
	v_addc_co_u32_e32 v2, vcc, v2, v7, vcc
	s_nop 0
	v_addc_co_u32_e64 v3, s[6:7], v3, v9, s[6:7]
	v_cmp_gt_i32_e32 vcc, v4, v17
	v_cmp_gt_i32_e64 s[6:7], v4, v16
	s_nop 0
	v_addc_co_u32_e32 v3, vcc, v3, v10, vcc
	v_addc_co_u32_e64 v2, s[6:7], v2, v11, s[6:7]
	s_waitcnt lgkmcnt(0)
	v_cmp_gt_i32_e32 vcc, v4, v20
	v_cmp_gt_i32_e64 s[6:7], v4, v21
	s_nop 0
	v_addc_co_u32_e32 v2, vcc, v2, v14, vcc
	v_addc_co_u32_e64 v3, s[6:7], v3, v15, s[6:7]
	s_cbranch_scc1 .LBB68_115
.LBB68_116:                             ;   in Loop: Header=BB68_112 Depth=1
	s_and_b64 vcc, exec, s[4:5]
	s_cbranch_vccnz .LBB68_119
; %bb.117:                              ;   in Loop: Header=BB68_112 Depth=1
	s_lshl_b32 s6, s19, 2
	s_add_i32 s6, s6, 0
	s_mov_b32 s7, s17
.LBB68_118:                             ;   Parent Loop BB68_112 Depth=1
                                        ; =>  This Inner Loop Header: Depth=2
	v_mov_b32_e32 v5, s6
	ds_read2_b32 v[6:7], v5 offset1:1
	s_add_i32 s6, s6, 8
	s_add_i32 s7, s7, -8
	s_cmp_lg_u32 s7, 0
	s_waitcnt lgkmcnt(0)
	v_cmp_gt_i32_e32 vcc, v4, v7
	s_nop 1
	v_addc_co_u32_e32 v3, vcc, 0, v3, vcc
	v_cmp_gt_i32_e32 vcc, v4, v6
	s_nop 1
	v_addc_co_u32_e32 v2, vcc, 0, v2, vcc
	s_cbranch_scc1 .LBB68_118
.LBB68_119:                             ;   in Loop: Header=BB68_112 Depth=1
	v_add_u32_e32 v2, v2, v3
	s_mov_b32 s19, s15
	s_mov_b64 s[6:7], s[10:11]
.LBB68_120:                             ;   in Loop: Header=BB68_112 Depth=1
	s_and_b64 vcc, exec, s[6:7]
	s_cbranch_vccz .LBB68_111
; %bb.121:                              ;   in Loop: Header=BB68_112 Depth=1
	s_lshl_b32 s6, s19, 2
	s_add_i32 s6, s6, 0
.LBB68_122:                             ;   Parent Loop BB68_112 Depth=1
                                        ; =>  This Inner Loop Header: Depth=2
	v_mov_b32_e32 v3, s6
	ds_read_b32 v3, v3
	s_add_i32 s19, s19, 1
	s_add_i32 s6, s6, 4
	s_cmp_ge_i32 s19, s14
	s_waitcnt lgkmcnt(0)
	v_cmp_gt_i32_e32 vcc, v4, v3
	s_nop 1
	v_addc_co_u32_e32 v2, vcc, 0, v2, vcc
	s_cbranch_scc0 .LBB68_122
	s_branch .LBB68_111
.LBB68_123:
	s_endpgm
	.section	.rodata,"a",@progbits
	.p2align	6, 0x0
	.amdhsa_kernel _ZN9rocsparseL41csrgemm_numeric_fill_block_per_row_kernelILj1024ELj32ELj2048ELj137ELj32Eii21rocsparse_complex_numIdEEEvT5_PKS3_S5_NS_24const_host_device_scalarIT6_EEPKT4_S5_PKS7_SB_S5_SD_S8_SB_S5_SD_SB_S5_PS7_21rocsparse_index_base_SF_SF_SF_bbb
		.amdhsa_group_segment_fixed_size 0
		.amdhsa_private_segment_fixed_size 40
		.amdhsa_kernarg_size 172
		.amdhsa_user_sgpr_count 2
		.amdhsa_user_sgpr_dispatch_ptr 0
		.amdhsa_user_sgpr_queue_ptr 0
		.amdhsa_user_sgpr_kernarg_segment_ptr 1
		.amdhsa_user_sgpr_dispatch_id 0
		.amdhsa_user_sgpr_kernarg_preload_length 0
		.amdhsa_user_sgpr_kernarg_preload_offset 0
		.amdhsa_user_sgpr_private_segment_size 0
		.amdhsa_uses_dynamic_stack 0
		.amdhsa_enable_private_segment 1
		.amdhsa_system_sgpr_workgroup_id_x 1
		.amdhsa_system_sgpr_workgroup_id_y 0
		.amdhsa_system_sgpr_workgroup_id_z 0
		.amdhsa_system_sgpr_workgroup_info 0
		.amdhsa_system_vgpr_workitem_id 0
		.amdhsa_next_free_vgpr 30
		.amdhsa_next_free_sgpr 78
		.amdhsa_accum_offset 32
		.amdhsa_reserve_vcc 1
		.amdhsa_float_round_mode_32 0
		.amdhsa_float_round_mode_16_64 0
		.amdhsa_float_denorm_mode_32 3
		.amdhsa_float_denorm_mode_16_64 3
		.amdhsa_dx10_clamp 1
		.amdhsa_ieee_mode 1
		.amdhsa_fp16_overflow 0
		.amdhsa_tg_split 0
		.amdhsa_exception_fp_ieee_invalid_op 0
		.amdhsa_exception_fp_denorm_src 0
		.amdhsa_exception_fp_ieee_div_zero 0
		.amdhsa_exception_fp_ieee_overflow 0
		.amdhsa_exception_fp_ieee_underflow 0
		.amdhsa_exception_fp_ieee_inexact 0
		.amdhsa_exception_int_div_zero 0
	.end_amdhsa_kernel
	.section	.text._ZN9rocsparseL41csrgemm_numeric_fill_block_per_row_kernelILj1024ELj32ELj2048ELj137ELj32Eii21rocsparse_complex_numIdEEEvT5_PKS3_S5_NS_24const_host_device_scalarIT6_EEPKT4_S5_PKS7_SB_S5_SD_S8_SB_S5_SD_SB_S5_PS7_21rocsparse_index_base_SF_SF_SF_bbb,"axG",@progbits,_ZN9rocsparseL41csrgemm_numeric_fill_block_per_row_kernelILj1024ELj32ELj2048ELj137ELj32Eii21rocsparse_complex_numIdEEEvT5_PKS3_S5_NS_24const_host_device_scalarIT6_EEPKT4_S5_PKS7_SB_S5_SD_S8_SB_S5_SD_SB_S5_PS7_21rocsparse_index_base_SF_SF_SF_bbb,comdat
.Lfunc_end68:
	.size	_ZN9rocsparseL41csrgemm_numeric_fill_block_per_row_kernelILj1024ELj32ELj2048ELj137ELj32Eii21rocsparse_complex_numIdEEEvT5_PKS3_S5_NS_24const_host_device_scalarIT6_EEPKT4_S5_PKS7_SB_S5_SD_S8_SB_S5_SD_SB_S5_PS7_21rocsparse_index_base_SF_SF_SF_bbb, .Lfunc_end68-_ZN9rocsparseL41csrgemm_numeric_fill_block_per_row_kernelILj1024ELj32ELj2048ELj137ELj32Eii21rocsparse_complex_numIdEEEvT5_PKS3_S5_NS_24const_host_device_scalarIT6_EEPKT4_S5_PKS7_SB_S5_SD_S8_SB_S5_SD_SB_S5_PS7_21rocsparse_index_base_SF_SF_SF_bbb
                                        ; -- End function
	.set _ZN9rocsparseL41csrgemm_numeric_fill_block_per_row_kernelILj1024ELj32ELj2048ELj137ELj32Eii21rocsparse_complex_numIdEEEvT5_PKS3_S5_NS_24const_host_device_scalarIT6_EEPKT4_S5_PKS7_SB_S5_SD_S8_SB_S5_SD_SB_S5_PS7_21rocsparse_index_base_SF_SF_SF_bbb.num_vgpr, 30
	.set _ZN9rocsparseL41csrgemm_numeric_fill_block_per_row_kernelILj1024ELj32ELj2048ELj137ELj32Eii21rocsparse_complex_numIdEEEvT5_PKS3_S5_NS_24const_host_device_scalarIT6_EEPKT4_S5_PKS7_SB_S5_SD_S8_SB_S5_SD_SB_S5_PS7_21rocsparse_index_base_SF_SF_SF_bbb.num_agpr, 0
	.set _ZN9rocsparseL41csrgemm_numeric_fill_block_per_row_kernelILj1024ELj32ELj2048ELj137ELj32Eii21rocsparse_complex_numIdEEEvT5_PKS3_S5_NS_24const_host_device_scalarIT6_EEPKT4_S5_PKS7_SB_S5_SD_S8_SB_S5_SD_SB_S5_PS7_21rocsparse_index_base_SF_SF_SF_bbb.numbered_sgpr, 78
	.set _ZN9rocsparseL41csrgemm_numeric_fill_block_per_row_kernelILj1024ELj32ELj2048ELj137ELj32Eii21rocsparse_complex_numIdEEEvT5_PKS3_S5_NS_24const_host_device_scalarIT6_EEPKT4_S5_PKS7_SB_S5_SD_S8_SB_S5_SD_SB_S5_PS7_21rocsparse_index_base_SF_SF_SF_bbb.num_named_barrier, 0
	.set _ZN9rocsparseL41csrgemm_numeric_fill_block_per_row_kernelILj1024ELj32ELj2048ELj137ELj32Eii21rocsparse_complex_numIdEEEvT5_PKS3_S5_NS_24const_host_device_scalarIT6_EEPKT4_S5_PKS7_SB_S5_SD_S8_SB_S5_SD_SB_S5_PS7_21rocsparse_index_base_SF_SF_SF_bbb.private_seg_size, 40
	.set _ZN9rocsparseL41csrgemm_numeric_fill_block_per_row_kernelILj1024ELj32ELj2048ELj137ELj32Eii21rocsparse_complex_numIdEEEvT5_PKS3_S5_NS_24const_host_device_scalarIT6_EEPKT4_S5_PKS7_SB_S5_SD_S8_SB_S5_SD_SB_S5_PS7_21rocsparse_index_base_SF_SF_SF_bbb.uses_vcc, 1
	.set _ZN9rocsparseL41csrgemm_numeric_fill_block_per_row_kernelILj1024ELj32ELj2048ELj137ELj32Eii21rocsparse_complex_numIdEEEvT5_PKS3_S5_NS_24const_host_device_scalarIT6_EEPKT4_S5_PKS7_SB_S5_SD_S8_SB_S5_SD_SB_S5_PS7_21rocsparse_index_base_SF_SF_SF_bbb.uses_flat_scratch, 0
	.set _ZN9rocsparseL41csrgemm_numeric_fill_block_per_row_kernelILj1024ELj32ELj2048ELj137ELj32Eii21rocsparse_complex_numIdEEEvT5_PKS3_S5_NS_24const_host_device_scalarIT6_EEPKT4_S5_PKS7_SB_S5_SD_S8_SB_S5_SD_SB_S5_PS7_21rocsparse_index_base_SF_SF_SF_bbb.has_dyn_sized_stack, 0
	.set _ZN9rocsparseL41csrgemm_numeric_fill_block_per_row_kernelILj1024ELj32ELj2048ELj137ELj32Eii21rocsparse_complex_numIdEEEvT5_PKS3_S5_NS_24const_host_device_scalarIT6_EEPKT4_S5_PKS7_SB_S5_SD_S8_SB_S5_SD_SB_S5_PS7_21rocsparse_index_base_SF_SF_SF_bbb.has_recursion, 0
	.set _ZN9rocsparseL41csrgemm_numeric_fill_block_per_row_kernelILj1024ELj32ELj2048ELj137ELj32Eii21rocsparse_complex_numIdEEEvT5_PKS3_S5_NS_24const_host_device_scalarIT6_EEPKT4_S5_PKS7_SB_S5_SD_S8_SB_S5_SD_SB_S5_PS7_21rocsparse_index_base_SF_SF_SF_bbb.has_indirect_call, 0
	.section	.AMDGPU.csdata,"",@progbits
; Kernel info:
; codeLenInByte = 4276
; TotalNumSgprs: 84
; NumVgprs: 30
; NumAgprs: 0
; TotalNumVgprs: 30
; ScratchSize: 40
; MemoryBound: 0
; FloatMode: 240
; IeeeMode: 1
; LDSByteSize: 0 bytes/workgroup (compile time only)
; SGPRBlocks: 10
; VGPRBlocks: 3
; NumSGPRsForWavesPerEU: 84
; NumVGPRsForWavesPerEU: 30
; AccumOffset: 32
; Occupancy: 8
; WaveLimiterHint : 1
; COMPUTE_PGM_RSRC2:SCRATCH_EN: 1
; COMPUTE_PGM_RSRC2:USER_SGPR: 2
; COMPUTE_PGM_RSRC2:TRAP_HANDLER: 0
; COMPUTE_PGM_RSRC2:TGID_X_EN: 1
; COMPUTE_PGM_RSRC2:TGID_Y_EN: 0
; COMPUTE_PGM_RSRC2:TGID_Z_EN: 0
; COMPUTE_PGM_RSRC2:TIDIG_COMP_CNT: 0
; COMPUTE_PGM_RSRC3_GFX90A:ACCUM_OFFSET: 7
; COMPUTE_PGM_RSRC3_GFX90A:TG_SPLIT: 0
	.section	.text._ZN9rocsparseL41csrgemm_numeric_fill_block_per_row_kernelILj1024ELj32ELj2048ELj137ELj64Eii21rocsparse_complex_numIdEEEvT5_PKS3_S5_NS_24const_host_device_scalarIT6_EEPKT4_S5_PKS7_SB_S5_SD_S8_SB_S5_SD_SB_S5_PS7_21rocsparse_index_base_SF_SF_SF_bbb,"axG",@progbits,_ZN9rocsparseL41csrgemm_numeric_fill_block_per_row_kernelILj1024ELj32ELj2048ELj137ELj64Eii21rocsparse_complex_numIdEEEvT5_PKS3_S5_NS_24const_host_device_scalarIT6_EEPKT4_S5_PKS7_SB_S5_SD_S8_SB_S5_SD_SB_S5_PS7_21rocsparse_index_base_SF_SF_SF_bbb,comdat
	.globl	_ZN9rocsparseL41csrgemm_numeric_fill_block_per_row_kernelILj1024ELj32ELj2048ELj137ELj64Eii21rocsparse_complex_numIdEEEvT5_PKS3_S5_NS_24const_host_device_scalarIT6_EEPKT4_S5_PKS7_SB_S5_SD_S8_SB_S5_SD_SB_S5_PS7_21rocsparse_index_base_SF_SF_SF_bbb ; -- Begin function _ZN9rocsparseL41csrgemm_numeric_fill_block_per_row_kernelILj1024ELj32ELj2048ELj137ELj64Eii21rocsparse_complex_numIdEEEvT5_PKS3_S5_NS_24const_host_device_scalarIT6_EEPKT4_S5_PKS7_SB_S5_SD_S8_SB_S5_SD_SB_S5_PS7_21rocsparse_index_base_SF_SF_SF_bbb
	.p2align	8
	.type	_ZN9rocsparseL41csrgemm_numeric_fill_block_per_row_kernelILj1024ELj32ELj2048ELj137ELj64Eii21rocsparse_complex_numIdEEEvT5_PKS3_S5_NS_24const_host_device_scalarIT6_EEPKT4_S5_PKS7_SB_S5_SD_S8_SB_S5_SD_SB_S5_PS7_21rocsparse_index_base_SF_SF_SF_bbb,@function
_ZN9rocsparseL41csrgemm_numeric_fill_block_per_row_kernelILj1024ELj32ELj2048ELj137ELj64Eii21rocsparse_complex_numIdEEEvT5_PKS3_S5_NS_24const_host_device_scalarIT6_EEPKT4_S5_PKS7_SB_S5_SD_S8_SB_S5_SD_SB_S5_PS7_21rocsparse_index_base_SF_SF_SF_bbb: ; @_ZN9rocsparseL41csrgemm_numeric_fill_block_per_row_kernelILj1024ELj32ELj2048ELj137ELj64Eii21rocsparse_complex_numIdEEEvT5_PKS3_S5_NS_24const_host_device_scalarIT6_EEPKT4_S5_PKS7_SB_S5_SD_S8_SB_S5_SD_SB_S5_PS7_21rocsparse_index_base_SF_SF_SF_bbb
; %bb.0:
	s_load_dword s3, s[0:1], 0xa8
	s_load_dwordx4 s[44:47], s[0:1], 0x98
	s_load_dwordx4 s[8:11], s[0:1], 0x18
	s_load_dwordx4 s[24:27], s[0:1], 0x58
	v_mov_b64_e32 v[6:7], 0
	s_waitcnt lgkmcnt(0)
	s_bitcmp1_b32 s3, 0
	s_cselect_b64 s[28:29], -1, 0
	s_bitcmp1_b32 s3, 16
	s_cselect_b64 s[30:31], -1, 0
	s_xor_b64 s[4:5], s[30:31], -1
	v_mov_b64_e32 v[2:3], s[8:9]
	v_cndmask_b32_e64 v1, 0, 1, s[4:5]
	scratch_store_dwordx2 off, v[2:3], off offset:16
	v_mov_b64_e32 v[2:3], s[24:25]
	s_bitcmp0_b32 s3, 0
	v_cmp_ne_u32_e64 s[4:5], 1, v1
	v_mov_b64_e32 v[10:11], 0
	v_mov_b64_e32 v[12:13], 0
	scratch_store_dwordx2 off, v[2:3], off offset:24
	s_cbranch_scc1 .LBB69_3
; %bb.1:
	s_mov_b64 s[6:7], src_private_base
	s_and_b64 s[12:13], s[30:31], exec
	s_cselect_b32 s6, s7, s9
	s_cselect_b32 s7, 16, s8
	v_mov_b32_e32 v2, s7
	v_mov_b32_e32 v3, s6
	flat_load_dwordx2 v[10:11], v[2:3]
	s_and_b64 vcc, exec, s[4:5]
	v_mov_b64_e32 v[12:13], s[10:11]
	s_cbranch_vccnz .LBB69_3
; %bb.2:
	v_mov_b64_e32 v[2:3], s[8:9]
	flat_load_dwordx2 v[12:13], v[2:3] offset:8
.LBB69_3:
	s_load_dwordx2 s[34:35], s[0:1], 0x90
	s_load_dwordx8 s[36:43], s[0:1], 0x68
	s_load_dwordx4 s[16:19], s[0:1], 0x48
	s_load_dwordx4 s[20:23], s[0:1], 0x8
	s_load_dwordx8 s[8:15], s[0:1], 0x28
	s_bitcmp1_b32 s3, 8
	s_cselect_b64 s[6:7], -1, 0
	s_bfe_u32 s3, s3, 0x10008
	s_cmp_eq_u32 s3, 0
	v_mov_b64_e32 v[8:9], 0
	s_cbranch_scc1 .LBB69_6
; %bb.4:
	s_mov_b64 s[48:49], src_private_base
	s_and_b64 s[30:31], s[30:31], exec
	s_cselect_b32 s3, s49, s25
	s_cselect_b32 s30, 24, s24
	v_mov_b32_e32 v2, s30
	v_mov_b32_e32 v3, s3
	flat_load_dwordx2 v[8:9], v[2:3]
	s_and_b64 vcc, exec, s[4:5]
	v_mov_b64_e32 v[6:7], s[26:27]
	s_cbranch_vccnz .LBB69_6
; %bb.5:
	v_mov_b64_e32 v[2:3], s[24:25]
	flat_load_dwordx2 v[6:7], v[2:3] offset:8
.LBB69_6:
	s_load_dword s33, s[0:1], 0x0
	s_mov_b32 s4, 0
	v_lshl_add_u32 v1, v0, 4, 0
	v_add_u32_e32 v1, 0x2000, v1
	v_or_b32_e32 v22, 0xfffffc00, v0
	v_lshl_add_u32 v23, v0, 2, 0
	s_mov_b32 s5, s4
	s_mov_b32 s24, s4
	;; [unrolled: 1-line block ×3, first 2 shown]
	s_mov_b64 s[0:1], 0
	s_waitcnt lgkmcnt(0)
	v_mov_b32_e32 v17, s33
	v_mov_b64_e32 v[2:3], s[4:5]
	v_mov_b64_e32 v[4:5], s[24:25]
	v_mov_b32_e32 v14, v23
	v_mov_b32_e32 v15, v22
	;; [unrolled: 1-line block ×3, first 2 shown]
.LBB69_7:                               ; =>This Inner Loop Header: Depth=1
	v_add_co_u32_e32 v15, vcc, 0x400, v15
	s_xor_b64 s[4:5], vcc, -1
	s_and_b64 s[4:5], exec, s[4:5]
	ds_write_b32 v14, v17
	ds_write2_b64 v16, v[2:3], v[4:5] offset1:1
	v_add_u32_e32 v16, 0x4000, v16
	s_or_b64 s[0:1], s[4:5], s[0:1]
	v_add_u32_e32 v14, 0x1000, v14
	s_andn2_b64 exec, exec, s[0:1]
	s_cbranch_execnz .LBB69_7
; %bb.8:
	s_or_b64 exec, exec, s[0:1]
	s_waitcnt lgkmcnt(0)
	s_barrier
	s_load_dword s0, s[20:21], 0x0
	s_mov_b32 s1, 0
	s_waitcnt lgkmcnt(0)
	s_add_i32 s0, s0, s2
	s_lshl_b64 s[0:1], s[0:1], 2
	s_add_u32 s0, s22, s0
	s_addc_u32 s1, s23, s1
	s_load_dword s48, s[0:1], 0x0
	s_and_b64 vcc, exec, s[28:29]
	s_cbranch_vccz .LBB69_26
; %bb.9:
	s_waitcnt lgkmcnt(0)
	s_ashr_i32 s49, s48, 31
	s_lshl_b64 s[0:1], s[48:49], 2
	s_add_u32 s0, s8, s0
	s_addc_u32 s1, s9, s1
	s_load_dwordx2 s[2:3], s[0:1], 0x0
	v_lshrrev_b32_e32 v2, 5, v0
	v_subrev_u32_e32 v2, s44, v2
	s_waitcnt lgkmcnt(0)
	s_sub_i32 s30, s3, s44
	v_add_u32_e32 v14, s2, v2
	v_cmp_gt_i32_e32 vcc, s30, v14
	s_and_saveexec_b64 s[0:1], vcc
	s_cbranch_execz .LBB69_25
; %bb.10:
	v_and_b32_e32 v2, 31, v0
	v_subrev_u32_e32 v24, s45, v2
	s_mov_b64 s[2:3], 0
	s_movk_i32 s31, 0x89
	s_branch .LBB69_12
.LBB69_11:                              ;   in Loop: Header=BB69_12 Depth=1
	s_or_b64 exec, exec, s[4:5]
	v_add_u32_e32 v14, 32, v14
	v_cmp_le_i32_e32 vcc, s30, v14
	s_or_b64 s[2:3], vcc, s[2:3]
	s_andn2_b64 exec, exec, s[2:3]
	s_cbranch_execz .LBB69_25
.LBB69_12:                              ; =>This Loop Header: Depth=1
                                        ;     Child Loop BB69_16 Depth 2
                                        ;       Child Loop BB69_19 Depth 3
	v_ashrrev_i32_e32 v15, 31, v14
	v_lshl_add_u64 v[2:3], v[14:15], 2, s[10:11]
	global_load_dword v2, v[2:3], off
	s_waitcnt vmcnt(0)
	v_subrev_u32_e32 v2, s44, v2
	v_ashrrev_i32_e32 v3, 31, v2
	v_lshl_add_u64 v[2:3], v[2:3], 2, s[14:15]
	global_load_dwordx2 v[2:3], v[2:3], off
	s_waitcnt vmcnt(0)
	v_subrev_u32_e32 v25, s45, v3
	v_add_u32_e32 v16, v2, v24
	v_cmp_lt_i32_e32 vcc, v16, v25
	s_and_saveexec_b64 s[4:5], vcc
	s_cbranch_execz .LBB69_11
; %bb.13:                               ;   in Loop: Header=BB69_12 Depth=1
	v_lshl_add_u64 v[2:3], v[14:15], 4, s[12:13]
	global_load_dwordx4 v[2:5], v[2:3], off
	s_mov_b64 s[8:9], 0
	s_waitcnt vmcnt(0)
	v_mul_f64 v[18:19], v[4:5], -v[12:13]
	v_mul_f64 v[20:21], v[10:11], v[4:5]
	v_fmac_f64_e32 v[18:19], v[10:11], v[2:3]
	v_fmac_f64_e32 v[20:21], v[12:13], v[2:3]
	s_branch .LBB69_16
.LBB69_14:                              ;   in Loop: Header=BB69_16 Depth=2
	s_or_b64 exec, exec, s[22:23]
.LBB69_15:                              ;   in Loop: Header=BB69_16 Depth=2
	s_or_b64 exec, exec, s[20:21]
	s_waitcnt vmcnt(0)
	v_mul_f64 v[26:27], v[4:5], -v[20:21]
	v_mul_f64 v[4:5], v[18:19], v[4:5]
	v_fmac_f64_e32 v[26:27], v[18:19], v[2:3]
	v_fmac_f64_e32 v[4:5], v[20:21], v[2:3]
	v_lshl_add_u32 v2, v15, 4, 0
	ds_add_f64 v2, v[26:27] offset:8192
	ds_add_f64 v2, v[4:5] offset:8200
	v_add_u32_e32 v16, 32, v16
	v_cmp_ge_i32_e32 vcc, v16, v25
	s_or_b64 s[8:9], vcc, s[8:9]
	s_andn2_b64 exec, exec, s[8:9]
	s_cbranch_execz .LBB69_11
.LBB69_16:                              ;   Parent Loop BB69_12 Depth=1
                                        ; =>  This Loop Header: Depth=2
                                        ;       Child Loop BB69_19 Depth 3
	v_ashrrev_i32_e32 v17, 31, v16
	v_lshl_add_u64 v[2:3], v[16:17], 2, s[16:17]
	global_load_dword v15, v[2:3], off
	v_lshl_add_u64 v[2:3], v[16:17], 4, s[18:19]
	global_load_dwordx4 v[2:5], v[2:3], off
	s_waitcnt vmcnt(1)
	v_subrev_u32_e32 v17, s45, v15
	v_mul_lo_u32 v15, v17, s31
	v_and_b32_e32 v15, 0x7ff, v15
	v_lshl_add_u32 v26, v15, 2, 0
	ds_read_b32 v27, v26
	s_waitcnt lgkmcnt(0)
	v_cmp_ne_u32_e32 vcc, v27, v17
	s_and_saveexec_b64 s[20:21], vcc
	s_cbranch_execz .LBB69_15
; %bb.17:                               ;   in Loop: Header=BB69_16 Depth=2
	s_mov_b64 s[22:23], 0
	s_branch .LBB69_19
.LBB69_18:                              ;   in Loop: Header=BB69_19 Depth=3
	s_or_b64 exec, exec, s[28:29]
	s_and_b64 s[24:25], exec, s[26:27]
	s_or_b64 s[22:23], s[24:25], s[22:23]
	s_andn2_b64 exec, exec, s[22:23]
	s_cbranch_execz .LBB69_14
.LBB69_19:                              ;   Parent Loop BB69_12 Depth=1
                                        ;     Parent Loop BB69_16 Depth=2
                                        ; =>    This Inner Loop Header: Depth=3
	v_cmp_ne_u32_e32 vcc, s33, v27
	s_mov_b64 s[24:25], 0
	s_and_saveexec_b64 s[26:27], vcc
	s_xor_b64 s[26:27], exec, s[26:27]
	s_cbranch_execz .LBB69_21
; %bb.20:                               ;   in Loop: Header=BB69_19 Depth=3
	v_add_u32_e32 v15, 1, v15
	s_mov_b64 s[24:25], exec
	v_and_b32_e32 v15, 0x7ff, v15
                                        ; implicit-def: $vgpr26
	s_andn2_saveexec_b64 s[26:27], s[26:27]
	s_cbranch_execz .LBB69_23
	s_branch .LBB69_22
.LBB69_21:                              ;   in Loop: Header=BB69_19 Depth=3
	s_andn2_saveexec_b64 s[26:27], s[26:27]
	s_cbranch_execz .LBB69_23
.LBB69_22:                              ;   in Loop: Header=BB69_19 Depth=3
	v_mov_b32_e32 v27, s33
	ds_cmpst_rtn_b32 v26, v26, v27, v17
	s_andn2_b64 s[24:25], s[24:25], exec
	s_waitcnt lgkmcnt(0)
	v_cmp_ne_u32_e32 vcc, s33, v26
	s_and_b64 s[28:29], vcc, exec
	s_or_b64 s[24:25], s[24:25], s[28:29]
.LBB69_23:                              ;   in Loop: Header=BB69_19 Depth=3
	s_or_b64 exec, exec, s[26:27]
	s_mov_b64 s[26:27], -1
                                        ; implicit-def: $vgpr26
                                        ; implicit-def: $vgpr27
	s_and_saveexec_b64 s[28:29], s[24:25]
	s_cbranch_execz .LBB69_18
; %bb.24:                               ;   in Loop: Header=BB69_19 Depth=3
	v_lshl_add_u32 v26, v15, 2, 0
	ds_read_b32 v27, v26
	s_waitcnt lgkmcnt(0)
	v_cmp_eq_u32_e32 vcc, v27, v17
	s_orn2_b64 s[26:27], vcc, exec
	s_branch .LBB69_18
.LBB69_25:
	s_or_b64 exec, exec, s[0:1]
.LBB69_26:
	s_andn2_b64 vcc, exec, s[6:7]
	s_cbranch_vccnz .LBB69_41
; %bb.27:
	s_waitcnt lgkmcnt(0)
	s_ashr_i32 s49, s48, 31
	s_lshl_b64 s[0:1], s[48:49], 2
	s_add_u32 s0, s36, s0
	s_addc_u32 s1, s37, s1
	s_load_dwordx2 s[2:3], s[0:1], 0x0
	v_subrev_u32_e32 v2, s47, v0
	s_waitcnt lgkmcnt(0)
	s_sub_i32 s14, s3, s47
	s_waitcnt vmcnt(0)
	v_add_u32_e32 v10, s2, v2
	v_cmp_gt_i32_e32 vcc, s14, v10
	s_and_saveexec_b64 s[0:1], vcc
	s_cbranch_execz .LBB69_40
; %bb.28:
	s_mov_b64 s[2:3], 0
	s_movk_i32 s15, 0x89
	s_branch .LBB69_31
.LBB69_29:                              ;   in Loop: Header=BB69_31 Depth=1
	s_or_b64 exec, exec, s[6:7]
.LBB69_30:                              ;   in Loop: Header=BB69_31 Depth=1
	s_or_b64 exec, exec, s[4:5]
	s_waitcnt vmcnt(0)
	v_mul_f64 v[12:13], v[4:5], -v[6:7]
	v_mul_f64 v[4:5], v[8:9], v[4:5]
	v_fmac_f64_e32 v[12:13], v[8:9], v[2:3]
	v_fmac_f64_e32 v[4:5], v[6:7], v[2:3]
	v_lshl_add_u32 v2, v11, 4, 0
	ds_add_f64 v2, v[12:13] offset:8192
	ds_add_f64 v2, v[4:5] offset:8200
	v_add_u32_e32 v10, 0x400, v10
	v_cmp_le_i32_e32 vcc, s14, v10
	s_or_b64 s[2:3], vcc, s[2:3]
	s_andn2_b64 exec, exec, s[2:3]
	s_cbranch_execz .LBB69_40
.LBB69_31:                              ; =>This Loop Header: Depth=1
                                        ;     Child Loop BB69_34 Depth 2
	v_ashrrev_i32_e32 v11, 31, v10
	v_lshl_add_u64 v[2:3], v[10:11], 2, s[38:39]
	global_load_dword v12, v[2:3], off
	v_lshl_add_u64 v[2:3], v[10:11], 4, s[40:41]
	global_load_dwordx4 v[2:5], v[2:3], off
	s_waitcnt vmcnt(1)
	v_subrev_u32_e32 v12, s47, v12
	v_mul_lo_u32 v11, v12, s15
	v_and_b32_e32 v11, 0x7ff, v11
	v_lshl_add_u32 v13, v11, 2, 0
	ds_read_b32 v14, v13
	s_waitcnt lgkmcnt(0)
	v_cmp_ne_u32_e32 vcc, v14, v12
	s_and_saveexec_b64 s[4:5], vcc
	s_cbranch_execz .LBB69_30
; %bb.32:                               ;   in Loop: Header=BB69_31 Depth=1
	s_mov_b64 s[6:7], 0
	s_branch .LBB69_34
.LBB69_33:                              ;   in Loop: Header=BB69_34 Depth=2
	s_or_b64 exec, exec, s[12:13]
	s_and_b64 s[8:9], exec, s[10:11]
	s_or_b64 s[6:7], s[8:9], s[6:7]
	s_andn2_b64 exec, exec, s[6:7]
	s_cbranch_execz .LBB69_29
.LBB69_34:                              ;   Parent Loop BB69_31 Depth=1
                                        ; =>  This Inner Loop Header: Depth=2
	v_cmp_ne_u32_e32 vcc, s33, v14
	s_mov_b64 s[8:9], 0
	s_and_saveexec_b64 s[10:11], vcc
	s_xor_b64 s[10:11], exec, s[10:11]
	s_cbranch_execz .LBB69_36
; %bb.35:                               ;   in Loop: Header=BB69_34 Depth=2
	v_add_u32_e32 v11, 1, v11
	s_mov_b64 s[8:9], exec
	v_and_b32_e32 v11, 0x7ff, v11
                                        ; implicit-def: $vgpr13
	s_andn2_saveexec_b64 s[10:11], s[10:11]
	s_cbranch_execz .LBB69_38
	s_branch .LBB69_37
.LBB69_36:                              ;   in Loop: Header=BB69_34 Depth=2
	s_andn2_saveexec_b64 s[10:11], s[10:11]
	s_cbranch_execz .LBB69_38
.LBB69_37:                              ;   in Loop: Header=BB69_34 Depth=2
	v_mov_b32_e32 v14, s33
	ds_cmpst_rtn_b32 v13, v13, v14, v12
	s_andn2_b64 s[8:9], s[8:9], exec
	s_waitcnt lgkmcnt(0)
	v_cmp_ne_u32_e32 vcc, s33, v13
	s_and_b64 s[12:13], vcc, exec
	s_or_b64 s[8:9], s[8:9], s[12:13]
.LBB69_38:                              ;   in Loop: Header=BB69_34 Depth=2
	s_or_b64 exec, exec, s[10:11]
	s_mov_b64 s[10:11], -1
                                        ; implicit-def: $vgpr13
                                        ; implicit-def: $vgpr14
	s_and_saveexec_b64 s[12:13], s[8:9]
	s_cbranch_execz .LBB69_33
; %bb.39:                               ;   in Loop: Header=BB69_34 Depth=2
	v_lshl_add_u32 v13, v11, 2, 0
	ds_read_b32 v14, v13
	s_waitcnt lgkmcnt(0)
	v_cmp_eq_u32_e32 vcc, v14, v12
	s_orn2_b64 s[10:11], vcc, exec
	s_branch .LBB69_33
.LBB69_40:
	s_or_b64 exec, exec, s[0:1]
.LBB69_41:
	v_mbcnt_lo_u32_b32 v2, -1, 0
	v_mbcnt_hi_u32_b32 v2, -1, v2
	v_lshrrev_b32_e32 v5, 4, v0
	v_sub_u32_e32 v2, 63, v2
	v_and_b32_e32 v5, 60, v5
	s_movk_i32 s0, 0x3ff
	s_movk_i32 s4, 0x7f
	s_movk_i32 s6, 0xbf
	s_movk_i32 s8, 0xff
	s_movk_i32 s10, 0x13f
	s_movk_i32 s12, 0x17f
	s_movk_i32 s14, 0x1bf
	s_movk_i32 s16, 0x1ff
	s_movk_i32 s18, 0x23f
	s_movk_i32 s20, 0x27f
	s_movk_i32 s22, 0x2bf
	s_movk_i32 s24, 0x2ff
	s_movk_i32 s26, 0x33f
	s_movk_i32 s28, 0x37f
	s_movk_i32 s30, 0x3bf
	v_mov_b32_e32 v4, 0
	v_lshrrev_b64 v[2:3], v2, -1
	v_add_u32_e32 v5, 0, v5
	v_cmp_eq_u32_e64 s[0:1], s0, v0
	v_cmp_lt_u32_e64 s[2:3], 63, v0
	v_cmp_lt_u32_e64 s[4:5], s4, v0
	v_cmp_lt_u32_e64 s[6:7], s6, v0
	v_cmp_lt_u32_e64 s[8:9], s8, v0
	v_cmp_lt_u32_e64 s[10:11], s10, v0
	v_cmp_lt_u32_e64 s[12:13], s12, v0
	v_cmp_lt_u32_e64 s[14:15], s14, v0
	v_cmp_lt_u32_e64 s[16:17], s16, v0
	v_cmp_lt_u32_e64 s[18:19], s18, v0
	v_cmp_lt_u32_e64 s[20:21], s20, v0
	v_cmp_lt_u32_e64 s[22:23], s22, v0
	v_cmp_lt_u32_e64 s[24:25], s24, v0
	v_cmp_lt_u32_e64 s[26:27], s26, v0
	v_cmp_lt_u32_e64 s[28:29], s28, v0
	v_cmp_lt_u32_e64 s[30:31], s30, v0
	s_mov_b64 s[36:37], 0
	s_waitcnt vmcnt(0)
	v_mov_b32_e32 v6, 0
	s_waitcnt lgkmcnt(0)
	s_barrier
	s_branch .LBB69_43
.LBB69_42:                              ;   in Loop: Header=BB69_43 Depth=1
	s_or_b64 exec, exec, s[38:39]
	s_waitcnt lgkmcnt(0)
	s_barrier
	ds_read_b32 v7, v4 offset:41020
	v_add_co_u32_e32 v22, vcc, 0x400, v22
	s_xor_b64 s[38:39], vcc, -1
	s_and_b64 s[38:39], exec, s[38:39]
	v_add_u32_e32 v1, 0x4000, v1
	s_waitcnt lgkmcnt(0)
	v_add_u32_e32 v6, v7, v6
	s_or_b64 s[36:37], s[38:39], s[36:37]
	v_add_u32_e32 v23, 0x1000, v23
	s_andn2_b64 exec, exec, s[36:37]
	s_cbranch_execz .LBB69_77
.LBB69_43:                              ; =>This Inner Loop Header: Depth=1
	ds_read2_b64 v[10:13], v1 offset1:1
	ds_read_b32 v8, v23
	s_waitcnt lgkmcnt(1)
	scratch_store_dwordx4 off, v[10:13], off
	s_waitcnt lgkmcnt(0)
	v_cmp_gt_i32_e32 vcc, s33, v8
	s_bcnt1_i32_b64 s38, vcc
	s_nop 0
	v_and_b32_e32 v9, vcc_lo, v2
	v_and_b32_e32 v7, vcc_hi, v3
	v_bcnt_u32_b32 v9, v9, 0
	v_bcnt_u32_b32 v7, v7, v9
	v_mov_b32_e32 v9, s38
	s_barrier
	ds_write_b32 v5, v9 offset:40960
	s_waitcnt lgkmcnt(0)
	s_barrier
	s_and_saveexec_b64 s[38:39], s[2:3]
	s_cbranch_execz .LBB69_60
; %bb.44:                               ;   in Loop: Header=BB69_43 Depth=1
	ds_read_b32 v9, v4 offset:40960
	s_waitcnt lgkmcnt(0)
	v_add_u32_e32 v7, v9, v7
	s_or_b64 exec, exec, s[38:39]
	s_and_saveexec_b64 s[38:39], s[4:5]
	s_cbranch_execnz .LBB69_61
.LBB69_45:                              ;   in Loop: Header=BB69_43 Depth=1
	s_or_b64 exec, exec, s[38:39]
	s_and_saveexec_b64 s[38:39], s[6:7]
	s_cbranch_execz .LBB69_62
.LBB69_46:                              ;   in Loop: Header=BB69_43 Depth=1
	ds_read_b32 v9, v4 offset:40968
	s_waitcnt lgkmcnt(0)
	v_add_u32_e32 v7, v9, v7
	s_or_b64 exec, exec, s[38:39]
	s_and_saveexec_b64 s[38:39], s[8:9]
	s_cbranch_execnz .LBB69_63
.LBB69_47:                              ;   in Loop: Header=BB69_43 Depth=1
	s_or_b64 exec, exec, s[38:39]
	s_and_saveexec_b64 s[38:39], s[10:11]
	s_cbranch_execz .LBB69_64
.LBB69_48:                              ;   in Loop: Header=BB69_43 Depth=1
	ds_read_b32 v9, v4 offset:40976
	s_waitcnt lgkmcnt(0)
	v_add_u32_e32 v7, v9, v7
	s_or_b64 exec, exec, s[38:39]
	s_and_saveexec_b64 s[38:39], s[12:13]
	s_cbranch_execnz .LBB69_65
.LBB69_49:                              ;   in Loop: Header=BB69_43 Depth=1
	s_or_b64 exec, exec, s[38:39]
	s_and_saveexec_b64 s[38:39], s[14:15]
	s_cbranch_execz .LBB69_66
.LBB69_50:                              ;   in Loop: Header=BB69_43 Depth=1
	ds_read_b32 v9, v4 offset:40984
	s_waitcnt lgkmcnt(0)
	v_add_u32_e32 v7, v9, v7
	s_or_b64 exec, exec, s[38:39]
	s_and_saveexec_b64 s[38:39], s[16:17]
	s_cbranch_execnz .LBB69_67
.LBB69_51:                              ;   in Loop: Header=BB69_43 Depth=1
	s_or_b64 exec, exec, s[38:39]
	s_and_saveexec_b64 s[38:39], s[18:19]
	s_cbranch_execz .LBB69_68
.LBB69_52:                              ;   in Loop: Header=BB69_43 Depth=1
	ds_read_b32 v9, v4 offset:40992
	s_waitcnt lgkmcnt(0)
	v_add_u32_e32 v7, v9, v7
	s_or_b64 exec, exec, s[38:39]
	s_and_saveexec_b64 s[38:39], s[20:21]
	s_cbranch_execnz .LBB69_69
.LBB69_53:                              ;   in Loop: Header=BB69_43 Depth=1
	s_or_b64 exec, exec, s[38:39]
	s_and_saveexec_b64 s[38:39], s[22:23]
	s_cbranch_execz .LBB69_70
.LBB69_54:                              ;   in Loop: Header=BB69_43 Depth=1
	ds_read_b32 v9, v4 offset:41000
	s_waitcnt lgkmcnt(0)
	v_add_u32_e32 v7, v9, v7
	s_or_b64 exec, exec, s[38:39]
	s_and_saveexec_b64 s[38:39], s[24:25]
	s_cbranch_execnz .LBB69_71
.LBB69_55:                              ;   in Loop: Header=BB69_43 Depth=1
	s_or_b64 exec, exec, s[38:39]
	s_and_saveexec_b64 s[38:39], s[26:27]
	s_cbranch_execz .LBB69_72
.LBB69_56:                              ;   in Loop: Header=BB69_43 Depth=1
	ds_read_b32 v9, v4 offset:41008
	s_waitcnt lgkmcnt(0)
	v_add_u32_e32 v7, v9, v7
	s_or_b64 exec, exec, s[38:39]
	s_and_saveexec_b64 s[38:39], s[28:29]
	s_cbranch_execnz .LBB69_73
.LBB69_57:                              ;   in Loop: Header=BB69_43 Depth=1
	s_or_b64 exec, exec, s[38:39]
	s_and_saveexec_b64 s[38:39], s[30:31]
	s_cbranch_execz .LBB69_74
.LBB69_58:                              ;   in Loop: Header=BB69_43 Depth=1
	ds_read_b32 v9, v4 offset:41016
	s_waitcnt lgkmcnt(0)
	v_add_u32_e32 v7, v9, v7
	s_or_b64 exec, exec, s[38:39]
	s_and_saveexec_b64 s[38:39], vcc
	s_cbranch_execnz .LBB69_75
.LBB69_59:                              ;   in Loop: Header=BB69_43 Depth=1
	s_or_b64 exec, exec, s[38:39]
	s_and_saveexec_b64 s[38:39], s[0:1]
	s_cbranch_execz .LBB69_42
	s_branch .LBB69_76
.LBB69_60:                              ;   in Loop: Header=BB69_43 Depth=1
	s_or_b64 exec, exec, s[38:39]
	s_and_saveexec_b64 s[38:39], s[4:5]
	s_cbranch_execz .LBB69_45
.LBB69_61:                              ;   in Loop: Header=BB69_43 Depth=1
	ds_read_b32 v9, v4 offset:40964
	s_waitcnt lgkmcnt(0)
	v_add_u32_e32 v7, v9, v7
	s_or_b64 exec, exec, s[38:39]
	s_and_saveexec_b64 s[38:39], s[6:7]
	s_cbranch_execnz .LBB69_46
.LBB69_62:                              ;   in Loop: Header=BB69_43 Depth=1
	s_or_b64 exec, exec, s[38:39]
	s_and_saveexec_b64 s[38:39], s[8:9]
	s_cbranch_execz .LBB69_47
.LBB69_63:                              ;   in Loop: Header=BB69_43 Depth=1
	ds_read_b32 v9, v4 offset:40972
	s_waitcnt lgkmcnt(0)
	v_add_u32_e32 v7, v9, v7
	s_or_b64 exec, exec, s[38:39]
	s_and_saveexec_b64 s[38:39], s[10:11]
	s_cbranch_execnz .LBB69_48
.LBB69_64:                              ;   in Loop: Header=BB69_43 Depth=1
	s_or_b64 exec, exec, s[38:39]
	s_and_saveexec_b64 s[38:39], s[12:13]
	s_cbranch_execz .LBB69_49
.LBB69_65:                              ;   in Loop: Header=BB69_43 Depth=1
	ds_read_b32 v9, v4 offset:40980
	s_waitcnt lgkmcnt(0)
	v_add_u32_e32 v7, v9, v7
	s_or_b64 exec, exec, s[38:39]
	s_and_saveexec_b64 s[38:39], s[14:15]
	s_cbranch_execnz .LBB69_50
.LBB69_66:                              ;   in Loop: Header=BB69_43 Depth=1
	s_or_b64 exec, exec, s[38:39]
	s_and_saveexec_b64 s[38:39], s[16:17]
	s_cbranch_execz .LBB69_51
.LBB69_67:                              ;   in Loop: Header=BB69_43 Depth=1
	ds_read_b32 v9, v4 offset:40988
	s_waitcnt lgkmcnt(0)
	v_add_u32_e32 v7, v9, v7
	s_or_b64 exec, exec, s[38:39]
	s_and_saveexec_b64 s[38:39], s[18:19]
	s_cbranch_execnz .LBB69_52
.LBB69_68:                              ;   in Loop: Header=BB69_43 Depth=1
	s_or_b64 exec, exec, s[38:39]
	s_and_saveexec_b64 s[38:39], s[20:21]
	s_cbranch_execz .LBB69_53
.LBB69_69:                              ;   in Loop: Header=BB69_43 Depth=1
	ds_read_b32 v9, v4 offset:40996
	s_waitcnt lgkmcnt(0)
	v_add_u32_e32 v7, v9, v7
	s_or_b64 exec, exec, s[38:39]
	s_and_saveexec_b64 s[38:39], s[22:23]
	s_cbranch_execnz .LBB69_54
.LBB69_70:                              ;   in Loop: Header=BB69_43 Depth=1
	s_or_b64 exec, exec, s[38:39]
	s_and_saveexec_b64 s[38:39], s[24:25]
	s_cbranch_execz .LBB69_55
.LBB69_71:                              ;   in Loop: Header=BB69_43 Depth=1
	ds_read_b32 v9, v4 offset:41004
	s_waitcnt lgkmcnt(0)
	v_add_u32_e32 v7, v9, v7
	s_or_b64 exec, exec, s[38:39]
	s_and_saveexec_b64 s[38:39], s[26:27]
	s_cbranch_execnz .LBB69_56
.LBB69_72:                              ;   in Loop: Header=BB69_43 Depth=1
	s_or_b64 exec, exec, s[38:39]
	s_and_saveexec_b64 s[38:39], s[28:29]
	s_cbranch_execz .LBB69_57
.LBB69_73:                              ;   in Loop: Header=BB69_43 Depth=1
	ds_read_b32 v9, v4 offset:41012
	s_waitcnt lgkmcnt(0)
	v_add_u32_e32 v7, v9, v7
	s_or_b64 exec, exec, s[38:39]
	s_and_saveexec_b64 s[38:39], s[30:31]
	s_cbranch_execnz .LBB69_58
.LBB69_74:                              ;   in Loop: Header=BB69_43 Depth=1
	s_or_b64 exec, exec, s[38:39]
	s_and_saveexec_b64 s[38:39], vcc
	s_cbranch_execz .LBB69_59
.LBB69_75:                              ;   in Loop: Header=BB69_43 Depth=1
	scratch_load_dwordx4 v[10:13], off, off
	v_add3_u32 v9, v6, -1, v7
	v_add_u32_e32 v14, v6, v7
	v_lshl_add_u32 v9, v9, 2, 0
	v_lshl_add_u32 v14, v14, 4, 0
	v_add_u32_e32 v14, 0x1ff0, v14
	ds_write_b32 v9, v8
	s_waitcnt vmcnt(0)
	ds_write2_b64 v14, v[10:11], v[12:13] offset1:1
	s_or_b64 exec, exec, s[38:39]
	s_and_saveexec_b64 s[38:39], s[0:1]
	s_cbranch_execz .LBB69_42
.LBB69_76:                              ;   in Loop: Header=BB69_43 Depth=1
	ds_write_b32 v4, v7 offset:41020
	s_branch .LBB69_42
.LBB69_77:
	s_or_b64 exec, exec, s[36:37]
	s_ashr_i32 s49, s48, 31
	s_lshl_b64 s[0:1], s[48:49], 2
	s_add_u32 s2, s42, s0
	s_addc_u32 s3, s43, s1
	s_load_dwordx2 s[0:1], s[2:3], 0x0
	s_waitcnt lgkmcnt(0)
	s_sub_i32 s14, s1, s0
	v_cmp_gt_i32_e32 vcc, s14, v0
	s_and_saveexec_b64 s[2:3], vcc
	s_cbranch_execz .LBB69_91
; %bb.78:
	s_sub_i32 s8, s0, s46
	v_sub_co_u32_e64 v1, s[0:1], s14, 2
	s_nop 0
	v_readfirstlane_b32 s2, v1
	s_lshr_b32 s2, s2, 1
	s_add_i32 s2, s2, 1
	s_xor_b64 s[0:1], s[0:1], -1
	s_and_b32 s15, s14, -2
	s_and_b32 s3, s2, 7
	s_and_b32 s16, s2, -8
	s_cmp_lg_u32 s3, 0
	v_cmp_lt_u32_e32 vcc, 13, v1
	s_cselect_b64 s[4:5], -1, 0
	s_cmp_lg_u32 s14, s15
	v_cndmask_b32_e64 v1, 0, 1, vcc
	s_cselect_b64 s[10:11], -1, 0
	s_lshl_b32 s17, s3, 3
	v_cndmask_b32_e64 v2, 0, 1, s[0:1]
	v_cmp_ne_u32_e64 s[2:3], 1, v1
	v_cndmask_b32_e64 v1, 0, 1, s[4:5]
	s_mov_b32 s9, 0
	s_mov_b64 s[12:13], 0
	v_cmp_ne_u32_e64 s[0:1], 1, v2
	v_cmp_ne_u32_e64 s[4:5], 1, v1
	s_movk_i32 s18, 0x2000
	s_branch .LBB69_80
.LBB69_79:                              ;   in Loop: Header=BB69_80 Depth=1
	v_mul_lo_u32 v3, v0, 12
	v_add3_u32 v1, v1, v3, s18
	s_waitcnt lgkmcnt(0)
	ds_read2_b64 v[4:7], v1 offset1:1
	v_add_u32_e32 v0, 0x400, v0
	v_ashrrev_i32_e32 v3, 31, v2
	v_cmp_le_i32_e32 vcc, s14, v0
	v_lshl_add_u64 v[2:3], v[2:3], 4, s[34:35]
	s_or_b64 s[12:13], vcc, s[12:13]
	s_waitcnt lgkmcnt(0)
	global_store_dwordx4 v[2:3], v[4:7], off
	s_andn2_b64 exec, exec, s[12:13]
	s_cbranch_execz .LBB69_91
.LBB69_80:                              ; =>This Loop Header: Depth=1
                                        ;     Child Loop BB69_83 Depth 2
                                        ;     Child Loop BB69_86 Depth 2
	;; [unrolled: 1-line block ×3, first 2 shown]
	v_lshl_add_u32 v1, v0, 2, 0
	ds_read_b32 v4, v1
	s_and_b64 vcc, exec, s[0:1]
	v_mov_b32_e32 v2, s8
	s_mov_b32 s19, 0
	s_mov_b64 s[6:7], -1
	s_cbranch_vccnz .LBB69_88
; %bb.81:                               ;   in Loop: Header=BB69_80 Depth=1
	s_and_b64 vcc, exec, s[2:3]
	v_mov_b64_e32 v[2:3], s[8:9]
	s_cbranch_vccnz .LBB69_84
; %bb.82:                               ;   in Loop: Header=BB69_80 Depth=1
	s_mov_b32 s20, 0
	v_mov_b32_e32 v2, s8
	v_mov_b32_e32 v3, 0
	s_mov_b32 s21, s16
.LBB69_83:                              ;   Parent Loop BB69_80 Depth=1
                                        ; =>  This Inner Loop Header: Depth=2
	v_mov_b32_e32 v5, s20
	ds_read2_b32 v[6:7], v5 offset1:1
	ds_read2_b32 v[8:9], v5 offset0:2 offset1:3
	ds_read2_b32 v[10:11], v5 offset0:4 offset1:5
	;; [unrolled: 1-line block ×7, first 2 shown]
	s_waitcnt lgkmcnt(7)
	v_cmp_gt_i32_e32 vcc, v4, v7
	s_waitcnt lgkmcnt(5)
	v_cmp_gt_i32_e64 s[6:7], v4, v10
	s_add_i32 s19, s19, 16
	v_cndmask_b32_e64 v5, 0, 1, vcc
	v_cmp_gt_i32_e32 vcc, v4, v6
	v_cndmask_b32_e64 v7, 0, 1, s[6:7]
	v_cmp_gt_i32_e64 s[6:7], v4, v11
	v_cndmask_b32_e64 v6, 0, 1, vcc
	v_cmp_gt_i32_e32 vcc, v4, v9
	v_cndmask_b32_e64 v9, 0, 1, s[6:7]
	s_waitcnt lgkmcnt(3)
	v_cmp_gt_i32_e64 s[6:7], v4, v15
	v_addc_co_u32_e32 v3, vcc, v3, v5, vcc
	s_nop 0
	v_cndmask_b32_e64 v10, 0, 1, s[6:7]
	v_cmp_gt_i32_e64 s[6:7], v4, v14
	v_cmp_gt_i32_e32 vcc, v4, v12
	s_add_i32 s20, s20, 64
	v_cndmask_b32_e64 v11, 0, 1, s[6:7]
	s_waitcnt lgkmcnt(1)
	v_cmp_gt_i32_e64 s[6:7], v4, v18
	s_add_i32 s21, s21, -8
	s_cmp_lg_u32 s21, 0
	v_cndmask_b32_e64 v14, 0, 1, s[6:7]
	v_cmp_gt_i32_e64 s[6:7], v4, v19
	s_nop 1
	v_cndmask_b32_e64 v15, 0, 1, s[6:7]
	v_cmp_gt_i32_e64 s[6:7], v4, v8
	s_nop 1
	v_addc_co_u32_e64 v2, s[6:7], v2, v6, s[6:7]
	v_cmp_gt_i32_e64 s[6:7], v4, v13
	v_addc_co_u32_e32 v2, vcc, v2, v7, vcc
	s_nop 0
	v_addc_co_u32_e64 v3, s[6:7], v3, v9, s[6:7]
	v_cmp_gt_i32_e32 vcc, v4, v17
	v_cmp_gt_i32_e64 s[6:7], v4, v16
	s_nop 0
	v_addc_co_u32_e32 v3, vcc, v3, v10, vcc
	v_addc_co_u32_e64 v2, s[6:7], v2, v11, s[6:7]
	s_waitcnt lgkmcnt(0)
	v_cmp_gt_i32_e32 vcc, v4, v20
	v_cmp_gt_i32_e64 s[6:7], v4, v21
	s_nop 0
	v_addc_co_u32_e32 v2, vcc, v2, v14, vcc
	v_addc_co_u32_e64 v3, s[6:7], v3, v15, s[6:7]
	s_cbranch_scc1 .LBB69_83
.LBB69_84:                              ;   in Loop: Header=BB69_80 Depth=1
	s_and_b64 vcc, exec, s[4:5]
	s_cbranch_vccnz .LBB69_87
; %bb.85:                               ;   in Loop: Header=BB69_80 Depth=1
	s_lshl_b32 s6, s19, 2
	s_add_i32 s6, s6, 0
	s_mov_b32 s7, s17
.LBB69_86:                              ;   Parent Loop BB69_80 Depth=1
                                        ; =>  This Inner Loop Header: Depth=2
	v_mov_b32_e32 v5, s6
	ds_read2_b32 v[6:7], v5 offset1:1
	s_add_i32 s6, s6, 8
	s_add_i32 s7, s7, -8
	s_cmp_lg_u32 s7, 0
	s_waitcnt lgkmcnt(0)
	v_cmp_gt_i32_e32 vcc, v4, v7
	s_nop 1
	v_addc_co_u32_e32 v3, vcc, 0, v3, vcc
	v_cmp_gt_i32_e32 vcc, v4, v6
	s_nop 1
	v_addc_co_u32_e32 v2, vcc, 0, v2, vcc
	s_cbranch_scc1 .LBB69_86
.LBB69_87:                              ;   in Loop: Header=BB69_80 Depth=1
	v_add_u32_e32 v2, v2, v3
	s_mov_b32 s19, s15
	s_mov_b64 s[6:7], s[10:11]
.LBB69_88:                              ;   in Loop: Header=BB69_80 Depth=1
	s_and_b64 vcc, exec, s[6:7]
	s_cbranch_vccz .LBB69_79
; %bb.89:                               ;   in Loop: Header=BB69_80 Depth=1
	s_lshl_b32 s6, s19, 2
	s_add_i32 s6, s6, 0
.LBB69_90:                              ;   Parent Loop BB69_80 Depth=1
                                        ; =>  This Inner Loop Header: Depth=2
	v_mov_b32_e32 v3, s6
	ds_read_b32 v3, v3
	s_add_i32 s19, s19, 1
	s_add_i32 s6, s6, 4
	s_cmp_ge_i32 s19, s14
	s_waitcnt lgkmcnt(0)
	v_cmp_gt_i32_e32 vcc, v4, v3
	s_nop 1
	v_addc_co_u32_e32 v2, vcc, 0, v2, vcc
	s_cbranch_scc0 .LBB69_90
	s_branch .LBB69_79
.LBB69_91:
	s_endpgm
	.section	.rodata,"a",@progbits
	.p2align	6, 0x0
	.amdhsa_kernel _ZN9rocsparseL41csrgemm_numeric_fill_block_per_row_kernelILj1024ELj32ELj2048ELj137ELj64Eii21rocsparse_complex_numIdEEEvT5_PKS3_S5_NS_24const_host_device_scalarIT6_EEPKT4_S5_PKS7_SB_S5_SD_S8_SB_S5_SD_SB_S5_PS7_21rocsparse_index_base_SF_SF_SF_bbb
		.amdhsa_group_segment_fixed_size 0
		.amdhsa_private_segment_fixed_size 40
		.amdhsa_kernarg_size 172
		.amdhsa_user_sgpr_count 2
		.amdhsa_user_sgpr_dispatch_ptr 0
		.amdhsa_user_sgpr_queue_ptr 0
		.amdhsa_user_sgpr_kernarg_segment_ptr 1
		.amdhsa_user_sgpr_dispatch_id 0
		.amdhsa_user_sgpr_kernarg_preload_length 0
		.amdhsa_user_sgpr_kernarg_preload_offset 0
		.amdhsa_user_sgpr_private_segment_size 0
		.amdhsa_uses_dynamic_stack 0
		.amdhsa_enable_private_segment 1
		.amdhsa_system_sgpr_workgroup_id_x 1
		.amdhsa_system_sgpr_workgroup_id_y 0
		.amdhsa_system_sgpr_workgroup_id_z 0
		.amdhsa_system_sgpr_workgroup_info 0
		.amdhsa_system_vgpr_workitem_id 0
		.amdhsa_next_free_vgpr 28
		.amdhsa_next_free_sgpr 50
		.amdhsa_accum_offset 28
		.amdhsa_reserve_vcc 1
		.amdhsa_float_round_mode_32 0
		.amdhsa_float_round_mode_16_64 0
		.amdhsa_float_denorm_mode_32 3
		.amdhsa_float_denorm_mode_16_64 3
		.amdhsa_dx10_clamp 1
		.amdhsa_ieee_mode 1
		.amdhsa_fp16_overflow 0
		.amdhsa_tg_split 0
		.amdhsa_exception_fp_ieee_invalid_op 0
		.amdhsa_exception_fp_denorm_src 0
		.amdhsa_exception_fp_ieee_div_zero 0
		.amdhsa_exception_fp_ieee_overflow 0
		.amdhsa_exception_fp_ieee_underflow 0
		.amdhsa_exception_fp_ieee_inexact 0
		.amdhsa_exception_int_div_zero 0
	.end_amdhsa_kernel
	.section	.text._ZN9rocsparseL41csrgemm_numeric_fill_block_per_row_kernelILj1024ELj32ELj2048ELj137ELj64Eii21rocsparse_complex_numIdEEEvT5_PKS3_S5_NS_24const_host_device_scalarIT6_EEPKT4_S5_PKS7_SB_S5_SD_S8_SB_S5_SD_SB_S5_PS7_21rocsparse_index_base_SF_SF_SF_bbb,"axG",@progbits,_ZN9rocsparseL41csrgemm_numeric_fill_block_per_row_kernelILj1024ELj32ELj2048ELj137ELj64Eii21rocsparse_complex_numIdEEEvT5_PKS3_S5_NS_24const_host_device_scalarIT6_EEPKT4_S5_PKS7_SB_S5_SD_S8_SB_S5_SD_SB_S5_PS7_21rocsparse_index_base_SF_SF_SF_bbb,comdat
.Lfunc_end69:
	.size	_ZN9rocsparseL41csrgemm_numeric_fill_block_per_row_kernelILj1024ELj32ELj2048ELj137ELj64Eii21rocsparse_complex_numIdEEEvT5_PKS3_S5_NS_24const_host_device_scalarIT6_EEPKT4_S5_PKS7_SB_S5_SD_S8_SB_S5_SD_SB_S5_PS7_21rocsparse_index_base_SF_SF_SF_bbb, .Lfunc_end69-_ZN9rocsparseL41csrgemm_numeric_fill_block_per_row_kernelILj1024ELj32ELj2048ELj137ELj64Eii21rocsparse_complex_numIdEEEvT5_PKS3_S5_NS_24const_host_device_scalarIT6_EEPKT4_S5_PKS7_SB_S5_SD_S8_SB_S5_SD_SB_S5_PS7_21rocsparse_index_base_SF_SF_SF_bbb
                                        ; -- End function
	.set _ZN9rocsparseL41csrgemm_numeric_fill_block_per_row_kernelILj1024ELj32ELj2048ELj137ELj64Eii21rocsparse_complex_numIdEEEvT5_PKS3_S5_NS_24const_host_device_scalarIT6_EEPKT4_S5_PKS7_SB_S5_SD_S8_SB_S5_SD_SB_S5_PS7_21rocsparse_index_base_SF_SF_SF_bbb.num_vgpr, 28
	.set _ZN9rocsparseL41csrgemm_numeric_fill_block_per_row_kernelILj1024ELj32ELj2048ELj137ELj64Eii21rocsparse_complex_numIdEEEvT5_PKS3_S5_NS_24const_host_device_scalarIT6_EEPKT4_S5_PKS7_SB_S5_SD_S8_SB_S5_SD_SB_S5_PS7_21rocsparse_index_base_SF_SF_SF_bbb.num_agpr, 0
	.set _ZN9rocsparseL41csrgemm_numeric_fill_block_per_row_kernelILj1024ELj32ELj2048ELj137ELj64Eii21rocsparse_complex_numIdEEEvT5_PKS3_S5_NS_24const_host_device_scalarIT6_EEPKT4_S5_PKS7_SB_S5_SD_S8_SB_S5_SD_SB_S5_PS7_21rocsparse_index_base_SF_SF_SF_bbb.numbered_sgpr, 50
	.set _ZN9rocsparseL41csrgemm_numeric_fill_block_per_row_kernelILj1024ELj32ELj2048ELj137ELj64Eii21rocsparse_complex_numIdEEEvT5_PKS3_S5_NS_24const_host_device_scalarIT6_EEPKT4_S5_PKS7_SB_S5_SD_S8_SB_S5_SD_SB_S5_PS7_21rocsparse_index_base_SF_SF_SF_bbb.num_named_barrier, 0
	.set _ZN9rocsparseL41csrgemm_numeric_fill_block_per_row_kernelILj1024ELj32ELj2048ELj137ELj64Eii21rocsparse_complex_numIdEEEvT5_PKS3_S5_NS_24const_host_device_scalarIT6_EEPKT4_S5_PKS7_SB_S5_SD_S8_SB_S5_SD_SB_S5_PS7_21rocsparse_index_base_SF_SF_SF_bbb.private_seg_size, 40
	.set _ZN9rocsparseL41csrgemm_numeric_fill_block_per_row_kernelILj1024ELj32ELj2048ELj137ELj64Eii21rocsparse_complex_numIdEEEvT5_PKS3_S5_NS_24const_host_device_scalarIT6_EEPKT4_S5_PKS7_SB_S5_SD_S8_SB_S5_SD_SB_S5_PS7_21rocsparse_index_base_SF_SF_SF_bbb.uses_vcc, 1
	.set _ZN9rocsparseL41csrgemm_numeric_fill_block_per_row_kernelILj1024ELj32ELj2048ELj137ELj64Eii21rocsparse_complex_numIdEEEvT5_PKS3_S5_NS_24const_host_device_scalarIT6_EEPKT4_S5_PKS7_SB_S5_SD_S8_SB_S5_SD_SB_S5_PS7_21rocsparse_index_base_SF_SF_SF_bbb.uses_flat_scratch, 0
	.set _ZN9rocsparseL41csrgemm_numeric_fill_block_per_row_kernelILj1024ELj32ELj2048ELj137ELj64Eii21rocsparse_complex_numIdEEEvT5_PKS3_S5_NS_24const_host_device_scalarIT6_EEPKT4_S5_PKS7_SB_S5_SD_S8_SB_S5_SD_SB_S5_PS7_21rocsparse_index_base_SF_SF_SF_bbb.has_dyn_sized_stack, 0
	.set _ZN9rocsparseL41csrgemm_numeric_fill_block_per_row_kernelILj1024ELj32ELj2048ELj137ELj64Eii21rocsparse_complex_numIdEEEvT5_PKS3_S5_NS_24const_host_device_scalarIT6_EEPKT4_S5_PKS7_SB_S5_SD_S8_SB_S5_SD_SB_S5_PS7_21rocsparse_index_base_SF_SF_SF_bbb.has_recursion, 0
	.set _ZN9rocsparseL41csrgemm_numeric_fill_block_per_row_kernelILj1024ELj32ELj2048ELj137ELj64Eii21rocsparse_complex_numIdEEEvT5_PKS3_S5_NS_24const_host_device_scalarIT6_EEPKT4_S5_PKS7_SB_S5_SD_S8_SB_S5_SD_SB_S5_PS7_21rocsparse_index_base_SF_SF_SF_bbb.has_indirect_call, 0
	.section	.AMDGPU.csdata,"",@progbits
; Kernel info:
; codeLenInByte = 3452
; TotalNumSgprs: 56
; NumVgprs: 28
; NumAgprs: 0
; TotalNumVgprs: 28
; ScratchSize: 40
; MemoryBound: 0
; FloatMode: 240
; IeeeMode: 1
; LDSByteSize: 0 bytes/workgroup (compile time only)
; SGPRBlocks: 6
; VGPRBlocks: 3
; NumSGPRsForWavesPerEU: 56
; NumVGPRsForWavesPerEU: 28
; AccumOffset: 28
; Occupancy: 8
; WaveLimiterHint : 1
; COMPUTE_PGM_RSRC2:SCRATCH_EN: 1
; COMPUTE_PGM_RSRC2:USER_SGPR: 2
; COMPUTE_PGM_RSRC2:TRAP_HANDLER: 0
; COMPUTE_PGM_RSRC2:TGID_X_EN: 1
; COMPUTE_PGM_RSRC2:TGID_Y_EN: 0
; COMPUTE_PGM_RSRC2:TGID_Z_EN: 0
; COMPUTE_PGM_RSRC2:TIDIG_COMP_CNT: 0
; COMPUTE_PGM_RSRC3_GFX90A:ACCUM_OFFSET: 6
; COMPUTE_PGM_RSRC3_GFX90A:TG_SPLIT: 0
	.section	.text._ZN9rocsparseL41csrgemm_numeric_fill_block_per_row_kernelILj1024ELj64ELj4096ELj137ELj32Eii21rocsparse_complex_numIdEEEvT5_PKS3_S5_NS_24const_host_device_scalarIT6_EEPKT4_S5_PKS7_SB_S5_SD_S8_SB_S5_SD_SB_S5_PS7_21rocsparse_index_base_SF_SF_SF_bbb,"axG",@progbits,_ZN9rocsparseL41csrgemm_numeric_fill_block_per_row_kernelILj1024ELj64ELj4096ELj137ELj32Eii21rocsparse_complex_numIdEEEvT5_PKS3_S5_NS_24const_host_device_scalarIT6_EEPKT4_S5_PKS7_SB_S5_SD_S8_SB_S5_SD_SB_S5_PS7_21rocsparse_index_base_SF_SF_SF_bbb,comdat
	.globl	_ZN9rocsparseL41csrgemm_numeric_fill_block_per_row_kernelILj1024ELj64ELj4096ELj137ELj32Eii21rocsparse_complex_numIdEEEvT5_PKS3_S5_NS_24const_host_device_scalarIT6_EEPKT4_S5_PKS7_SB_S5_SD_S8_SB_S5_SD_SB_S5_PS7_21rocsparse_index_base_SF_SF_SF_bbb ; -- Begin function _ZN9rocsparseL41csrgemm_numeric_fill_block_per_row_kernelILj1024ELj64ELj4096ELj137ELj32Eii21rocsparse_complex_numIdEEEvT5_PKS3_S5_NS_24const_host_device_scalarIT6_EEPKT4_S5_PKS7_SB_S5_SD_S8_SB_S5_SD_SB_S5_PS7_21rocsparse_index_base_SF_SF_SF_bbb
	.p2align	8
	.type	_ZN9rocsparseL41csrgemm_numeric_fill_block_per_row_kernelILj1024ELj64ELj4096ELj137ELj32Eii21rocsparse_complex_numIdEEEvT5_PKS3_S5_NS_24const_host_device_scalarIT6_EEPKT4_S5_PKS7_SB_S5_SD_S8_SB_S5_SD_SB_S5_PS7_21rocsparse_index_base_SF_SF_SF_bbb,@function
_ZN9rocsparseL41csrgemm_numeric_fill_block_per_row_kernelILj1024ELj64ELj4096ELj137ELj32Eii21rocsparse_complex_numIdEEEvT5_PKS3_S5_NS_24const_host_device_scalarIT6_EEPKT4_S5_PKS7_SB_S5_SD_S8_SB_S5_SD_SB_S5_PS7_21rocsparse_index_base_SF_SF_SF_bbb: ; @_ZN9rocsparseL41csrgemm_numeric_fill_block_per_row_kernelILj1024ELj64ELj4096ELj137ELj32Eii21rocsparse_complex_numIdEEEvT5_PKS3_S5_NS_24const_host_device_scalarIT6_EEPKT4_S5_PKS7_SB_S5_SD_S8_SB_S5_SD_SB_S5_PS7_21rocsparse_index_base_SF_SF_SF_bbb
; %bb.0:
	s_load_dword s3, s[0:1], 0xa8
	s_load_dwordx4 s[68:71], s[0:1], 0x98
	s_load_dwordx4 s[8:11], s[0:1], 0x18
	;; [unrolled: 1-line block ×3, first 2 shown]
	v_mov_b64_e32 v[6:7], 0
	s_waitcnt lgkmcnt(0)
	s_bitcmp1_b32 s3, 0
	s_cselect_b64 s[28:29], -1, 0
	s_bitcmp1_b32 s3, 16
	s_cselect_b64 s[30:31], -1, 0
	s_xor_b64 s[4:5], s[30:31], -1
	v_mov_b64_e32 v[2:3], s[8:9]
	v_cndmask_b32_e64 v1, 0, 1, s[4:5]
	scratch_store_dwordx2 off, v[2:3], off offset:16
	v_mov_b64_e32 v[2:3], s[24:25]
	s_bitcmp0_b32 s3, 0
	v_cmp_ne_u32_e64 s[4:5], 1, v1
	v_mov_b64_e32 v[10:11], 0
	v_mov_b64_e32 v[12:13], 0
	scratch_store_dwordx2 off, v[2:3], off offset:24
	s_cbranch_scc1 .LBB70_3
; %bb.1:
	s_mov_b64 s[6:7], src_private_base
	s_and_b64 s[12:13], s[30:31], exec
	s_cselect_b32 s6, s7, s9
	s_cselect_b32 s7, 16, s8
	v_mov_b32_e32 v2, s7
	v_mov_b32_e32 v3, s6
	flat_load_dwordx2 v[10:11], v[2:3]
	s_and_b64 vcc, exec, s[4:5]
	v_mov_b64_e32 v[12:13], s[10:11]
	s_cbranch_vccnz .LBB70_3
; %bb.2:
	v_mov_b64_e32 v[2:3], s[8:9]
	flat_load_dwordx2 v[12:13], v[2:3] offset:8
.LBB70_3:
	s_load_dwordx2 s[6:7], s[0:1], 0x90
	s_load_dwordx8 s[8:15], s[0:1], 0x68
                                        ; implicit-def: $vgpr28 : SGPR spill to VGPR lane
	s_bitcmp1_b32 s3, 8
	v_mov_b64_e32 v[8:9], 0
	s_waitcnt lgkmcnt(0)
	v_writelane_b32 v28, s6, 0
	s_nop 1
	v_writelane_b32 v28, s7, 1
	v_writelane_b32 v28, s8, 2
	s_cselect_b64 s[6:7], -1, 0
	s_bfe_u32 s3, s3, 0x10008
	v_writelane_b32 v28, s9, 3
	v_writelane_b32 v28, s10, 4
	;; [unrolled: 1-line block ×7, first 2 shown]
	s_load_dwordx4 s[16:19], s[0:1], 0x48
	s_load_dwordx4 s[20:23], s[0:1], 0x8
	s_load_dwordx8 s[8:15], s[0:1], 0x28
	s_cmp_eq_u32 s3, 0
	s_cbranch_scc1 .LBB70_6
; %bb.4:
	s_mov_b64 s[34:35], src_private_base
	s_and_b64 s[30:31], s[30:31], exec
	s_cselect_b32 s3, s35, s25
	s_cselect_b32 s30, 24, s24
	v_mov_b32_e32 v2, s30
	v_mov_b32_e32 v3, s3
	flat_load_dwordx2 v[8:9], v[2:3]
	s_and_b64 vcc, exec, s[4:5]
	v_mov_b64_e32 v[6:7], s[26:27]
	s_cbranch_vccnz .LBB70_6
; %bb.5:
	v_mov_b64_e32 v[2:3], s[24:25]
	flat_load_dwordx2 v[6:7], v[2:3] offset:8
.LBB70_6:
	s_load_dword s33, s[0:1], 0x0
	s_mov_b32 s4, 0
	v_lshl_add_u32 v1, v0, 4, 0
	v_add_u32_e32 v1, 0x4000, v1
	v_or_b32_e32 v22, 0xfffffc00, v0
	v_lshl_add_u32 v23, v0, 2, 0
	s_mov_b32 s5, s4
	s_mov_b32 s24, s4
	;; [unrolled: 1-line block ×3, first 2 shown]
	s_mov_b64 s[0:1], 0
	s_waitcnt lgkmcnt(0)
	v_mov_b32_e32 v17, s33
	v_mov_b64_e32 v[2:3], s[4:5]
	v_mov_b64_e32 v[4:5], s[24:25]
	s_movk_i32 s3, 0xbff
	v_mov_b32_e32 v14, v23
	v_mov_b32_e32 v15, v22
	;; [unrolled: 1-line block ×3, first 2 shown]
.LBB70_7:                               ; =>This Inner Loop Header: Depth=1
	v_add_u32_e32 v15, 0x400, v15
	v_cmp_lt_u32_e32 vcc, s3, v15
	ds_write_b32 v14, v17
	ds_write2_b64 v16, v[2:3], v[4:5] offset1:1
	v_add_u32_e32 v16, 0x4000, v16
	s_or_b64 s[0:1], vcc, s[0:1]
	v_add_u32_e32 v14, 0x1000, v14
	s_andn2_b64 exec, exec, s[0:1]
	s_cbranch_execnz .LBB70_7
; %bb.8:
	s_or_b64 exec, exec, s[0:1]
	s_waitcnt lgkmcnt(0)
	s_barrier
	s_load_dword s0, s[20:21], 0x0
	s_mov_b32 s1, 0
	s_waitcnt lgkmcnt(0)
	s_add_i32 s0, s0, s2
	s_lshl_b64 s[0:1], s[0:1], 2
	s_add_u32 s0, s22, s0
	s_addc_u32 s1, s23, s1
	s_load_dword s0, s[0:1], 0x0
	s_and_b64 vcc, exec, s[28:29]
	s_waitcnt lgkmcnt(0)
	v_writelane_b32 v28, s0, 10
	s_nop 1
	v_writelane_b32 v28, s1, 11
	s_cbranch_vccz .LBB70_26
; %bb.9:
	v_readlane_b32 s0, v28, 10
	v_readlane_b32 s1, v28, 11
	s_mov_b32 s2, s0
	s_ashr_i32 s3, s0, 31
	v_writelane_b32 v28, s0, 10
	v_lshrrev_b32_e32 v2, 6, v0
	v_subrev_u32_e32 v2, s68, v2
	v_writelane_b32 v28, s1, 11
	s_lshl_b64 s[0:1], s[2:3], 2
	s_add_u32 s0, s8, s0
	s_addc_u32 s1, s9, s1
	s_load_dwordx2 s[2:3], s[0:1], 0x0
	s_waitcnt lgkmcnt(0)
	s_sub_i32 s30, s3, s68
	v_add_u32_e32 v14, s2, v2
	v_cmp_gt_i32_e32 vcc, s30, v14
	s_and_saveexec_b64 s[0:1], vcc
	s_cbranch_execz .LBB70_25
; %bb.10:
	v_and_b32_e32 v2, 63, v0
	v_subrev_u32_e32 v24, s69, v2
	s_mov_b64 s[2:3], 0
	s_movk_i32 s31, 0x89
	s_branch .LBB70_12
.LBB70_11:                              ;   in Loop: Header=BB70_12 Depth=1
	s_or_b64 exec, exec, s[4:5]
	v_add_u32_e32 v14, 16, v14
	v_cmp_le_i32_e32 vcc, s30, v14
	s_or_b64 s[2:3], vcc, s[2:3]
	s_andn2_b64 exec, exec, s[2:3]
	s_cbranch_execz .LBB70_25
.LBB70_12:                              ; =>This Loop Header: Depth=1
                                        ;     Child Loop BB70_16 Depth 2
                                        ;       Child Loop BB70_19 Depth 3
	v_ashrrev_i32_e32 v15, 31, v14
	v_lshl_add_u64 v[2:3], v[14:15], 2, s[10:11]
	global_load_dword v2, v[2:3], off
	s_waitcnt vmcnt(0)
	v_subrev_u32_e32 v2, s68, v2
	v_ashrrev_i32_e32 v3, 31, v2
	v_lshl_add_u64 v[2:3], v[2:3], 2, s[14:15]
	global_load_dwordx2 v[2:3], v[2:3], off
	s_waitcnt vmcnt(0)
	v_subrev_u32_e32 v25, s69, v3
	v_add_u32_e32 v16, v2, v24
	v_cmp_lt_i32_e32 vcc, v16, v25
	s_and_saveexec_b64 s[4:5], vcc
	s_cbranch_execz .LBB70_11
; %bb.13:                               ;   in Loop: Header=BB70_12 Depth=1
	v_lshl_add_u64 v[2:3], v[14:15], 4, s[12:13]
	global_load_dwordx4 v[2:5], v[2:3], off
	s_mov_b64 s[8:9], 0
	s_waitcnt vmcnt(0)
	v_mul_f64 v[18:19], v[4:5], -v[12:13]
	v_mul_f64 v[20:21], v[10:11], v[4:5]
	v_fmac_f64_e32 v[18:19], v[10:11], v[2:3]
	v_fmac_f64_e32 v[20:21], v[12:13], v[2:3]
	s_branch .LBB70_16
.LBB70_14:                              ;   in Loop: Header=BB70_16 Depth=2
	s_or_b64 exec, exec, s[22:23]
.LBB70_15:                              ;   in Loop: Header=BB70_16 Depth=2
	s_or_b64 exec, exec, s[20:21]
	s_waitcnt vmcnt(0)
	v_mul_f64 v[26:27], v[4:5], -v[20:21]
	v_mul_f64 v[4:5], v[18:19], v[4:5]
	v_fmac_f64_e32 v[26:27], v[18:19], v[2:3]
	v_fmac_f64_e32 v[4:5], v[20:21], v[2:3]
	v_lshl_add_u32 v2, v15, 4, 0
	ds_add_f64 v2, v[26:27] offset:16384
	ds_add_f64 v2, v[4:5] offset:16392
	v_add_u32_e32 v16, 64, v16
	v_cmp_ge_i32_e32 vcc, v16, v25
	s_or_b64 s[8:9], vcc, s[8:9]
	s_andn2_b64 exec, exec, s[8:9]
	s_cbranch_execz .LBB70_11
.LBB70_16:                              ;   Parent Loop BB70_12 Depth=1
                                        ; =>  This Loop Header: Depth=2
                                        ;       Child Loop BB70_19 Depth 3
	v_ashrrev_i32_e32 v17, 31, v16
	v_lshl_add_u64 v[2:3], v[16:17], 2, s[16:17]
	global_load_dword v15, v[2:3], off
	v_lshl_add_u64 v[2:3], v[16:17], 4, s[18:19]
	global_load_dwordx4 v[2:5], v[2:3], off
	s_waitcnt vmcnt(1)
	v_subrev_u32_e32 v17, s69, v15
	v_mul_lo_u32 v15, v17, s31
	v_and_b32_e32 v15, 0xfff, v15
	v_lshl_add_u32 v26, v15, 2, 0
	ds_read_b32 v27, v26
	s_waitcnt lgkmcnt(0)
	v_cmp_ne_u32_e32 vcc, v27, v17
	s_and_saveexec_b64 s[20:21], vcc
	s_cbranch_execz .LBB70_15
; %bb.17:                               ;   in Loop: Header=BB70_16 Depth=2
	s_mov_b64 s[22:23], 0
	s_branch .LBB70_19
.LBB70_18:                              ;   in Loop: Header=BB70_19 Depth=3
	s_or_b64 exec, exec, s[28:29]
	s_and_b64 s[24:25], exec, s[26:27]
	s_or_b64 s[22:23], s[24:25], s[22:23]
	s_andn2_b64 exec, exec, s[22:23]
	s_cbranch_execz .LBB70_14
.LBB70_19:                              ;   Parent Loop BB70_12 Depth=1
                                        ;     Parent Loop BB70_16 Depth=2
                                        ; =>    This Inner Loop Header: Depth=3
	v_cmp_ne_u32_e32 vcc, s33, v27
	s_mov_b64 s[24:25], 0
	s_and_saveexec_b64 s[26:27], vcc
	s_xor_b64 s[26:27], exec, s[26:27]
	s_cbranch_execz .LBB70_21
; %bb.20:                               ;   in Loop: Header=BB70_19 Depth=3
	v_add_u32_e32 v15, 1, v15
	s_mov_b64 s[24:25], exec
	v_and_b32_e32 v15, 0xfff, v15
                                        ; implicit-def: $vgpr26
	s_andn2_saveexec_b64 s[26:27], s[26:27]
	s_cbranch_execz .LBB70_23
	s_branch .LBB70_22
.LBB70_21:                              ;   in Loop: Header=BB70_19 Depth=3
	s_andn2_saveexec_b64 s[26:27], s[26:27]
	s_cbranch_execz .LBB70_23
.LBB70_22:                              ;   in Loop: Header=BB70_19 Depth=3
	v_mov_b32_e32 v27, s33
	ds_cmpst_rtn_b32 v26, v26, v27, v17
	s_andn2_b64 s[24:25], s[24:25], exec
	s_waitcnt lgkmcnt(0)
	v_cmp_ne_u32_e32 vcc, s33, v26
	s_and_b64 s[28:29], vcc, exec
	s_or_b64 s[24:25], s[24:25], s[28:29]
.LBB70_23:                              ;   in Loop: Header=BB70_19 Depth=3
	s_or_b64 exec, exec, s[26:27]
	s_mov_b64 s[26:27], -1
                                        ; implicit-def: $vgpr26
                                        ; implicit-def: $vgpr27
	s_and_saveexec_b64 s[28:29], s[24:25]
	s_cbranch_execz .LBB70_18
; %bb.24:                               ;   in Loop: Header=BB70_19 Depth=3
	v_lshl_add_u32 v26, v15, 2, 0
	ds_read_b32 v27, v26
	s_waitcnt lgkmcnt(0)
	v_cmp_eq_u32_e32 vcc, v27, v17
	s_orn2_b64 s[26:27], vcc, exec
	s_branch .LBB70_18
.LBB70_25:
	s_or_b64 exec, exec, s[0:1]
.LBB70_26:
	s_andn2_b64 vcc, exec, s[6:7]
	s_cbranch_vccnz .LBB70_41
; %bb.27:
	v_readlane_b32 s0, v28, 10
	v_readlane_b32 s1, v28, 11
	s_mov_b32 s2, s0
	s_ashr_i32 s3, s0, 31
	v_writelane_b32 v28, s0, 10
	v_subrev_u32_e32 v2, s71, v0
	s_nop 0
	v_writelane_b32 v28, s1, 11
	s_lshl_b64 s[0:1], s[2:3], 2
	v_readlane_b32 s4, v28, 2
	v_readlane_b32 s5, v28, 3
	s_add_u32 s0, s4, s0
	s_addc_u32 s1, s5, s1
	s_load_dwordx2 s[2:3], s[0:1], 0x0
	v_readlane_b32 s6, v28, 4
	v_readlane_b32 s7, v28, 5
	;; [unrolled: 1-line block ×4, first 2 shown]
	s_waitcnt lgkmcnt(0)
	s_sub_i32 s14, s3, s71
	s_waitcnt vmcnt(0)
	v_add_u32_e32 v10, s2, v2
	v_cmp_gt_i32_e32 vcc, s14, v10
	v_readlane_b32 s10, v28, 8
	v_readlane_b32 s11, v28, 9
	s_and_saveexec_b64 s[0:1], vcc
	s_cbranch_execz .LBB70_40
; %bb.28:
	s_mov_b64 s[2:3], 0
	s_movk_i32 s15, 0x89
	s_branch .LBB70_31
.LBB70_29:                              ;   in Loop: Header=BB70_31 Depth=1
	s_or_b64 exec, exec, s[6:7]
.LBB70_30:                              ;   in Loop: Header=BB70_31 Depth=1
	s_or_b64 exec, exec, s[4:5]
	s_waitcnt vmcnt(0)
	v_mul_f64 v[12:13], v[4:5], -v[6:7]
	v_mul_f64 v[4:5], v[8:9], v[4:5]
	v_fmac_f64_e32 v[12:13], v[8:9], v[2:3]
	v_fmac_f64_e32 v[4:5], v[6:7], v[2:3]
	v_lshl_add_u32 v2, v11, 4, 0
	ds_add_f64 v2, v[12:13] offset:16384
	ds_add_f64 v2, v[4:5] offset:16392
	v_add_u32_e32 v10, 0x400, v10
	v_cmp_le_i32_e32 vcc, s14, v10
	s_or_b64 s[2:3], vcc, s[2:3]
	s_andn2_b64 exec, exec, s[2:3]
	s_cbranch_execz .LBB70_40
.LBB70_31:                              ; =>This Loop Header: Depth=1
                                        ;     Child Loop BB70_34 Depth 2
	v_readlane_b32 s4, v28, 2
	v_ashrrev_i32_e32 v11, 31, v10
	v_readlane_b32 s6, v28, 4
	v_readlane_b32 s7, v28, 5
	;; [unrolled: 1-line block ×4, first 2 shown]
	v_lshl_add_u64 v[2:3], v[10:11], 2, s[6:7]
	global_load_dword v12, v[2:3], off
	v_lshl_add_u64 v[2:3], v[10:11], 4, s[8:9]
	global_load_dwordx4 v[2:5], v[2:3], off
	v_readlane_b32 s5, v28, 3
	v_readlane_b32 s10, v28, 8
	;; [unrolled: 1-line block ×3, first 2 shown]
	s_waitcnt vmcnt(1)
	v_subrev_u32_e32 v12, s71, v12
	v_mul_lo_u32 v11, v12, s15
	v_and_b32_e32 v11, 0xfff, v11
	v_lshl_add_u32 v13, v11, 2, 0
	ds_read_b32 v14, v13
	s_waitcnt lgkmcnt(0)
	v_cmp_ne_u32_e32 vcc, v14, v12
	s_and_saveexec_b64 s[4:5], vcc
	s_cbranch_execz .LBB70_30
; %bb.32:                               ;   in Loop: Header=BB70_31 Depth=1
	s_mov_b64 s[6:7], 0
	s_branch .LBB70_34
.LBB70_33:                              ;   in Loop: Header=BB70_34 Depth=2
	s_or_b64 exec, exec, s[12:13]
	s_and_b64 s[8:9], exec, s[10:11]
	s_or_b64 s[6:7], s[8:9], s[6:7]
	s_andn2_b64 exec, exec, s[6:7]
	s_cbranch_execz .LBB70_29
.LBB70_34:                              ;   Parent Loop BB70_31 Depth=1
                                        ; =>  This Inner Loop Header: Depth=2
	v_cmp_ne_u32_e32 vcc, s33, v14
	s_mov_b64 s[8:9], 0
	s_and_saveexec_b64 s[10:11], vcc
	s_xor_b64 s[10:11], exec, s[10:11]
	s_cbranch_execz .LBB70_36
; %bb.35:                               ;   in Loop: Header=BB70_34 Depth=2
	v_add_u32_e32 v11, 1, v11
	s_mov_b64 s[8:9], exec
	v_and_b32_e32 v11, 0xfff, v11
                                        ; implicit-def: $vgpr13
	s_andn2_saveexec_b64 s[10:11], s[10:11]
	s_cbranch_execz .LBB70_38
	s_branch .LBB70_37
.LBB70_36:                              ;   in Loop: Header=BB70_34 Depth=2
	s_andn2_saveexec_b64 s[10:11], s[10:11]
	s_cbranch_execz .LBB70_38
.LBB70_37:                              ;   in Loop: Header=BB70_34 Depth=2
	v_mov_b32_e32 v14, s33
	ds_cmpst_rtn_b32 v13, v13, v14, v12
	s_andn2_b64 s[8:9], s[8:9], exec
	s_waitcnt lgkmcnt(0)
	v_cmp_ne_u32_e32 vcc, s33, v13
	s_and_b64 s[12:13], vcc, exec
	s_or_b64 s[8:9], s[8:9], s[12:13]
.LBB70_38:                              ;   in Loop: Header=BB70_34 Depth=2
	s_or_b64 exec, exec, s[10:11]
	s_mov_b64 s[10:11], -1
                                        ; implicit-def: $vgpr13
                                        ; implicit-def: $vgpr14
	s_and_saveexec_b64 s[12:13], s[8:9]
	s_cbranch_execz .LBB70_33
; %bb.39:                               ;   in Loop: Header=BB70_34 Depth=2
	v_lshl_add_u32 v13, v11, 2, 0
	ds_read_b32 v14, v13
	s_waitcnt lgkmcnt(0)
	v_cmp_eq_u32_e32 vcc, v14, v12
	s_orn2_b64 s[10:11], vcc, exec
	s_branch .LBB70_33
.LBB70_40:
	s_or_b64 exec, exec, s[0:1]
.LBB70_41:
	s_add_i32 s0, 0, 0x14000
	v_lshrrev_b32_e32 v4, 3, v0
	v_writelane_b32 v28, s0, 12
	s_add_i32 s60, 0, 0x14004
	v_mbcnt_lo_u32_b32 v2, -1, 0
	v_and_b32_e32 v4, 0x7c, v4
	v_writelane_b32 v28, s60, 13
	s_add_i32 s60, 0, 0x14008
	v_mbcnt_hi_u32_b32 v2, -1, v2
	v_add_u32_e32 v4, s0, v4
	s_movk_i32 s0, 0x3ff
	v_writelane_b32 v28, s60, 14
	s_add_i32 s60, 0, 0x1400c
	v_sub_u32_e32 v2, 63, v2
	v_cmp_eq_u32_e32 vcc, s0, v0
	s_movk_i32 s0, 0x5f
	s_movk_i32 s2, 0x7f
	;; [unrolled: 1-line block ×29, first 2 shown]
	v_writelane_b32 v28, s60, 15
	s_add_i32 s60, 0, 0x14014
	v_lshrrev_b64 v[2:3], v2, -1
	v_cmp_lt_u32_e64 s[0:1], s0, v0
	v_cmp_lt_u32_e64 s[2:3], s2, v0
	v_cmp_lt_u32_e64 s[4:5], s4, v0
	v_cmp_lt_u32_e64 s[6:7], s6, v0
	v_cmp_lt_u32_e64 s[8:9], s8, v0
	v_cmp_lt_u32_e64 s[10:11], s10, v0
	v_cmp_lt_u32_e64 s[12:13], s12, v0
	v_cmp_lt_u32_e64 s[14:15], s14, v0
	v_cmp_lt_u32_e64 s[16:17], s16, v0
	v_cmp_lt_u32_e64 s[18:19], s18, v0
	v_cmp_lt_u32_e64 s[20:21], s20, v0
	v_cmp_lt_u32_e64 s[22:23], s22, v0
	v_cmp_lt_u32_e64 s[24:25], s24, v0
	v_cmp_lt_u32_e64 s[26:27], s26, v0
	v_cmp_lt_u32_e64 s[28:29], s28, v0
	v_cmp_lt_u32_e64 s[30:31], s30, v0
	v_cmp_lt_u32_e64 s[34:35], s34, v0
	v_cmp_lt_u32_e64 s[36:37], s36, v0
	v_cmp_lt_u32_e64 s[38:39], s38, v0
	v_cmp_lt_u32_e64 s[40:41], s40, v0
	v_cmp_lt_u32_e64 s[42:43], s42, v0
	v_cmp_lt_u32_e64 s[44:45], s44, v0
	v_cmp_lt_u32_e64 s[46:47], s46, v0
	v_cmp_lt_u32_e64 s[48:49], s48, v0
	v_cmp_lt_u32_e64 s[50:51], s50, v0
	v_cmp_lt_u32_e64 s[52:53], s52, v0
	v_cmp_lt_u32_e64 s[54:55], s54, v0
	v_cmp_lt_u32_e64 s[56:57], s56, v0
	v_cmp_lt_u32_e64 s[58:59], s58, v0
	v_mov_b32_e32 v5, 0
	s_add_i32 s79, 0, 0x14010
	v_writelane_b32 v28, s60, 16
	s_add_i32 s82, 0, 0x14018
	s_add_i32 s83, 0, 0x1401c
	;; [unrolled: 1-line block ×26, first 2 shown]
	v_cmp_lt_u32_e64 s[60:61], 31, v0
	v_cmp_lt_u32_e64 s[62:63], 63, v0
	s_mov_b64 s[68:69], 0
	s_waitcnt lgkmcnt(0)
	s_barrier
	s_branch .LBB70_43
.LBB70_42:                              ;   in Loop: Header=BB70_43 Depth=1
	s_or_b64 exec, exec, s[64:65]
	v_mov_b32_e32 v6, s78
	s_waitcnt lgkmcnt(0)
	s_barrier
	ds_read_b32 v6, v6
	v_add_u32_e32 v22, 0x400, v22
	s_movk_i32 s64, 0xbff
	v_cmp_lt_u32_e64 s[64:65], s64, v22
	v_add_u32_e32 v1, 0x4000, v1
	s_waitcnt lgkmcnt(0)
	v_add_u32_e32 v5, v6, v5
	s_or_b64 s[68:69], s[64:65], s[68:69]
	v_add_u32_e32 v23, 0x1000, v23
	s_andn2_b64 exec, exec, s[68:69]
	s_cbranch_execz .LBB70_109
.LBB70_43:                              ; =>This Inner Loop Header: Depth=1
	s_waitcnt vmcnt(0)
	ds_read2_b64 v[8:11], v1 offset1:1
	ds_read_b32 v7, v23
	s_waitcnt lgkmcnt(1)
	scratch_store_dwordx4 off, v[8:11], off
	s_waitcnt lgkmcnt(0)
	v_cmp_gt_i32_e64 s[64:65], s33, v7
	s_bcnt1_i32_b64 s76, s[64:65]
	s_nop 0
	v_and_b32_e32 v8, s64, v2
	v_and_b32_e32 v6, s65, v3
	v_bcnt_u32_b32 v8, v8, 0
	v_bcnt_u32_b32 v6, v6, v8
	v_mov_b32_e32 v8, s76
	s_barrier
	ds_write_b32 v4, v8
	s_waitcnt lgkmcnt(0)
	s_barrier
	s_and_saveexec_b64 s[76:77], s[60:61]
	s_cbranch_execz .LBB70_76
; %bb.44:                               ;   in Loop: Header=BB70_43 Depth=1
	v_readlane_b32 s80, v28, 12
	s_nop 1
	v_mov_b32_e32 v8, s80
	ds_read_b32 v8, v8
	s_waitcnt lgkmcnt(0)
	v_add_u32_e32 v6, v8, v6
	s_or_b64 exec, exec, s[76:77]
	s_and_saveexec_b64 s[76:77], s[62:63]
	s_cbranch_execnz .LBB70_77
.LBB70_45:                              ;   in Loop: Header=BB70_43 Depth=1
	s_or_b64 exec, exec, s[76:77]
	s_and_saveexec_b64 s[76:77], s[0:1]
	s_cbranch_execz .LBB70_78
.LBB70_46:                              ;   in Loop: Header=BB70_43 Depth=1
	v_readlane_b32 s80, v28, 14
	s_nop 1
	v_mov_b32_e32 v8, s80
	ds_read_b32 v8, v8
	s_waitcnt lgkmcnt(0)
	v_add_u32_e32 v6, v8, v6
	s_or_b64 exec, exec, s[76:77]
	s_and_saveexec_b64 s[76:77], s[2:3]
	s_cbranch_execnz .LBB70_79
.LBB70_47:                              ;   in Loop: Header=BB70_43 Depth=1
	s_or_b64 exec, exec, s[76:77]
	s_and_saveexec_b64 s[76:77], s[4:5]
	s_cbranch_execz .LBB70_80
.LBB70_48:                              ;   in Loop: Header=BB70_43 Depth=1
	v_mov_b32_e32 v8, s79
	ds_read_b32 v8, v8
	s_waitcnt lgkmcnt(0)
	v_add_u32_e32 v6, v8, v6
	s_or_b64 exec, exec, s[76:77]
	s_and_saveexec_b64 s[76:77], s[6:7]
	s_cbranch_execnz .LBB70_81
.LBB70_49:                              ;   in Loop: Header=BB70_43 Depth=1
	s_or_b64 exec, exec, s[76:77]
	s_and_saveexec_b64 s[76:77], s[8:9]
	s_cbranch_execz .LBB70_82
.LBB70_50:                              ;   in Loop: Header=BB70_43 Depth=1
	v_mov_b32_e32 v8, s82
	ds_read_b32 v8, v8
	s_waitcnt lgkmcnt(0)
	v_add_u32_e32 v6, v8, v6
	s_or_b64 exec, exec, s[76:77]
	s_and_saveexec_b64 s[76:77], s[10:11]
	s_cbranch_execnz .LBB70_83
.LBB70_51:                              ;   in Loop: Header=BB70_43 Depth=1
	s_or_b64 exec, exec, s[76:77]
	s_and_saveexec_b64 s[76:77], s[12:13]
	s_cbranch_execz .LBB70_84
.LBB70_52:                              ;   in Loop: Header=BB70_43 Depth=1
	v_mov_b32_e32 v8, s84
	ds_read_b32 v8, v8
	s_waitcnt lgkmcnt(0)
	v_add_u32_e32 v6, v8, v6
	s_or_b64 exec, exec, s[76:77]
	s_and_saveexec_b64 s[76:77], s[14:15]
	s_cbranch_execnz .LBB70_85
.LBB70_53:                              ;   in Loop: Header=BB70_43 Depth=1
	s_or_b64 exec, exec, s[76:77]
	s_and_saveexec_b64 s[76:77], s[16:17]
	s_cbranch_execz .LBB70_86
.LBB70_54:                              ;   in Loop: Header=BB70_43 Depth=1
	v_mov_b32_e32 v8, s86
	ds_read_b32 v8, v8
	s_waitcnt lgkmcnt(0)
	v_add_u32_e32 v6, v8, v6
	s_or_b64 exec, exec, s[76:77]
	s_and_saveexec_b64 s[76:77], s[18:19]
	s_cbranch_execnz .LBB70_87
.LBB70_55:                              ;   in Loop: Header=BB70_43 Depth=1
	s_or_b64 exec, exec, s[76:77]
	s_and_saveexec_b64 s[76:77], s[20:21]
	s_cbranch_execz .LBB70_88
.LBB70_56:                              ;   in Loop: Header=BB70_43 Depth=1
	v_mov_b32_e32 v8, s88
	ds_read_b32 v8, v8
	s_waitcnt lgkmcnt(0)
	v_add_u32_e32 v6, v8, v6
	s_or_b64 exec, exec, s[76:77]
	s_and_saveexec_b64 s[76:77], s[22:23]
	s_cbranch_execnz .LBB70_89
.LBB70_57:                              ;   in Loop: Header=BB70_43 Depth=1
	s_or_b64 exec, exec, s[76:77]
	s_and_saveexec_b64 s[76:77], s[24:25]
	s_cbranch_execz .LBB70_90
.LBB70_58:                              ;   in Loop: Header=BB70_43 Depth=1
	v_mov_b32_e32 v8, s90
	ds_read_b32 v8, v8
	s_waitcnt lgkmcnt(0)
	v_add_u32_e32 v6, v8, v6
	s_or_b64 exec, exec, s[76:77]
	s_and_saveexec_b64 s[76:77], s[26:27]
	s_cbranch_execnz .LBB70_91
.LBB70_59:                              ;   in Loop: Header=BB70_43 Depth=1
	s_or_b64 exec, exec, s[76:77]
	s_and_saveexec_b64 s[76:77], s[28:29]
	s_cbranch_execz .LBB70_92
.LBB70_60:                              ;   in Loop: Header=BB70_43 Depth=1
	v_mov_b32_e32 v8, s92
	ds_read_b32 v8, v8
	s_waitcnt lgkmcnt(0)
	v_add_u32_e32 v6, v8, v6
	s_or_b64 exec, exec, s[76:77]
	s_and_saveexec_b64 s[76:77], s[30:31]
	s_cbranch_execnz .LBB70_93
.LBB70_61:                              ;   in Loop: Header=BB70_43 Depth=1
	s_or_b64 exec, exec, s[76:77]
	s_and_saveexec_b64 s[76:77], s[34:35]
	s_cbranch_execz .LBB70_94
.LBB70_62:                              ;   in Loop: Header=BB70_43 Depth=1
	v_mov_b32_e32 v8, s94
	ds_read_b32 v8, v8
	s_waitcnt lgkmcnt(0)
	v_add_u32_e32 v6, v8, v6
	s_or_b64 exec, exec, s[76:77]
	s_and_saveexec_b64 s[76:77], s[36:37]
	s_cbranch_execnz .LBB70_95
.LBB70_63:                              ;   in Loop: Header=BB70_43 Depth=1
	s_or_b64 exec, exec, s[76:77]
	s_and_saveexec_b64 s[76:77], s[38:39]
	s_cbranch_execz .LBB70_96
.LBB70_64:                              ;   in Loop: Header=BB70_43 Depth=1
	v_mov_b32_e32 v8, s96
	ds_read_b32 v8, v8
	s_waitcnt lgkmcnt(0)
	v_add_u32_e32 v6, v8, v6
	s_or_b64 exec, exec, s[76:77]
	s_and_saveexec_b64 s[76:77], s[40:41]
	s_cbranch_execnz .LBB70_97
.LBB70_65:                              ;   in Loop: Header=BB70_43 Depth=1
	s_or_b64 exec, exec, s[76:77]
	s_and_saveexec_b64 s[76:77], s[42:43]
	s_cbranch_execz .LBB70_98
.LBB70_66:                              ;   in Loop: Header=BB70_43 Depth=1
	v_mov_b32_e32 v8, s98
	ds_read_b32 v8, v8
	s_waitcnt lgkmcnt(0)
	v_add_u32_e32 v6, v8, v6
	s_or_b64 exec, exec, s[76:77]
	s_and_saveexec_b64 s[76:77], s[44:45]
	s_cbranch_execnz .LBB70_99
.LBB70_67:                              ;   in Loop: Header=BB70_43 Depth=1
	s_or_b64 exec, exec, s[76:77]
	s_and_saveexec_b64 s[76:77], s[46:47]
	s_cbranch_execz .LBB70_100
.LBB70_68:                              ;   in Loop: Header=BB70_43 Depth=1
	v_mov_b32_e32 v8, s74
	ds_read_b32 v8, v8
	s_waitcnt lgkmcnt(0)
	v_add_u32_e32 v6, v8, v6
	s_or_b64 exec, exec, s[76:77]
	s_and_saveexec_b64 s[76:77], s[48:49]
	s_cbranch_execnz .LBB70_101
.LBB70_69:                              ;   in Loop: Header=BB70_43 Depth=1
	s_or_b64 exec, exec, s[76:77]
	s_and_saveexec_b64 s[76:77], s[50:51]
	s_cbranch_execz .LBB70_102
.LBB70_70:                              ;   in Loop: Header=BB70_43 Depth=1
	v_mov_b32_e32 v8, s73
	ds_read_b32 v8, v8
	s_waitcnt lgkmcnt(0)
	v_add_u32_e32 v6, v8, v6
	s_or_b64 exec, exec, s[76:77]
	s_and_saveexec_b64 s[76:77], s[52:53]
	s_cbranch_execnz .LBB70_103
.LBB70_71:                              ;   in Loop: Header=BB70_43 Depth=1
	s_or_b64 exec, exec, s[76:77]
	s_and_saveexec_b64 s[76:77], s[54:55]
	s_cbranch_execz .LBB70_104
.LBB70_72:                              ;   in Loop: Header=BB70_43 Depth=1
	v_mov_b32_e32 v8, s67
	ds_read_b32 v8, v8
	s_waitcnt lgkmcnt(0)
	v_add_u32_e32 v6, v8, v6
	s_or_b64 exec, exec, s[76:77]
	s_and_saveexec_b64 s[76:77], s[56:57]
	s_cbranch_execnz .LBB70_105
.LBB70_73:                              ;   in Loop: Header=BB70_43 Depth=1
	s_or_b64 exec, exec, s[76:77]
	s_and_saveexec_b64 s[76:77], s[58:59]
	s_cbranch_execz .LBB70_106
.LBB70_74:                              ;   in Loop: Header=BB70_43 Depth=1
	v_mov_b32_e32 v8, s75
	ds_read_b32 v8, v8
	s_waitcnt lgkmcnt(0)
	v_add_u32_e32 v6, v8, v6
	s_or_b64 exec, exec, s[76:77]
	s_and_saveexec_b64 s[76:77], s[64:65]
	s_cbranch_execnz .LBB70_107
.LBB70_75:                              ;   in Loop: Header=BB70_43 Depth=1
	s_or_b64 exec, exec, s[76:77]
	s_and_saveexec_b64 s[64:65], vcc
	s_cbranch_execz .LBB70_42
	s_branch .LBB70_108
.LBB70_76:                              ;   in Loop: Header=BB70_43 Depth=1
	s_or_b64 exec, exec, s[76:77]
	s_and_saveexec_b64 s[76:77], s[62:63]
	s_cbranch_execz .LBB70_45
.LBB70_77:                              ;   in Loop: Header=BB70_43 Depth=1
	v_readlane_b32 s80, v28, 13
	s_nop 1
	v_mov_b32_e32 v8, s80
	ds_read_b32 v8, v8
	s_waitcnt lgkmcnt(0)
	v_add_u32_e32 v6, v8, v6
	s_or_b64 exec, exec, s[76:77]
	s_and_saveexec_b64 s[76:77], s[0:1]
	s_cbranch_execnz .LBB70_46
.LBB70_78:                              ;   in Loop: Header=BB70_43 Depth=1
	s_or_b64 exec, exec, s[76:77]
	s_and_saveexec_b64 s[76:77], s[2:3]
	s_cbranch_execz .LBB70_47
.LBB70_79:                              ;   in Loop: Header=BB70_43 Depth=1
	v_readlane_b32 s80, v28, 15
	s_nop 1
	v_mov_b32_e32 v8, s80
	ds_read_b32 v8, v8
	s_waitcnt lgkmcnt(0)
	v_add_u32_e32 v6, v8, v6
	s_or_b64 exec, exec, s[76:77]
	s_and_saveexec_b64 s[76:77], s[4:5]
	s_cbranch_execnz .LBB70_48
.LBB70_80:                              ;   in Loop: Header=BB70_43 Depth=1
	s_or_b64 exec, exec, s[76:77]
	s_and_saveexec_b64 s[76:77], s[6:7]
	s_cbranch_execz .LBB70_49
.LBB70_81:                              ;   in Loop: Header=BB70_43 Depth=1
	v_readlane_b32 s80, v28, 16
	s_nop 1
	v_mov_b32_e32 v8, s80
	ds_read_b32 v8, v8
	s_waitcnt lgkmcnt(0)
	v_add_u32_e32 v6, v8, v6
	s_or_b64 exec, exec, s[76:77]
	s_and_saveexec_b64 s[76:77], s[8:9]
	s_cbranch_execnz .LBB70_50
.LBB70_82:                              ;   in Loop: Header=BB70_43 Depth=1
	s_or_b64 exec, exec, s[76:77]
	s_and_saveexec_b64 s[76:77], s[10:11]
	s_cbranch_execz .LBB70_51
.LBB70_83:                              ;   in Loop: Header=BB70_43 Depth=1
	v_mov_b32_e32 v8, s83
	ds_read_b32 v8, v8
	s_waitcnt lgkmcnt(0)
	v_add_u32_e32 v6, v8, v6
	s_or_b64 exec, exec, s[76:77]
	s_and_saveexec_b64 s[76:77], s[12:13]
	s_cbranch_execnz .LBB70_52
.LBB70_84:                              ;   in Loop: Header=BB70_43 Depth=1
	s_or_b64 exec, exec, s[76:77]
	s_and_saveexec_b64 s[76:77], s[14:15]
	s_cbranch_execz .LBB70_53
.LBB70_85:                              ;   in Loop: Header=BB70_43 Depth=1
	v_mov_b32_e32 v8, s85
	ds_read_b32 v8, v8
	s_waitcnt lgkmcnt(0)
	v_add_u32_e32 v6, v8, v6
	s_or_b64 exec, exec, s[76:77]
	s_and_saveexec_b64 s[76:77], s[16:17]
	s_cbranch_execnz .LBB70_54
.LBB70_86:                              ;   in Loop: Header=BB70_43 Depth=1
	s_or_b64 exec, exec, s[76:77]
	s_and_saveexec_b64 s[76:77], s[18:19]
	s_cbranch_execz .LBB70_55
.LBB70_87:                              ;   in Loop: Header=BB70_43 Depth=1
	v_mov_b32_e32 v8, s87
	ds_read_b32 v8, v8
	s_waitcnt lgkmcnt(0)
	v_add_u32_e32 v6, v8, v6
	s_or_b64 exec, exec, s[76:77]
	s_and_saveexec_b64 s[76:77], s[20:21]
	s_cbranch_execnz .LBB70_56
.LBB70_88:                              ;   in Loop: Header=BB70_43 Depth=1
	s_or_b64 exec, exec, s[76:77]
	s_and_saveexec_b64 s[76:77], s[22:23]
	s_cbranch_execz .LBB70_57
.LBB70_89:                              ;   in Loop: Header=BB70_43 Depth=1
	v_mov_b32_e32 v8, s89
	ds_read_b32 v8, v8
	s_waitcnt lgkmcnt(0)
	v_add_u32_e32 v6, v8, v6
	s_or_b64 exec, exec, s[76:77]
	s_and_saveexec_b64 s[76:77], s[24:25]
	s_cbranch_execnz .LBB70_58
.LBB70_90:                              ;   in Loop: Header=BB70_43 Depth=1
	s_or_b64 exec, exec, s[76:77]
	s_and_saveexec_b64 s[76:77], s[26:27]
	s_cbranch_execz .LBB70_59
.LBB70_91:                              ;   in Loop: Header=BB70_43 Depth=1
	v_mov_b32_e32 v8, s91
	ds_read_b32 v8, v8
	s_waitcnt lgkmcnt(0)
	v_add_u32_e32 v6, v8, v6
	s_or_b64 exec, exec, s[76:77]
	s_and_saveexec_b64 s[76:77], s[28:29]
	s_cbranch_execnz .LBB70_60
.LBB70_92:                              ;   in Loop: Header=BB70_43 Depth=1
	s_or_b64 exec, exec, s[76:77]
	s_and_saveexec_b64 s[76:77], s[30:31]
	s_cbranch_execz .LBB70_61
.LBB70_93:                              ;   in Loop: Header=BB70_43 Depth=1
	v_mov_b32_e32 v8, s93
	ds_read_b32 v8, v8
	s_waitcnt lgkmcnt(0)
	v_add_u32_e32 v6, v8, v6
	s_or_b64 exec, exec, s[76:77]
	s_and_saveexec_b64 s[76:77], s[34:35]
	s_cbranch_execnz .LBB70_62
.LBB70_94:                              ;   in Loop: Header=BB70_43 Depth=1
	s_or_b64 exec, exec, s[76:77]
	s_and_saveexec_b64 s[76:77], s[36:37]
	s_cbranch_execz .LBB70_63
.LBB70_95:                              ;   in Loop: Header=BB70_43 Depth=1
	v_mov_b32_e32 v8, s95
	ds_read_b32 v8, v8
	s_waitcnt lgkmcnt(0)
	v_add_u32_e32 v6, v8, v6
	s_or_b64 exec, exec, s[76:77]
	s_and_saveexec_b64 s[76:77], s[38:39]
	s_cbranch_execnz .LBB70_64
.LBB70_96:                              ;   in Loop: Header=BB70_43 Depth=1
	s_or_b64 exec, exec, s[76:77]
	s_and_saveexec_b64 s[76:77], s[40:41]
	s_cbranch_execz .LBB70_65
.LBB70_97:                              ;   in Loop: Header=BB70_43 Depth=1
	v_mov_b32_e32 v8, s97
	ds_read_b32 v8, v8
	s_waitcnt lgkmcnt(0)
	v_add_u32_e32 v6, v8, v6
	s_or_b64 exec, exec, s[76:77]
	s_and_saveexec_b64 s[76:77], s[42:43]
	s_cbranch_execnz .LBB70_66
.LBB70_98:                              ;   in Loop: Header=BB70_43 Depth=1
	s_or_b64 exec, exec, s[76:77]
	s_and_saveexec_b64 s[76:77], s[44:45]
	s_cbranch_execz .LBB70_67
.LBB70_99:                              ;   in Loop: Header=BB70_43 Depth=1
	v_mov_b32_e32 v8, s99
	ds_read_b32 v8, v8
	s_waitcnt lgkmcnt(0)
	v_add_u32_e32 v6, v8, v6
	s_or_b64 exec, exec, s[76:77]
	s_and_saveexec_b64 s[76:77], s[46:47]
	s_cbranch_execnz .LBB70_68
.LBB70_100:                             ;   in Loop: Header=BB70_43 Depth=1
	s_or_b64 exec, exec, s[76:77]
	s_and_saveexec_b64 s[76:77], s[48:49]
	s_cbranch_execz .LBB70_69
.LBB70_101:                             ;   in Loop: Header=BB70_43 Depth=1
	v_mov_b32_e32 v8, s72
	ds_read_b32 v8, v8
	s_waitcnt lgkmcnt(0)
	v_add_u32_e32 v6, v8, v6
	s_or_b64 exec, exec, s[76:77]
	s_and_saveexec_b64 s[76:77], s[50:51]
	s_cbranch_execnz .LBB70_70
.LBB70_102:                             ;   in Loop: Header=BB70_43 Depth=1
	s_or_b64 exec, exec, s[76:77]
	s_and_saveexec_b64 s[76:77], s[52:53]
	s_cbranch_execz .LBB70_71
.LBB70_103:                             ;   in Loop: Header=BB70_43 Depth=1
	v_mov_b32_e32 v8, s66
	ds_read_b32 v8, v8
	s_waitcnt lgkmcnt(0)
	v_add_u32_e32 v6, v8, v6
	s_or_b64 exec, exec, s[76:77]
	s_and_saveexec_b64 s[76:77], s[54:55]
	s_cbranch_execnz .LBB70_72
.LBB70_104:                             ;   in Loop: Header=BB70_43 Depth=1
	s_or_b64 exec, exec, s[76:77]
	s_and_saveexec_b64 s[76:77], s[56:57]
	s_cbranch_execz .LBB70_73
.LBB70_105:                             ;   in Loop: Header=BB70_43 Depth=1
	v_mov_b32_e32 v8, s71
	ds_read_b32 v8, v8
	s_waitcnt lgkmcnt(0)
	v_add_u32_e32 v6, v8, v6
	s_or_b64 exec, exec, s[76:77]
	s_and_saveexec_b64 s[76:77], s[58:59]
	s_cbranch_execnz .LBB70_74
.LBB70_106:                             ;   in Loop: Header=BB70_43 Depth=1
	s_or_b64 exec, exec, s[76:77]
	s_and_saveexec_b64 s[76:77], s[64:65]
	s_cbranch_execz .LBB70_75
.LBB70_107:                             ;   in Loop: Header=BB70_43 Depth=1
	scratch_load_dwordx4 v[8:11], off, off
	v_add3_u32 v12, v5, -1, v6
	v_add_u32_e32 v13, v5, v6
	v_lshl_add_u32 v12, v12, 2, 0
	v_lshl_add_u32 v13, v13, 4, 0
	v_add_u32_e32 v13, 0x3ff0, v13
	ds_write_b32 v12, v7
	s_waitcnt vmcnt(0)
	ds_write2_b64 v13, v[8:9], v[10:11] offset1:1
	s_or_b64 exec, exec, s[76:77]
	s_and_saveexec_b64 s[64:65], vcc
	s_cbranch_execz .LBB70_42
.LBB70_108:                             ;   in Loop: Header=BB70_43 Depth=1
	v_mov_b32_e32 v7, s78
	ds_write_b32 v7, v6
	s_branch .LBB70_42
.LBB70_109:
	s_or_b64 exec, exec, s[68:69]
	v_readlane_b32 s0, v28, 10
	v_readlane_b32 s1, v28, 11
	;; [unrolled: 1-line block ×3, first 2 shown]
	s_ashr_i32 s1, s0, 31
	v_readlane_b32 s6, v28, 4
	v_readlane_b32 s7, v28, 5
	;; [unrolled: 1-line block ×4, first 2 shown]
	s_lshl_b64 s[0:1], s[0:1], 2
	s_mov_b64 s[6:7], s[10:11]
	s_add_u32 s2, s6, s0
	s_addc_u32 s3, s7, s1
	s_load_dwordx2 s[0:1], s[2:3], 0x0
	v_readlane_b32 s5, v28, 3
	v_readlane_b32 s8, v28, 6
	;; [unrolled: 1-line block ×3, first 2 shown]
	s_waitcnt lgkmcnt(0)
	s_sub_i32 s14, s1, s0
	v_cmp_gt_i32_e32 vcc, s14, v0
	s_and_saveexec_b64 s[2:3], vcc
	s_cbranch_execz .LBB70_123
; %bb.110:
	s_sub_i32 s8, s0, s70
	v_sub_co_u32_e64 v1, s[0:1], s14, 2
	s_nop 0
	v_readfirstlane_b32 s2, v1
	s_lshr_b32 s2, s2, 1
	s_add_i32 s2, s2, 1
	s_xor_b64 s[0:1], s[0:1], -1
	s_and_b32 s15, s14, -2
	s_and_b32 s3, s2, 7
	s_and_b32 s16, s2, -8
	s_cmp_lg_u32 s3, 0
	v_cmp_lt_u32_e32 vcc, 13, v1
	s_cselect_b64 s[4:5], -1, 0
	s_cmp_lg_u32 s14, s15
	v_cndmask_b32_e64 v1, 0, 1, vcc
	s_cselect_b64 s[10:11], -1, 0
	s_lshl_b32 s17, s3, 3
	v_cndmask_b32_e64 v2, 0, 1, s[0:1]
	v_cmp_ne_u32_e64 s[2:3], 1, v1
	v_cndmask_b32_e64 v1, 0, 1, s[4:5]
	s_mov_b32 s9, 0
	s_mov_b64 s[12:13], 0
	v_cmp_ne_u32_e64 s[0:1], 1, v2
	v_cmp_ne_u32_e64 s[4:5], 1, v1
	s_movk_i32 s18, 0x4000
	s_branch .LBB70_112
.LBB70_111:                             ;   in Loop: Header=BB70_112 Depth=1
	v_mul_lo_u32 v3, v0, 12
	v_add3_u32 v1, v1, v3, s18
	s_waitcnt lgkmcnt(0)
	ds_read2_b64 v[4:7], v1 offset1:1
	v_readlane_b32 s6, v28, 0
	v_add_u32_e32 v0, 0x400, v0
	v_ashrrev_i32_e32 v3, 31, v2
	v_readlane_b32 s7, v28, 1
	v_cmp_le_i32_e32 vcc, s14, v0
	s_or_b64 s[12:13], vcc, s[12:13]
	v_lshl_add_u64 v[2:3], v[2:3], 4, s[6:7]
	s_waitcnt lgkmcnt(0)
	global_store_dwordx4 v[2:3], v[4:7], off
	s_andn2_b64 exec, exec, s[12:13]
	s_cbranch_execz .LBB70_123
.LBB70_112:                             ; =>This Loop Header: Depth=1
                                        ;     Child Loop BB70_115 Depth 2
                                        ;     Child Loop BB70_118 Depth 2
	;; [unrolled: 1-line block ×3, first 2 shown]
	v_lshl_add_u32 v1, v0, 2, 0
	ds_read_b32 v4, v1
	s_and_b64 vcc, exec, s[0:1]
	v_mov_b32_e32 v2, s8
	s_mov_b32 s19, 0
	s_mov_b64 s[6:7], -1
	s_cbranch_vccnz .LBB70_120
; %bb.113:                              ;   in Loop: Header=BB70_112 Depth=1
	s_and_b64 vcc, exec, s[2:3]
	v_mov_b64_e32 v[2:3], s[8:9]
	s_cbranch_vccnz .LBB70_116
; %bb.114:                              ;   in Loop: Header=BB70_112 Depth=1
	s_mov_b32 s20, 0
	v_mov_b32_e32 v2, s8
	v_mov_b32_e32 v3, 0
	s_mov_b32 s21, s16
.LBB70_115:                             ;   Parent Loop BB70_112 Depth=1
                                        ; =>  This Inner Loop Header: Depth=2
	v_mov_b32_e32 v5, s20
	ds_read2_b32 v[6:7], v5 offset1:1
	ds_read2_b32 v[8:9], v5 offset0:2 offset1:3
	ds_read2_b32 v[10:11], v5 offset0:4 offset1:5
	;; [unrolled: 1-line block ×7, first 2 shown]
	s_waitcnt lgkmcnt(7)
	v_cmp_gt_i32_e32 vcc, v4, v7
	s_waitcnt lgkmcnt(5)
	v_cmp_gt_i32_e64 s[6:7], v4, v10
	s_add_i32 s19, s19, 16
	v_cndmask_b32_e64 v5, 0, 1, vcc
	v_cmp_gt_i32_e32 vcc, v4, v6
	v_cndmask_b32_e64 v7, 0, 1, s[6:7]
	v_cmp_gt_i32_e64 s[6:7], v4, v11
	v_cndmask_b32_e64 v6, 0, 1, vcc
	v_cmp_gt_i32_e32 vcc, v4, v9
	v_cndmask_b32_e64 v9, 0, 1, s[6:7]
	s_waitcnt lgkmcnt(3)
	v_cmp_gt_i32_e64 s[6:7], v4, v15
	v_addc_co_u32_e32 v3, vcc, v3, v5, vcc
	s_nop 0
	v_cndmask_b32_e64 v10, 0, 1, s[6:7]
	v_cmp_gt_i32_e64 s[6:7], v4, v14
	v_cmp_gt_i32_e32 vcc, v4, v12
	s_add_i32 s20, s20, 64
	v_cndmask_b32_e64 v11, 0, 1, s[6:7]
	s_waitcnt lgkmcnt(1)
	v_cmp_gt_i32_e64 s[6:7], v4, v18
	s_add_i32 s21, s21, -8
	s_cmp_lg_u32 s21, 0
	v_cndmask_b32_e64 v14, 0, 1, s[6:7]
	v_cmp_gt_i32_e64 s[6:7], v4, v19
	s_nop 1
	v_cndmask_b32_e64 v15, 0, 1, s[6:7]
	v_cmp_gt_i32_e64 s[6:7], v4, v8
	s_nop 1
	v_addc_co_u32_e64 v2, s[6:7], v2, v6, s[6:7]
	v_cmp_gt_i32_e64 s[6:7], v4, v13
	v_addc_co_u32_e32 v2, vcc, v2, v7, vcc
	s_nop 0
	v_addc_co_u32_e64 v3, s[6:7], v3, v9, s[6:7]
	v_cmp_gt_i32_e32 vcc, v4, v17
	v_cmp_gt_i32_e64 s[6:7], v4, v16
	s_nop 0
	v_addc_co_u32_e32 v3, vcc, v3, v10, vcc
	v_addc_co_u32_e64 v2, s[6:7], v2, v11, s[6:7]
	s_waitcnt lgkmcnt(0)
	v_cmp_gt_i32_e32 vcc, v4, v20
	v_cmp_gt_i32_e64 s[6:7], v4, v21
	s_nop 0
	v_addc_co_u32_e32 v2, vcc, v2, v14, vcc
	v_addc_co_u32_e64 v3, s[6:7], v3, v15, s[6:7]
	s_cbranch_scc1 .LBB70_115
.LBB70_116:                             ;   in Loop: Header=BB70_112 Depth=1
	s_and_b64 vcc, exec, s[4:5]
	s_cbranch_vccnz .LBB70_119
; %bb.117:                              ;   in Loop: Header=BB70_112 Depth=1
	s_lshl_b32 s6, s19, 2
	s_add_i32 s6, s6, 0
	s_mov_b32 s7, s17
.LBB70_118:                             ;   Parent Loop BB70_112 Depth=1
                                        ; =>  This Inner Loop Header: Depth=2
	v_mov_b32_e32 v5, s6
	ds_read2_b32 v[6:7], v5 offset1:1
	s_add_i32 s6, s6, 8
	s_add_i32 s7, s7, -8
	s_cmp_lg_u32 s7, 0
	s_waitcnt lgkmcnt(0)
	v_cmp_gt_i32_e32 vcc, v4, v7
	s_nop 1
	v_addc_co_u32_e32 v3, vcc, 0, v3, vcc
	v_cmp_gt_i32_e32 vcc, v4, v6
	s_nop 1
	v_addc_co_u32_e32 v2, vcc, 0, v2, vcc
	s_cbranch_scc1 .LBB70_118
.LBB70_119:                             ;   in Loop: Header=BB70_112 Depth=1
	v_add_u32_e32 v2, v2, v3
	s_mov_b32 s19, s15
	s_mov_b64 s[6:7], s[10:11]
.LBB70_120:                             ;   in Loop: Header=BB70_112 Depth=1
	s_and_b64 vcc, exec, s[6:7]
	s_cbranch_vccz .LBB70_111
; %bb.121:                              ;   in Loop: Header=BB70_112 Depth=1
	s_lshl_b32 s6, s19, 2
	s_add_i32 s6, s6, 0
.LBB70_122:                             ;   Parent Loop BB70_112 Depth=1
                                        ; =>  This Inner Loop Header: Depth=2
	v_mov_b32_e32 v3, s6
	ds_read_b32 v3, v3
	s_add_i32 s19, s19, 1
	s_add_i32 s6, s6, 4
	s_cmp_ge_i32 s19, s14
	s_waitcnt lgkmcnt(0)
	v_cmp_gt_i32_e32 vcc, v4, v3
	s_nop 1
	v_addc_co_u32_e32 v2, vcc, 0, v2, vcc
	s_cbranch_scc0 .LBB70_122
	s_branch .LBB70_111
.LBB70_123:
	s_endpgm
	.section	.rodata,"a",@progbits
	.p2align	6, 0x0
	.amdhsa_kernel _ZN9rocsparseL41csrgemm_numeric_fill_block_per_row_kernelILj1024ELj64ELj4096ELj137ELj32Eii21rocsparse_complex_numIdEEEvT5_PKS3_S5_NS_24const_host_device_scalarIT6_EEPKT4_S5_PKS7_SB_S5_SD_S8_SB_S5_SD_SB_S5_PS7_21rocsparse_index_base_SF_SF_SF_bbb
		.amdhsa_group_segment_fixed_size 0
		.amdhsa_private_segment_fixed_size 40
		.amdhsa_kernarg_size 172
		.amdhsa_user_sgpr_count 2
		.amdhsa_user_sgpr_dispatch_ptr 0
		.amdhsa_user_sgpr_queue_ptr 0
		.amdhsa_user_sgpr_kernarg_segment_ptr 1
		.amdhsa_user_sgpr_dispatch_id 0
		.amdhsa_user_sgpr_kernarg_preload_length 0
		.amdhsa_user_sgpr_kernarg_preload_offset 0
		.amdhsa_user_sgpr_private_segment_size 0
		.amdhsa_uses_dynamic_stack 0
		.amdhsa_enable_private_segment 1
		.amdhsa_system_sgpr_workgroup_id_x 1
		.amdhsa_system_sgpr_workgroup_id_y 0
		.amdhsa_system_sgpr_workgroup_id_z 0
		.amdhsa_system_sgpr_workgroup_info 0
		.amdhsa_system_vgpr_workitem_id 0
		.amdhsa_next_free_vgpr 29
		.amdhsa_next_free_sgpr 100
		.amdhsa_accum_offset 32
		.amdhsa_reserve_vcc 1
		.amdhsa_float_round_mode_32 0
		.amdhsa_float_round_mode_16_64 0
		.amdhsa_float_denorm_mode_32 3
		.amdhsa_float_denorm_mode_16_64 3
		.amdhsa_dx10_clamp 1
		.amdhsa_ieee_mode 1
		.amdhsa_fp16_overflow 0
		.amdhsa_tg_split 0
		.amdhsa_exception_fp_ieee_invalid_op 0
		.amdhsa_exception_fp_denorm_src 0
		.amdhsa_exception_fp_ieee_div_zero 0
		.amdhsa_exception_fp_ieee_overflow 0
		.amdhsa_exception_fp_ieee_underflow 0
		.amdhsa_exception_fp_ieee_inexact 0
		.amdhsa_exception_int_div_zero 0
	.end_amdhsa_kernel
	.section	.text._ZN9rocsparseL41csrgemm_numeric_fill_block_per_row_kernelILj1024ELj64ELj4096ELj137ELj32Eii21rocsparse_complex_numIdEEEvT5_PKS3_S5_NS_24const_host_device_scalarIT6_EEPKT4_S5_PKS7_SB_S5_SD_S8_SB_S5_SD_SB_S5_PS7_21rocsparse_index_base_SF_SF_SF_bbb,"axG",@progbits,_ZN9rocsparseL41csrgemm_numeric_fill_block_per_row_kernelILj1024ELj64ELj4096ELj137ELj32Eii21rocsparse_complex_numIdEEEvT5_PKS3_S5_NS_24const_host_device_scalarIT6_EEPKT4_S5_PKS7_SB_S5_SD_S8_SB_S5_SD_SB_S5_PS7_21rocsparse_index_base_SF_SF_SF_bbb,comdat
.Lfunc_end70:
	.size	_ZN9rocsparseL41csrgemm_numeric_fill_block_per_row_kernelILj1024ELj64ELj4096ELj137ELj32Eii21rocsparse_complex_numIdEEEvT5_PKS3_S5_NS_24const_host_device_scalarIT6_EEPKT4_S5_PKS7_SB_S5_SD_S8_SB_S5_SD_SB_S5_PS7_21rocsparse_index_base_SF_SF_SF_bbb, .Lfunc_end70-_ZN9rocsparseL41csrgemm_numeric_fill_block_per_row_kernelILj1024ELj64ELj4096ELj137ELj32Eii21rocsparse_complex_numIdEEEvT5_PKS3_S5_NS_24const_host_device_scalarIT6_EEPKT4_S5_PKS7_SB_S5_SD_S8_SB_S5_SD_SB_S5_PS7_21rocsparse_index_base_SF_SF_SF_bbb
                                        ; -- End function
	.set _ZN9rocsparseL41csrgemm_numeric_fill_block_per_row_kernelILj1024ELj64ELj4096ELj137ELj32Eii21rocsparse_complex_numIdEEEvT5_PKS3_S5_NS_24const_host_device_scalarIT6_EEPKT4_S5_PKS7_SB_S5_SD_S8_SB_S5_SD_SB_S5_PS7_21rocsparse_index_base_SF_SF_SF_bbb.num_vgpr, 29
	.set _ZN9rocsparseL41csrgemm_numeric_fill_block_per_row_kernelILj1024ELj64ELj4096ELj137ELj32Eii21rocsparse_complex_numIdEEEvT5_PKS3_S5_NS_24const_host_device_scalarIT6_EEPKT4_S5_PKS7_SB_S5_SD_S8_SB_S5_SD_SB_S5_PS7_21rocsparse_index_base_SF_SF_SF_bbb.num_agpr, 0
	.set _ZN9rocsparseL41csrgemm_numeric_fill_block_per_row_kernelILj1024ELj64ELj4096ELj137ELj32Eii21rocsparse_complex_numIdEEEvT5_PKS3_S5_NS_24const_host_device_scalarIT6_EEPKT4_S5_PKS7_SB_S5_SD_S8_SB_S5_SD_SB_S5_PS7_21rocsparse_index_base_SF_SF_SF_bbb.numbered_sgpr, 100
	.set _ZN9rocsparseL41csrgemm_numeric_fill_block_per_row_kernelILj1024ELj64ELj4096ELj137ELj32Eii21rocsparse_complex_numIdEEEvT5_PKS3_S5_NS_24const_host_device_scalarIT6_EEPKT4_S5_PKS7_SB_S5_SD_S8_SB_S5_SD_SB_S5_PS7_21rocsparse_index_base_SF_SF_SF_bbb.num_named_barrier, 0
	.set _ZN9rocsparseL41csrgemm_numeric_fill_block_per_row_kernelILj1024ELj64ELj4096ELj137ELj32Eii21rocsparse_complex_numIdEEEvT5_PKS3_S5_NS_24const_host_device_scalarIT6_EEPKT4_S5_PKS7_SB_S5_SD_S8_SB_S5_SD_SB_S5_PS7_21rocsparse_index_base_SF_SF_SF_bbb.private_seg_size, 40
	.set _ZN9rocsparseL41csrgemm_numeric_fill_block_per_row_kernelILj1024ELj64ELj4096ELj137ELj32Eii21rocsparse_complex_numIdEEEvT5_PKS3_S5_NS_24const_host_device_scalarIT6_EEPKT4_S5_PKS7_SB_S5_SD_S8_SB_S5_SD_SB_S5_PS7_21rocsparse_index_base_SF_SF_SF_bbb.uses_vcc, 1
	.set _ZN9rocsparseL41csrgemm_numeric_fill_block_per_row_kernelILj1024ELj64ELj4096ELj137ELj32Eii21rocsparse_complex_numIdEEEvT5_PKS3_S5_NS_24const_host_device_scalarIT6_EEPKT4_S5_PKS7_SB_S5_SD_S8_SB_S5_SD_SB_S5_PS7_21rocsparse_index_base_SF_SF_SF_bbb.uses_flat_scratch, 0
	.set _ZN9rocsparseL41csrgemm_numeric_fill_block_per_row_kernelILj1024ELj64ELj4096ELj137ELj32Eii21rocsparse_complex_numIdEEEvT5_PKS3_S5_NS_24const_host_device_scalarIT6_EEPKT4_S5_PKS7_SB_S5_SD_S8_SB_S5_SD_SB_S5_PS7_21rocsparse_index_base_SF_SF_SF_bbb.has_dyn_sized_stack, 0
	.set _ZN9rocsparseL41csrgemm_numeric_fill_block_per_row_kernelILj1024ELj64ELj4096ELj137ELj32Eii21rocsparse_complex_numIdEEEvT5_PKS3_S5_NS_24const_host_device_scalarIT6_EEPKT4_S5_PKS7_SB_S5_SD_S8_SB_S5_SD_SB_S5_PS7_21rocsparse_index_base_SF_SF_SF_bbb.has_recursion, 0
	.set _ZN9rocsparseL41csrgemm_numeric_fill_block_per_row_kernelILj1024ELj64ELj4096ELj137ELj32Eii21rocsparse_complex_numIdEEEvT5_PKS3_S5_NS_24const_host_device_scalarIT6_EEPKT4_S5_PKS7_SB_S5_SD_S8_SB_S5_SD_SB_S5_PS7_21rocsparse_index_base_SF_SF_SF_bbb.has_indirect_call, 0
	.section	.AMDGPU.csdata,"",@progbits
; Kernel info:
; codeLenInByte = 5180
; TotalNumSgprs: 106
; NumVgprs: 29
; NumAgprs: 0
; TotalNumVgprs: 29
; ScratchSize: 40
; MemoryBound: 0
; FloatMode: 240
; IeeeMode: 1
; LDSByteSize: 0 bytes/workgroup (compile time only)
; SGPRBlocks: 13
; VGPRBlocks: 3
; NumSGPRsForWavesPerEU: 106
; NumVGPRsForWavesPerEU: 29
; AccumOffset: 32
; Occupancy: 7
; WaveLimiterHint : 1
; COMPUTE_PGM_RSRC2:SCRATCH_EN: 1
; COMPUTE_PGM_RSRC2:USER_SGPR: 2
; COMPUTE_PGM_RSRC2:TRAP_HANDLER: 0
; COMPUTE_PGM_RSRC2:TGID_X_EN: 1
; COMPUTE_PGM_RSRC2:TGID_Y_EN: 0
; COMPUTE_PGM_RSRC2:TGID_Z_EN: 0
; COMPUTE_PGM_RSRC2:TIDIG_COMP_CNT: 0
; COMPUTE_PGM_RSRC3_GFX90A:ACCUM_OFFSET: 7
; COMPUTE_PGM_RSRC3_GFX90A:TG_SPLIT: 0
	.section	.text._ZN9rocsparseL41csrgemm_numeric_fill_block_per_row_kernelILj1024ELj64ELj4096ELj137ELj64Eii21rocsparse_complex_numIdEEEvT5_PKS3_S5_NS_24const_host_device_scalarIT6_EEPKT4_S5_PKS7_SB_S5_SD_S8_SB_S5_SD_SB_S5_PS7_21rocsparse_index_base_SF_SF_SF_bbb,"axG",@progbits,_ZN9rocsparseL41csrgemm_numeric_fill_block_per_row_kernelILj1024ELj64ELj4096ELj137ELj64Eii21rocsparse_complex_numIdEEEvT5_PKS3_S5_NS_24const_host_device_scalarIT6_EEPKT4_S5_PKS7_SB_S5_SD_S8_SB_S5_SD_SB_S5_PS7_21rocsparse_index_base_SF_SF_SF_bbb,comdat
	.globl	_ZN9rocsparseL41csrgemm_numeric_fill_block_per_row_kernelILj1024ELj64ELj4096ELj137ELj64Eii21rocsparse_complex_numIdEEEvT5_PKS3_S5_NS_24const_host_device_scalarIT6_EEPKT4_S5_PKS7_SB_S5_SD_S8_SB_S5_SD_SB_S5_PS7_21rocsparse_index_base_SF_SF_SF_bbb ; -- Begin function _ZN9rocsparseL41csrgemm_numeric_fill_block_per_row_kernelILj1024ELj64ELj4096ELj137ELj64Eii21rocsparse_complex_numIdEEEvT5_PKS3_S5_NS_24const_host_device_scalarIT6_EEPKT4_S5_PKS7_SB_S5_SD_S8_SB_S5_SD_SB_S5_PS7_21rocsparse_index_base_SF_SF_SF_bbb
	.p2align	8
	.type	_ZN9rocsparseL41csrgemm_numeric_fill_block_per_row_kernelILj1024ELj64ELj4096ELj137ELj64Eii21rocsparse_complex_numIdEEEvT5_PKS3_S5_NS_24const_host_device_scalarIT6_EEPKT4_S5_PKS7_SB_S5_SD_S8_SB_S5_SD_SB_S5_PS7_21rocsparse_index_base_SF_SF_SF_bbb,@function
_ZN9rocsparseL41csrgemm_numeric_fill_block_per_row_kernelILj1024ELj64ELj4096ELj137ELj64Eii21rocsparse_complex_numIdEEEvT5_PKS3_S5_NS_24const_host_device_scalarIT6_EEPKT4_S5_PKS7_SB_S5_SD_S8_SB_S5_SD_SB_S5_PS7_21rocsparse_index_base_SF_SF_SF_bbb: ; @_ZN9rocsparseL41csrgemm_numeric_fill_block_per_row_kernelILj1024ELj64ELj4096ELj137ELj64Eii21rocsparse_complex_numIdEEEvT5_PKS3_S5_NS_24const_host_device_scalarIT6_EEPKT4_S5_PKS7_SB_S5_SD_S8_SB_S5_SD_SB_S5_PS7_21rocsparse_index_base_SF_SF_SF_bbb
; %bb.0:
	s_load_dword s3, s[0:1], 0xa8
	s_load_dwordx4 s[44:47], s[0:1], 0x98
	s_load_dwordx4 s[8:11], s[0:1], 0x18
	;; [unrolled: 1-line block ×3, first 2 shown]
	v_mov_b64_e32 v[6:7], 0
	s_waitcnt lgkmcnt(0)
	s_bitcmp1_b32 s3, 0
	s_cselect_b64 s[28:29], -1, 0
	s_bitcmp1_b32 s3, 16
	s_cselect_b64 s[30:31], -1, 0
	s_xor_b64 s[4:5], s[30:31], -1
	v_mov_b64_e32 v[2:3], s[8:9]
	v_cndmask_b32_e64 v1, 0, 1, s[4:5]
	scratch_store_dwordx2 off, v[2:3], off offset:16
	v_mov_b64_e32 v[2:3], s[24:25]
	s_bitcmp0_b32 s3, 0
	v_cmp_ne_u32_e64 s[4:5], 1, v1
	v_mov_b64_e32 v[10:11], 0
	v_mov_b64_e32 v[12:13], 0
	scratch_store_dwordx2 off, v[2:3], off offset:24
	s_cbranch_scc1 .LBB71_3
; %bb.1:
	s_mov_b64 s[6:7], src_private_base
	s_and_b64 s[12:13], s[30:31], exec
	s_cselect_b32 s6, s7, s9
	s_cselect_b32 s7, 16, s8
	v_mov_b32_e32 v2, s7
	v_mov_b32_e32 v3, s6
	flat_load_dwordx2 v[10:11], v[2:3]
	s_and_b64 vcc, exec, s[4:5]
	v_mov_b64_e32 v[12:13], s[10:11]
	s_cbranch_vccnz .LBB71_3
; %bb.2:
	v_mov_b64_e32 v[2:3], s[8:9]
	flat_load_dwordx2 v[12:13], v[2:3] offset:8
.LBB71_3:
	s_load_dwordx2 s[34:35], s[0:1], 0x90
	s_load_dwordx8 s[36:43], s[0:1], 0x68
	s_load_dwordx4 s[16:19], s[0:1], 0x48
	s_load_dwordx4 s[20:23], s[0:1], 0x8
	s_load_dwordx8 s[8:15], s[0:1], 0x28
	s_bitcmp1_b32 s3, 8
	s_cselect_b64 s[6:7], -1, 0
	s_bfe_u32 s3, s3, 0x10008
	s_cmp_eq_u32 s3, 0
	v_mov_b64_e32 v[8:9], 0
	s_cbranch_scc1 .LBB71_6
; %bb.4:
	s_mov_b64 s[48:49], src_private_base
	s_and_b64 s[30:31], s[30:31], exec
	s_cselect_b32 s3, s49, s25
	s_cselect_b32 s30, 24, s24
	v_mov_b32_e32 v2, s30
	v_mov_b32_e32 v3, s3
	flat_load_dwordx2 v[8:9], v[2:3]
	s_and_b64 vcc, exec, s[4:5]
	v_mov_b64_e32 v[6:7], s[26:27]
	s_cbranch_vccnz .LBB71_6
; %bb.5:
	v_mov_b64_e32 v[2:3], s[24:25]
	flat_load_dwordx2 v[6:7], v[2:3] offset:8
.LBB71_6:
	s_load_dword s33, s[0:1], 0x0
	s_mov_b32 s4, 0
	v_lshl_add_u32 v1, v0, 4, 0
	v_add_u32_e32 v1, 0x4000, v1
	v_or_b32_e32 v22, 0xfffffc00, v0
	v_lshl_add_u32 v23, v0, 2, 0
	s_mov_b32 s5, s4
	s_mov_b32 s24, s4
	;; [unrolled: 1-line block ×3, first 2 shown]
	s_mov_b64 s[0:1], 0
	s_waitcnt lgkmcnt(0)
	v_mov_b32_e32 v17, s33
	v_mov_b64_e32 v[2:3], s[4:5]
	v_mov_b64_e32 v[4:5], s[24:25]
	s_movk_i32 s3, 0xbff
	v_mov_b32_e32 v14, v23
	v_mov_b32_e32 v15, v22
	;; [unrolled: 1-line block ×3, first 2 shown]
.LBB71_7:                               ; =>This Inner Loop Header: Depth=1
	v_add_u32_e32 v15, 0x400, v15
	v_cmp_lt_u32_e32 vcc, s3, v15
	ds_write_b32 v14, v17
	ds_write2_b64 v16, v[2:3], v[4:5] offset1:1
	v_add_u32_e32 v16, 0x4000, v16
	s_or_b64 s[0:1], vcc, s[0:1]
	v_add_u32_e32 v14, 0x1000, v14
	s_andn2_b64 exec, exec, s[0:1]
	s_cbranch_execnz .LBB71_7
; %bb.8:
	s_or_b64 exec, exec, s[0:1]
	s_waitcnt lgkmcnt(0)
	s_barrier
	s_load_dword s0, s[20:21], 0x0
	s_mov_b32 s1, 0
	v_lshrrev_b32_e32 v24, 6, v0
	s_waitcnt lgkmcnt(0)
	s_add_i32 s0, s0, s2
	s_lshl_b64 s[0:1], s[0:1], 2
	s_add_u32 s0, s22, s0
	s_addc_u32 s1, s23, s1
	s_load_dword s48, s[0:1], 0x0
	s_and_b64 vcc, exec, s[28:29]
	s_cbranch_vccz .LBB71_26
; %bb.9:
	s_waitcnt lgkmcnt(0)
	s_ashr_i32 s49, s48, 31
	s_lshl_b64 s[0:1], s[48:49], 2
	s_add_u32 s0, s8, s0
	s_addc_u32 s1, s9, s1
	s_load_dwordx2 s[2:3], s[0:1], 0x0
	v_subrev_u32_e32 v2, s44, v24
	s_waitcnt lgkmcnt(0)
	s_sub_i32 s30, s3, s44
	v_add_u32_e32 v14, s2, v2
	v_cmp_gt_i32_e32 vcc, s30, v14
	s_and_saveexec_b64 s[0:1], vcc
	s_cbranch_execz .LBB71_25
; %bb.10:
	v_and_b32_e32 v2, 63, v0
	v_subrev_u32_e32 v25, s45, v2
	s_mov_b64 s[2:3], 0
	s_movk_i32 s31, 0x89
	s_branch .LBB71_12
.LBB71_11:                              ;   in Loop: Header=BB71_12 Depth=1
	s_or_b64 exec, exec, s[4:5]
	v_add_u32_e32 v14, 16, v14
	v_cmp_le_i32_e32 vcc, s30, v14
	s_or_b64 s[2:3], vcc, s[2:3]
	s_andn2_b64 exec, exec, s[2:3]
	s_cbranch_execz .LBB71_25
.LBB71_12:                              ; =>This Loop Header: Depth=1
                                        ;     Child Loop BB71_16 Depth 2
                                        ;       Child Loop BB71_19 Depth 3
	v_ashrrev_i32_e32 v15, 31, v14
	v_lshl_add_u64 v[2:3], v[14:15], 2, s[10:11]
	global_load_dword v2, v[2:3], off
	s_waitcnt vmcnt(0)
	v_subrev_u32_e32 v2, s44, v2
	v_ashrrev_i32_e32 v3, 31, v2
	v_lshl_add_u64 v[2:3], v[2:3], 2, s[14:15]
	global_load_dwordx2 v[2:3], v[2:3], off
	s_waitcnt vmcnt(0)
	v_subrev_u32_e32 v26, s45, v3
	v_add_u32_e32 v16, v2, v25
	v_cmp_lt_i32_e32 vcc, v16, v26
	s_and_saveexec_b64 s[4:5], vcc
	s_cbranch_execz .LBB71_11
; %bb.13:                               ;   in Loop: Header=BB71_12 Depth=1
	v_lshl_add_u64 v[2:3], v[14:15], 4, s[12:13]
	global_load_dwordx4 v[2:5], v[2:3], off
	s_mov_b64 s[8:9], 0
	s_waitcnt vmcnt(0)
	v_mul_f64 v[18:19], v[4:5], -v[12:13]
	v_mul_f64 v[20:21], v[10:11], v[4:5]
	v_fmac_f64_e32 v[18:19], v[10:11], v[2:3]
	v_fmac_f64_e32 v[20:21], v[12:13], v[2:3]
	s_branch .LBB71_16
.LBB71_14:                              ;   in Loop: Header=BB71_16 Depth=2
	s_or_b64 exec, exec, s[22:23]
.LBB71_15:                              ;   in Loop: Header=BB71_16 Depth=2
	s_or_b64 exec, exec, s[20:21]
	s_waitcnt vmcnt(0)
	v_mul_f64 v[28:29], v[4:5], -v[20:21]
	v_mul_f64 v[4:5], v[18:19], v[4:5]
	v_fmac_f64_e32 v[28:29], v[18:19], v[2:3]
	v_fmac_f64_e32 v[4:5], v[20:21], v[2:3]
	v_lshl_add_u32 v2, v15, 4, 0
	ds_add_f64 v2, v[28:29] offset:16384
	ds_add_f64 v2, v[4:5] offset:16392
	v_add_u32_e32 v16, 64, v16
	v_cmp_ge_i32_e32 vcc, v16, v26
	s_or_b64 s[8:9], vcc, s[8:9]
	s_andn2_b64 exec, exec, s[8:9]
	s_cbranch_execz .LBB71_11
.LBB71_16:                              ;   Parent Loop BB71_12 Depth=1
                                        ; =>  This Loop Header: Depth=2
                                        ;       Child Loop BB71_19 Depth 3
	v_ashrrev_i32_e32 v17, 31, v16
	v_lshl_add_u64 v[2:3], v[16:17], 2, s[16:17]
	global_load_dword v15, v[2:3], off
	v_lshl_add_u64 v[2:3], v[16:17], 4, s[18:19]
	global_load_dwordx4 v[2:5], v[2:3], off
	s_waitcnt vmcnt(1)
	v_subrev_u32_e32 v17, s45, v15
	v_mul_lo_u32 v15, v17, s31
	v_and_b32_e32 v15, 0xfff, v15
	v_lshl_add_u32 v27, v15, 2, 0
	ds_read_b32 v28, v27
	s_waitcnt lgkmcnt(0)
	v_cmp_ne_u32_e32 vcc, v28, v17
	s_and_saveexec_b64 s[20:21], vcc
	s_cbranch_execz .LBB71_15
; %bb.17:                               ;   in Loop: Header=BB71_16 Depth=2
	s_mov_b64 s[22:23], 0
	s_branch .LBB71_19
.LBB71_18:                              ;   in Loop: Header=BB71_19 Depth=3
	s_or_b64 exec, exec, s[28:29]
	s_and_b64 s[24:25], exec, s[26:27]
	s_or_b64 s[22:23], s[24:25], s[22:23]
	s_andn2_b64 exec, exec, s[22:23]
	s_cbranch_execz .LBB71_14
.LBB71_19:                              ;   Parent Loop BB71_12 Depth=1
                                        ;     Parent Loop BB71_16 Depth=2
                                        ; =>    This Inner Loop Header: Depth=3
	v_cmp_ne_u32_e32 vcc, s33, v28
	s_mov_b64 s[24:25], 0
	s_and_saveexec_b64 s[26:27], vcc
	s_xor_b64 s[26:27], exec, s[26:27]
	s_cbranch_execz .LBB71_21
; %bb.20:                               ;   in Loop: Header=BB71_19 Depth=3
	v_add_u32_e32 v15, 1, v15
	s_mov_b64 s[24:25], exec
	v_and_b32_e32 v15, 0xfff, v15
                                        ; implicit-def: $vgpr27
	s_andn2_saveexec_b64 s[26:27], s[26:27]
	s_cbranch_execz .LBB71_23
	s_branch .LBB71_22
.LBB71_21:                              ;   in Loop: Header=BB71_19 Depth=3
	s_andn2_saveexec_b64 s[26:27], s[26:27]
	s_cbranch_execz .LBB71_23
.LBB71_22:                              ;   in Loop: Header=BB71_19 Depth=3
	v_mov_b32_e32 v28, s33
	ds_cmpst_rtn_b32 v27, v27, v28, v17
	s_andn2_b64 s[24:25], s[24:25], exec
	s_waitcnt lgkmcnt(0)
	v_cmp_ne_u32_e32 vcc, s33, v27
	s_and_b64 s[28:29], vcc, exec
	s_or_b64 s[24:25], s[24:25], s[28:29]
.LBB71_23:                              ;   in Loop: Header=BB71_19 Depth=3
	s_or_b64 exec, exec, s[26:27]
	s_mov_b64 s[26:27], -1
                                        ; implicit-def: $vgpr27
                                        ; implicit-def: $vgpr28
	s_and_saveexec_b64 s[28:29], s[24:25]
	s_cbranch_execz .LBB71_18
; %bb.24:                               ;   in Loop: Header=BB71_19 Depth=3
	v_lshl_add_u32 v27, v15, 2, 0
	ds_read_b32 v28, v27
	s_waitcnt lgkmcnt(0)
	v_cmp_eq_u32_e32 vcc, v28, v17
	s_orn2_b64 s[26:27], vcc, exec
	s_branch .LBB71_18
.LBB71_25:
	s_or_b64 exec, exec, s[0:1]
.LBB71_26:
	s_andn2_b64 vcc, exec, s[6:7]
	s_cbranch_vccnz .LBB71_41
; %bb.27:
	s_waitcnt lgkmcnt(0)
	s_ashr_i32 s49, s48, 31
	s_lshl_b64 s[0:1], s[48:49], 2
	s_add_u32 s0, s36, s0
	s_addc_u32 s1, s37, s1
	s_load_dwordx2 s[2:3], s[0:1], 0x0
	v_subrev_u32_e32 v2, s47, v0
	s_waitcnt lgkmcnt(0)
	s_sub_i32 s14, s3, s47
	s_waitcnt vmcnt(0)
	v_add_u32_e32 v10, s2, v2
	v_cmp_gt_i32_e32 vcc, s14, v10
	s_and_saveexec_b64 s[0:1], vcc
	s_cbranch_execz .LBB71_40
; %bb.28:
	s_mov_b64 s[2:3], 0
	s_movk_i32 s15, 0x89
	s_branch .LBB71_31
.LBB71_29:                              ;   in Loop: Header=BB71_31 Depth=1
	s_or_b64 exec, exec, s[6:7]
.LBB71_30:                              ;   in Loop: Header=BB71_31 Depth=1
	s_or_b64 exec, exec, s[4:5]
	s_waitcnt vmcnt(0)
	v_mul_f64 v[12:13], v[4:5], -v[6:7]
	v_mul_f64 v[4:5], v[8:9], v[4:5]
	v_fmac_f64_e32 v[12:13], v[8:9], v[2:3]
	v_fmac_f64_e32 v[4:5], v[6:7], v[2:3]
	v_lshl_add_u32 v2, v11, 4, 0
	ds_add_f64 v2, v[12:13] offset:16384
	ds_add_f64 v2, v[4:5] offset:16392
	v_add_u32_e32 v10, 0x400, v10
	v_cmp_le_i32_e32 vcc, s14, v10
	s_or_b64 s[2:3], vcc, s[2:3]
	s_andn2_b64 exec, exec, s[2:3]
	s_cbranch_execz .LBB71_40
.LBB71_31:                              ; =>This Loop Header: Depth=1
                                        ;     Child Loop BB71_34 Depth 2
	v_ashrrev_i32_e32 v11, 31, v10
	v_lshl_add_u64 v[2:3], v[10:11], 2, s[38:39]
	global_load_dword v12, v[2:3], off
	v_lshl_add_u64 v[2:3], v[10:11], 4, s[40:41]
	global_load_dwordx4 v[2:5], v[2:3], off
	s_waitcnt vmcnt(1)
	v_subrev_u32_e32 v12, s47, v12
	v_mul_lo_u32 v11, v12, s15
	v_and_b32_e32 v11, 0xfff, v11
	v_lshl_add_u32 v13, v11, 2, 0
	ds_read_b32 v14, v13
	s_waitcnt lgkmcnt(0)
	v_cmp_ne_u32_e32 vcc, v14, v12
	s_and_saveexec_b64 s[4:5], vcc
	s_cbranch_execz .LBB71_30
; %bb.32:                               ;   in Loop: Header=BB71_31 Depth=1
	s_mov_b64 s[6:7], 0
	s_branch .LBB71_34
.LBB71_33:                              ;   in Loop: Header=BB71_34 Depth=2
	s_or_b64 exec, exec, s[12:13]
	s_and_b64 s[8:9], exec, s[10:11]
	s_or_b64 s[6:7], s[8:9], s[6:7]
	s_andn2_b64 exec, exec, s[6:7]
	s_cbranch_execz .LBB71_29
.LBB71_34:                              ;   Parent Loop BB71_31 Depth=1
                                        ; =>  This Inner Loop Header: Depth=2
	v_cmp_ne_u32_e32 vcc, s33, v14
	s_mov_b64 s[8:9], 0
	s_and_saveexec_b64 s[10:11], vcc
	s_xor_b64 s[10:11], exec, s[10:11]
	s_cbranch_execz .LBB71_36
; %bb.35:                               ;   in Loop: Header=BB71_34 Depth=2
	v_add_u32_e32 v11, 1, v11
	s_mov_b64 s[8:9], exec
	v_and_b32_e32 v11, 0xfff, v11
                                        ; implicit-def: $vgpr13
	s_andn2_saveexec_b64 s[10:11], s[10:11]
	s_cbranch_execz .LBB71_38
	s_branch .LBB71_37
.LBB71_36:                              ;   in Loop: Header=BB71_34 Depth=2
	s_andn2_saveexec_b64 s[10:11], s[10:11]
	s_cbranch_execz .LBB71_38
.LBB71_37:                              ;   in Loop: Header=BB71_34 Depth=2
	v_mov_b32_e32 v14, s33
	ds_cmpst_rtn_b32 v13, v13, v14, v12
	s_andn2_b64 s[8:9], s[8:9], exec
	s_waitcnt lgkmcnt(0)
	v_cmp_ne_u32_e32 vcc, s33, v13
	s_and_b64 s[12:13], vcc, exec
	s_or_b64 s[8:9], s[8:9], s[12:13]
.LBB71_38:                              ;   in Loop: Header=BB71_34 Depth=2
	s_or_b64 exec, exec, s[10:11]
	s_mov_b64 s[10:11], -1
                                        ; implicit-def: $vgpr13
                                        ; implicit-def: $vgpr14
	s_and_saveexec_b64 s[12:13], s[8:9]
	s_cbranch_execz .LBB71_33
; %bb.39:                               ;   in Loop: Header=BB71_34 Depth=2
	v_lshl_add_u32 v13, v11, 2, 0
	ds_read_b32 v14, v13
	s_waitcnt lgkmcnt(0)
	v_cmp_eq_u32_e32 vcc, v14, v12
	s_orn2_b64 s[10:11], vcc, exec
	s_branch .LBB71_33
.LBB71_40:
	s_or_b64 exec, exec, s[0:1]
.LBB71_41:
	v_mbcnt_lo_u32_b32 v2, -1, 0
	v_mbcnt_hi_u32_b32 v2, -1, v2
	v_sub_u32_e32 v2, 63, v2
	s_add_i32 s40, 0, 0x14000
	s_movk_i32 s0, 0x3ff
	s_movk_i32 s2, 0x7f
	s_movk_i32 s4, 0xbf
	s_movk_i32 s6, 0xff
	s_movk_i32 s8, 0x13f
	s_movk_i32 s10, 0x17f
	s_movk_i32 s12, 0x1bf
	s_movk_i32 s14, 0x1ff
	s_movk_i32 s16, 0x23f
	s_movk_i32 s18, 0x27f
	s_movk_i32 s20, 0x2bf
	s_movk_i32 s22, 0x2ff
	s_movk_i32 s24, 0x33f
	s_movk_i32 s26, 0x37f
	s_movk_i32 s28, 0x3bf
	s_add_i32 s59, 0, 0x1403c
	v_lshrrev_b64 v[2:3], v2, -1
	v_lshl_add_u32 v4, v24, 2, s40
	v_cmp_eq_u32_e32 vcc, s0, v0
	v_cmp_lt_u32_e64 s[0:1], 63, v0
	v_cmp_lt_u32_e64 s[2:3], s2, v0
	;; [unrolled: 1-line block ×15, first 2 shown]
	s_mov_b64 s[36:37], 0
	v_mov_b32_e32 v5, 0
	s_add_i32 s41, 0, 0x14004
	s_add_i32 s44, 0, 0x14008
	;; [unrolled: 1-line block ×14, first 2 shown]
	s_waitcnt vmcnt(0)
	v_mov_b32_e32 v6, s59
	s_movk_i32 s60, 0xbff
	s_waitcnt lgkmcnt(0)
	s_barrier
	s_branch .LBB71_43
.LBB71_42:                              ;   in Loop: Header=BB71_43 Depth=1
	s_or_b64 exec, exec, s[30:31]
	s_waitcnt lgkmcnt(0)
	s_barrier
	ds_read_b32 v7, v6
	v_add_u32_e32 v22, 0x400, v22
	v_cmp_lt_u32_e64 s[30:31], s60, v22
	v_add_u32_e32 v1, 0x4000, v1
	s_or_b64 s[36:37], s[30:31], s[36:37]
	s_waitcnt lgkmcnt(0)
	v_add_u32_e32 v5, v7, v5
	v_add_u32_e32 v23, 0x1000, v23
	s_andn2_b64 exec, exec, s[36:37]
	s_cbranch_execz .LBB71_77
.LBB71_43:                              ; =>This Inner Loop Header: Depth=1
	ds_read2_b64 v[10:13], v1 offset1:1
	ds_read_b32 v8, v23
	s_waitcnt lgkmcnt(1)
	scratch_store_dwordx4 off, v[10:13], off
	s_waitcnt lgkmcnt(0)
	v_cmp_gt_i32_e64 s[30:31], s33, v8
	s_bcnt1_i32_b64 s38, s[30:31]
	s_nop 0
	v_and_b32_e32 v9, s30, v2
	v_and_b32_e32 v7, s31, v3
	v_bcnt_u32_b32 v9, v9, 0
	v_bcnt_u32_b32 v7, v7, v9
	v_mov_b32_e32 v9, s38
	s_barrier
	ds_write_b32 v4, v9
	s_waitcnt lgkmcnt(0)
	s_barrier
	s_and_saveexec_b64 s[38:39], s[0:1]
	s_cbranch_execz .LBB71_60
; %bb.44:                               ;   in Loop: Header=BB71_43 Depth=1
	v_mov_b32_e32 v9, s40
	ds_read_b32 v9, v9
	s_waitcnt lgkmcnt(0)
	v_add_u32_e32 v7, v9, v7
	s_or_b64 exec, exec, s[38:39]
	s_and_saveexec_b64 s[38:39], s[2:3]
	s_cbranch_execnz .LBB71_61
.LBB71_45:                              ;   in Loop: Header=BB71_43 Depth=1
	s_or_b64 exec, exec, s[38:39]
	s_and_saveexec_b64 s[38:39], s[4:5]
	s_cbranch_execz .LBB71_62
.LBB71_46:                              ;   in Loop: Header=BB71_43 Depth=1
	v_mov_b32_e32 v9, s44
	ds_read_b32 v9, v9
	s_waitcnt lgkmcnt(0)
	v_add_u32_e32 v7, v9, v7
	s_or_b64 exec, exec, s[38:39]
	s_and_saveexec_b64 s[38:39], s[6:7]
	s_cbranch_execnz .LBB71_63
.LBB71_47:                              ;   in Loop: Header=BB71_43 Depth=1
	s_or_b64 exec, exec, s[38:39]
	s_and_saveexec_b64 s[38:39], s[8:9]
	s_cbranch_execz .LBB71_64
.LBB71_48:                              ;   in Loop: Header=BB71_43 Depth=1
	v_mov_b32_e32 v9, s47
	ds_read_b32 v9, v9
	s_waitcnt lgkmcnt(0)
	v_add_u32_e32 v7, v9, v7
	s_or_b64 exec, exec, s[38:39]
	s_and_saveexec_b64 s[38:39], s[10:11]
	s_cbranch_execnz .LBB71_65
.LBB71_49:                              ;   in Loop: Header=BB71_43 Depth=1
	s_or_b64 exec, exec, s[38:39]
	s_and_saveexec_b64 s[38:39], s[12:13]
	s_cbranch_execz .LBB71_66
.LBB71_50:                              ;   in Loop: Header=BB71_43 Depth=1
	v_mov_b32_e32 v9, s50
	ds_read_b32 v9, v9
	s_waitcnt lgkmcnt(0)
	v_add_u32_e32 v7, v9, v7
	s_or_b64 exec, exec, s[38:39]
	s_and_saveexec_b64 s[38:39], s[14:15]
	s_cbranch_execnz .LBB71_67
.LBB71_51:                              ;   in Loop: Header=BB71_43 Depth=1
	s_or_b64 exec, exec, s[38:39]
	s_and_saveexec_b64 s[38:39], s[16:17]
	s_cbranch_execz .LBB71_68
.LBB71_52:                              ;   in Loop: Header=BB71_43 Depth=1
	v_mov_b32_e32 v9, s52
	ds_read_b32 v9, v9
	s_waitcnt lgkmcnt(0)
	v_add_u32_e32 v7, v9, v7
	s_or_b64 exec, exec, s[38:39]
	s_and_saveexec_b64 s[38:39], s[18:19]
	s_cbranch_execnz .LBB71_69
.LBB71_53:                              ;   in Loop: Header=BB71_43 Depth=1
	s_or_b64 exec, exec, s[38:39]
	s_and_saveexec_b64 s[38:39], s[20:21]
	s_cbranch_execz .LBB71_70
.LBB71_54:                              ;   in Loop: Header=BB71_43 Depth=1
	v_mov_b32_e32 v9, s54
	ds_read_b32 v9, v9
	s_waitcnt lgkmcnt(0)
	v_add_u32_e32 v7, v9, v7
	s_or_b64 exec, exec, s[38:39]
	s_and_saveexec_b64 s[38:39], s[22:23]
	s_cbranch_execnz .LBB71_71
.LBB71_55:                              ;   in Loop: Header=BB71_43 Depth=1
	s_or_b64 exec, exec, s[38:39]
	s_and_saveexec_b64 s[38:39], s[24:25]
	s_cbranch_execz .LBB71_72
.LBB71_56:                              ;   in Loop: Header=BB71_43 Depth=1
	v_mov_b32_e32 v9, s56
	ds_read_b32 v9, v9
	s_waitcnt lgkmcnt(0)
	v_add_u32_e32 v7, v9, v7
	s_or_b64 exec, exec, s[38:39]
	s_and_saveexec_b64 s[38:39], s[26:27]
	s_cbranch_execnz .LBB71_73
.LBB71_57:                              ;   in Loop: Header=BB71_43 Depth=1
	s_or_b64 exec, exec, s[38:39]
	s_and_saveexec_b64 s[38:39], s[28:29]
	s_cbranch_execz .LBB71_74
.LBB71_58:                              ;   in Loop: Header=BB71_43 Depth=1
	v_mov_b32_e32 v9, s58
	ds_read_b32 v9, v9
	s_waitcnt lgkmcnt(0)
	v_add_u32_e32 v7, v9, v7
	s_or_b64 exec, exec, s[38:39]
	s_and_saveexec_b64 s[38:39], s[30:31]
	s_cbranch_execnz .LBB71_75
.LBB71_59:                              ;   in Loop: Header=BB71_43 Depth=1
	s_or_b64 exec, exec, s[38:39]
	s_and_saveexec_b64 s[30:31], vcc
	s_cbranch_execz .LBB71_42
	s_branch .LBB71_76
.LBB71_60:                              ;   in Loop: Header=BB71_43 Depth=1
	s_or_b64 exec, exec, s[38:39]
	s_and_saveexec_b64 s[38:39], s[2:3]
	s_cbranch_execz .LBB71_45
.LBB71_61:                              ;   in Loop: Header=BB71_43 Depth=1
	v_mov_b32_e32 v9, s41
	ds_read_b32 v9, v9
	s_waitcnt lgkmcnt(0)
	v_add_u32_e32 v7, v9, v7
	s_or_b64 exec, exec, s[38:39]
	s_and_saveexec_b64 s[38:39], s[4:5]
	s_cbranch_execnz .LBB71_46
.LBB71_62:                              ;   in Loop: Header=BB71_43 Depth=1
	s_or_b64 exec, exec, s[38:39]
	s_and_saveexec_b64 s[38:39], s[6:7]
	s_cbranch_execz .LBB71_47
.LBB71_63:                              ;   in Loop: Header=BB71_43 Depth=1
	v_mov_b32_e32 v9, s45
	ds_read_b32 v9, v9
	s_waitcnt lgkmcnt(0)
	v_add_u32_e32 v7, v9, v7
	s_or_b64 exec, exec, s[38:39]
	s_and_saveexec_b64 s[38:39], s[8:9]
	s_cbranch_execnz .LBB71_48
.LBB71_64:                              ;   in Loop: Header=BB71_43 Depth=1
	s_or_b64 exec, exec, s[38:39]
	s_and_saveexec_b64 s[38:39], s[10:11]
	s_cbranch_execz .LBB71_49
.LBB71_65:                              ;   in Loop: Header=BB71_43 Depth=1
	v_mov_b32_e32 v9, s49
	ds_read_b32 v9, v9
	s_waitcnt lgkmcnt(0)
	v_add_u32_e32 v7, v9, v7
	s_or_b64 exec, exec, s[38:39]
	s_and_saveexec_b64 s[38:39], s[12:13]
	s_cbranch_execnz .LBB71_50
.LBB71_66:                              ;   in Loop: Header=BB71_43 Depth=1
	s_or_b64 exec, exec, s[38:39]
	s_and_saveexec_b64 s[38:39], s[14:15]
	s_cbranch_execz .LBB71_51
.LBB71_67:                              ;   in Loop: Header=BB71_43 Depth=1
	v_mov_b32_e32 v9, s51
	ds_read_b32 v9, v9
	s_waitcnt lgkmcnt(0)
	v_add_u32_e32 v7, v9, v7
	s_or_b64 exec, exec, s[38:39]
	s_and_saveexec_b64 s[38:39], s[16:17]
	s_cbranch_execnz .LBB71_52
.LBB71_68:                              ;   in Loop: Header=BB71_43 Depth=1
	s_or_b64 exec, exec, s[38:39]
	s_and_saveexec_b64 s[38:39], s[18:19]
	s_cbranch_execz .LBB71_53
.LBB71_69:                              ;   in Loop: Header=BB71_43 Depth=1
	v_mov_b32_e32 v9, s53
	ds_read_b32 v9, v9
	s_waitcnt lgkmcnt(0)
	v_add_u32_e32 v7, v9, v7
	s_or_b64 exec, exec, s[38:39]
	s_and_saveexec_b64 s[38:39], s[20:21]
	s_cbranch_execnz .LBB71_54
.LBB71_70:                              ;   in Loop: Header=BB71_43 Depth=1
	s_or_b64 exec, exec, s[38:39]
	s_and_saveexec_b64 s[38:39], s[22:23]
	s_cbranch_execz .LBB71_55
.LBB71_71:                              ;   in Loop: Header=BB71_43 Depth=1
	v_mov_b32_e32 v9, s55
	ds_read_b32 v9, v9
	s_waitcnt lgkmcnt(0)
	v_add_u32_e32 v7, v9, v7
	s_or_b64 exec, exec, s[38:39]
	s_and_saveexec_b64 s[38:39], s[24:25]
	s_cbranch_execnz .LBB71_56
.LBB71_72:                              ;   in Loop: Header=BB71_43 Depth=1
	s_or_b64 exec, exec, s[38:39]
	s_and_saveexec_b64 s[38:39], s[26:27]
	s_cbranch_execz .LBB71_57
.LBB71_73:                              ;   in Loop: Header=BB71_43 Depth=1
	v_mov_b32_e32 v9, s57
	ds_read_b32 v9, v9
	s_waitcnt lgkmcnt(0)
	v_add_u32_e32 v7, v9, v7
	s_or_b64 exec, exec, s[38:39]
	s_and_saveexec_b64 s[38:39], s[28:29]
	s_cbranch_execnz .LBB71_58
.LBB71_74:                              ;   in Loop: Header=BB71_43 Depth=1
	s_or_b64 exec, exec, s[38:39]
	s_and_saveexec_b64 s[38:39], s[30:31]
	s_cbranch_execz .LBB71_59
.LBB71_75:                              ;   in Loop: Header=BB71_43 Depth=1
	scratch_load_dwordx4 v[10:13], off, off
	v_add3_u32 v9, v5, -1, v7
	v_add_u32_e32 v14, v5, v7
	v_lshl_add_u32 v9, v9, 2, 0
	v_lshl_add_u32 v14, v14, 4, 0
	v_add_u32_e32 v14, 0x3ff0, v14
	ds_write_b32 v9, v8
	s_waitcnt vmcnt(0)
	ds_write2_b64 v14, v[10:11], v[12:13] offset1:1
	s_or_b64 exec, exec, s[38:39]
	s_and_saveexec_b64 s[30:31], vcc
	s_cbranch_execz .LBB71_42
.LBB71_76:                              ;   in Loop: Header=BB71_43 Depth=1
	v_mov_b32_e32 v8, s59
	ds_write_b32 v8, v7
	s_branch .LBB71_42
.LBB71_77:
	s_or_b64 exec, exec, s[36:37]
	s_ashr_i32 s49, s48, 31
	s_lshl_b64 s[0:1], s[48:49], 2
	s_add_u32 s2, s42, s0
	s_addc_u32 s3, s43, s1
	s_load_dwordx2 s[0:1], s[2:3], 0x0
	s_waitcnt lgkmcnt(0)
	s_sub_i32 s14, s1, s0
	v_cmp_gt_i32_e32 vcc, s14, v0
	s_and_saveexec_b64 s[2:3], vcc
	s_cbranch_execz .LBB71_91
; %bb.78:
	s_sub_i32 s8, s0, s46
	v_sub_co_u32_e64 v1, s[0:1], s14, 2
	s_nop 0
	v_readfirstlane_b32 s2, v1
	s_lshr_b32 s2, s2, 1
	s_add_i32 s2, s2, 1
	s_xor_b64 s[0:1], s[0:1], -1
	s_and_b32 s15, s14, -2
	s_and_b32 s3, s2, 7
	s_and_b32 s16, s2, -8
	s_cmp_lg_u32 s3, 0
	v_cmp_lt_u32_e32 vcc, 13, v1
	s_cselect_b64 s[4:5], -1, 0
	s_cmp_lg_u32 s14, s15
	v_cndmask_b32_e64 v1, 0, 1, vcc
	s_cselect_b64 s[10:11], -1, 0
	s_lshl_b32 s17, s3, 3
	v_cndmask_b32_e64 v2, 0, 1, s[0:1]
	v_cmp_ne_u32_e64 s[2:3], 1, v1
	v_cndmask_b32_e64 v1, 0, 1, s[4:5]
	s_mov_b32 s9, 0
	s_mov_b64 s[12:13], 0
	v_cmp_ne_u32_e64 s[0:1], 1, v2
	v_cmp_ne_u32_e64 s[4:5], 1, v1
	s_movk_i32 s18, 0x4000
	s_branch .LBB71_80
.LBB71_79:                              ;   in Loop: Header=BB71_80 Depth=1
	v_mul_lo_u32 v3, v0, 12
	v_add3_u32 v1, v1, v3, s18
	s_waitcnt lgkmcnt(0)
	ds_read2_b64 v[4:7], v1 offset1:1
	v_add_u32_e32 v0, 0x400, v0
	v_ashrrev_i32_e32 v3, 31, v2
	v_cmp_le_i32_e32 vcc, s14, v0
	v_lshl_add_u64 v[2:3], v[2:3], 4, s[34:35]
	s_or_b64 s[12:13], vcc, s[12:13]
	s_waitcnt lgkmcnt(0)
	global_store_dwordx4 v[2:3], v[4:7], off
	s_andn2_b64 exec, exec, s[12:13]
	s_cbranch_execz .LBB71_91
.LBB71_80:                              ; =>This Loop Header: Depth=1
                                        ;     Child Loop BB71_83 Depth 2
                                        ;     Child Loop BB71_86 Depth 2
	;; [unrolled: 1-line block ×3, first 2 shown]
	v_lshl_add_u32 v1, v0, 2, 0
	ds_read_b32 v4, v1
	s_and_b64 vcc, exec, s[0:1]
	v_mov_b32_e32 v2, s8
	s_mov_b32 s19, 0
	s_mov_b64 s[6:7], -1
	s_cbranch_vccnz .LBB71_88
; %bb.81:                               ;   in Loop: Header=BB71_80 Depth=1
	s_and_b64 vcc, exec, s[2:3]
	v_mov_b64_e32 v[2:3], s[8:9]
	s_cbranch_vccnz .LBB71_84
; %bb.82:                               ;   in Loop: Header=BB71_80 Depth=1
	s_mov_b32 s20, 0
	v_mov_b32_e32 v2, s8
	v_mov_b32_e32 v3, 0
	s_mov_b32 s21, s16
.LBB71_83:                              ;   Parent Loop BB71_80 Depth=1
                                        ; =>  This Inner Loop Header: Depth=2
	v_mov_b32_e32 v5, s20
	ds_read2_b32 v[6:7], v5 offset1:1
	ds_read2_b32 v[8:9], v5 offset0:2 offset1:3
	ds_read2_b32 v[10:11], v5 offset0:4 offset1:5
	ds_read2_b32 v[12:13], v5 offset0:6 offset1:7
	ds_read2_b32 v[14:15], v5 offset0:8 offset1:9
	ds_read2_b32 v[16:17], v5 offset0:10 offset1:11
	ds_read2_b32 v[18:19], v5 offset0:12 offset1:13
	ds_read2_b32 v[20:21], v5 offset0:14 offset1:15
	s_waitcnt lgkmcnt(7)
	v_cmp_gt_i32_e32 vcc, v4, v7
	s_waitcnt lgkmcnt(5)
	v_cmp_gt_i32_e64 s[6:7], v4, v10
	s_add_i32 s19, s19, 16
	v_cndmask_b32_e64 v5, 0, 1, vcc
	v_cmp_gt_i32_e32 vcc, v4, v6
	v_cndmask_b32_e64 v7, 0, 1, s[6:7]
	v_cmp_gt_i32_e64 s[6:7], v4, v11
	v_cndmask_b32_e64 v6, 0, 1, vcc
	v_cmp_gt_i32_e32 vcc, v4, v9
	v_cndmask_b32_e64 v9, 0, 1, s[6:7]
	s_waitcnt lgkmcnt(3)
	v_cmp_gt_i32_e64 s[6:7], v4, v15
	v_addc_co_u32_e32 v3, vcc, v3, v5, vcc
	s_nop 0
	v_cndmask_b32_e64 v10, 0, 1, s[6:7]
	v_cmp_gt_i32_e64 s[6:7], v4, v14
	v_cmp_gt_i32_e32 vcc, v4, v12
	s_add_i32 s20, s20, 64
	v_cndmask_b32_e64 v11, 0, 1, s[6:7]
	s_waitcnt lgkmcnt(1)
	v_cmp_gt_i32_e64 s[6:7], v4, v18
	s_add_i32 s21, s21, -8
	s_cmp_lg_u32 s21, 0
	v_cndmask_b32_e64 v14, 0, 1, s[6:7]
	v_cmp_gt_i32_e64 s[6:7], v4, v19
	s_nop 1
	v_cndmask_b32_e64 v15, 0, 1, s[6:7]
	v_cmp_gt_i32_e64 s[6:7], v4, v8
	s_nop 1
	v_addc_co_u32_e64 v2, s[6:7], v2, v6, s[6:7]
	v_cmp_gt_i32_e64 s[6:7], v4, v13
	v_addc_co_u32_e32 v2, vcc, v2, v7, vcc
	s_nop 0
	v_addc_co_u32_e64 v3, s[6:7], v3, v9, s[6:7]
	v_cmp_gt_i32_e32 vcc, v4, v17
	v_cmp_gt_i32_e64 s[6:7], v4, v16
	s_nop 0
	v_addc_co_u32_e32 v3, vcc, v3, v10, vcc
	v_addc_co_u32_e64 v2, s[6:7], v2, v11, s[6:7]
	s_waitcnt lgkmcnt(0)
	v_cmp_gt_i32_e32 vcc, v4, v20
	v_cmp_gt_i32_e64 s[6:7], v4, v21
	s_nop 0
	v_addc_co_u32_e32 v2, vcc, v2, v14, vcc
	v_addc_co_u32_e64 v3, s[6:7], v3, v15, s[6:7]
	s_cbranch_scc1 .LBB71_83
.LBB71_84:                              ;   in Loop: Header=BB71_80 Depth=1
	s_and_b64 vcc, exec, s[4:5]
	s_cbranch_vccnz .LBB71_87
; %bb.85:                               ;   in Loop: Header=BB71_80 Depth=1
	s_lshl_b32 s6, s19, 2
	s_add_i32 s6, s6, 0
	s_mov_b32 s7, s17
.LBB71_86:                              ;   Parent Loop BB71_80 Depth=1
                                        ; =>  This Inner Loop Header: Depth=2
	v_mov_b32_e32 v5, s6
	ds_read2_b32 v[6:7], v5 offset1:1
	s_add_i32 s6, s6, 8
	s_add_i32 s7, s7, -8
	s_cmp_lg_u32 s7, 0
	s_waitcnt lgkmcnt(0)
	v_cmp_gt_i32_e32 vcc, v4, v7
	s_nop 1
	v_addc_co_u32_e32 v3, vcc, 0, v3, vcc
	v_cmp_gt_i32_e32 vcc, v4, v6
	s_nop 1
	v_addc_co_u32_e32 v2, vcc, 0, v2, vcc
	s_cbranch_scc1 .LBB71_86
.LBB71_87:                              ;   in Loop: Header=BB71_80 Depth=1
	v_add_u32_e32 v2, v2, v3
	s_mov_b32 s19, s15
	s_mov_b64 s[6:7], s[10:11]
.LBB71_88:                              ;   in Loop: Header=BB71_80 Depth=1
	s_and_b64 vcc, exec, s[6:7]
	s_cbranch_vccz .LBB71_79
; %bb.89:                               ;   in Loop: Header=BB71_80 Depth=1
	s_lshl_b32 s6, s19, 2
	s_add_i32 s6, s6, 0
.LBB71_90:                              ;   Parent Loop BB71_80 Depth=1
                                        ; =>  This Inner Loop Header: Depth=2
	v_mov_b32_e32 v3, s6
	ds_read_b32 v3, v3
	s_add_i32 s19, s19, 1
	s_add_i32 s6, s6, 4
	s_cmp_ge_i32 s19, s14
	s_waitcnt lgkmcnt(0)
	v_cmp_gt_i32_e32 vcc, v4, v3
	s_nop 1
	v_addc_co_u32_e32 v2, vcc, 0, v2, vcc
	s_cbranch_scc0 .LBB71_90
	s_branch .LBB71_79
.LBB71_91:
	s_endpgm
	.section	.rodata,"a",@progbits
	.p2align	6, 0x0
	.amdhsa_kernel _ZN9rocsparseL41csrgemm_numeric_fill_block_per_row_kernelILj1024ELj64ELj4096ELj137ELj64Eii21rocsparse_complex_numIdEEEvT5_PKS3_S5_NS_24const_host_device_scalarIT6_EEPKT4_S5_PKS7_SB_S5_SD_S8_SB_S5_SD_SB_S5_PS7_21rocsparse_index_base_SF_SF_SF_bbb
		.amdhsa_group_segment_fixed_size 0
		.amdhsa_private_segment_fixed_size 40
		.amdhsa_kernarg_size 172
		.amdhsa_user_sgpr_count 2
		.amdhsa_user_sgpr_dispatch_ptr 0
		.amdhsa_user_sgpr_queue_ptr 0
		.amdhsa_user_sgpr_kernarg_segment_ptr 1
		.amdhsa_user_sgpr_dispatch_id 0
		.amdhsa_user_sgpr_kernarg_preload_length 0
		.amdhsa_user_sgpr_kernarg_preload_offset 0
		.amdhsa_user_sgpr_private_segment_size 0
		.amdhsa_uses_dynamic_stack 0
		.amdhsa_enable_private_segment 1
		.amdhsa_system_sgpr_workgroup_id_x 1
		.amdhsa_system_sgpr_workgroup_id_y 0
		.amdhsa_system_sgpr_workgroup_id_z 0
		.amdhsa_system_sgpr_workgroup_info 0
		.amdhsa_system_vgpr_workitem_id 0
		.amdhsa_next_free_vgpr 30
		.amdhsa_next_free_sgpr 61
		.amdhsa_accum_offset 32
		.amdhsa_reserve_vcc 1
		.amdhsa_float_round_mode_32 0
		.amdhsa_float_round_mode_16_64 0
		.amdhsa_float_denorm_mode_32 3
		.amdhsa_float_denorm_mode_16_64 3
		.amdhsa_dx10_clamp 1
		.amdhsa_ieee_mode 1
		.amdhsa_fp16_overflow 0
		.amdhsa_tg_split 0
		.amdhsa_exception_fp_ieee_invalid_op 0
		.amdhsa_exception_fp_denorm_src 0
		.amdhsa_exception_fp_ieee_div_zero 0
		.amdhsa_exception_fp_ieee_overflow 0
		.amdhsa_exception_fp_ieee_underflow 0
		.amdhsa_exception_fp_ieee_inexact 0
		.amdhsa_exception_int_div_zero 0
	.end_amdhsa_kernel
	.section	.text._ZN9rocsparseL41csrgemm_numeric_fill_block_per_row_kernelILj1024ELj64ELj4096ELj137ELj64Eii21rocsparse_complex_numIdEEEvT5_PKS3_S5_NS_24const_host_device_scalarIT6_EEPKT4_S5_PKS7_SB_S5_SD_S8_SB_S5_SD_SB_S5_PS7_21rocsparse_index_base_SF_SF_SF_bbb,"axG",@progbits,_ZN9rocsparseL41csrgemm_numeric_fill_block_per_row_kernelILj1024ELj64ELj4096ELj137ELj64Eii21rocsparse_complex_numIdEEEvT5_PKS3_S5_NS_24const_host_device_scalarIT6_EEPKT4_S5_PKS7_SB_S5_SD_S8_SB_S5_SD_SB_S5_PS7_21rocsparse_index_base_SF_SF_SF_bbb,comdat
.Lfunc_end71:
	.size	_ZN9rocsparseL41csrgemm_numeric_fill_block_per_row_kernelILj1024ELj64ELj4096ELj137ELj64Eii21rocsparse_complex_numIdEEEvT5_PKS3_S5_NS_24const_host_device_scalarIT6_EEPKT4_S5_PKS7_SB_S5_SD_S8_SB_S5_SD_SB_S5_PS7_21rocsparse_index_base_SF_SF_SF_bbb, .Lfunc_end71-_ZN9rocsparseL41csrgemm_numeric_fill_block_per_row_kernelILj1024ELj64ELj4096ELj137ELj64Eii21rocsparse_complex_numIdEEEvT5_PKS3_S5_NS_24const_host_device_scalarIT6_EEPKT4_S5_PKS7_SB_S5_SD_S8_SB_S5_SD_SB_S5_PS7_21rocsparse_index_base_SF_SF_SF_bbb
                                        ; -- End function
	.set _ZN9rocsparseL41csrgemm_numeric_fill_block_per_row_kernelILj1024ELj64ELj4096ELj137ELj64Eii21rocsparse_complex_numIdEEEvT5_PKS3_S5_NS_24const_host_device_scalarIT6_EEPKT4_S5_PKS7_SB_S5_SD_S8_SB_S5_SD_SB_S5_PS7_21rocsparse_index_base_SF_SF_SF_bbb.num_vgpr, 30
	.set _ZN9rocsparseL41csrgemm_numeric_fill_block_per_row_kernelILj1024ELj64ELj4096ELj137ELj64Eii21rocsparse_complex_numIdEEEvT5_PKS3_S5_NS_24const_host_device_scalarIT6_EEPKT4_S5_PKS7_SB_S5_SD_S8_SB_S5_SD_SB_S5_PS7_21rocsparse_index_base_SF_SF_SF_bbb.num_agpr, 0
	.set _ZN9rocsparseL41csrgemm_numeric_fill_block_per_row_kernelILj1024ELj64ELj4096ELj137ELj64Eii21rocsparse_complex_numIdEEEvT5_PKS3_S5_NS_24const_host_device_scalarIT6_EEPKT4_S5_PKS7_SB_S5_SD_S8_SB_S5_SD_SB_S5_PS7_21rocsparse_index_base_SF_SF_SF_bbb.numbered_sgpr, 61
	.set _ZN9rocsparseL41csrgemm_numeric_fill_block_per_row_kernelILj1024ELj64ELj4096ELj137ELj64Eii21rocsparse_complex_numIdEEEvT5_PKS3_S5_NS_24const_host_device_scalarIT6_EEPKT4_S5_PKS7_SB_S5_SD_S8_SB_S5_SD_SB_S5_PS7_21rocsparse_index_base_SF_SF_SF_bbb.num_named_barrier, 0
	.set _ZN9rocsparseL41csrgemm_numeric_fill_block_per_row_kernelILj1024ELj64ELj4096ELj137ELj64Eii21rocsparse_complex_numIdEEEvT5_PKS3_S5_NS_24const_host_device_scalarIT6_EEPKT4_S5_PKS7_SB_S5_SD_S8_SB_S5_SD_SB_S5_PS7_21rocsparse_index_base_SF_SF_SF_bbb.private_seg_size, 40
	.set _ZN9rocsparseL41csrgemm_numeric_fill_block_per_row_kernelILj1024ELj64ELj4096ELj137ELj64Eii21rocsparse_complex_numIdEEEvT5_PKS3_S5_NS_24const_host_device_scalarIT6_EEPKT4_S5_PKS7_SB_S5_SD_S8_SB_S5_SD_SB_S5_PS7_21rocsparse_index_base_SF_SF_SF_bbb.uses_vcc, 1
	.set _ZN9rocsparseL41csrgemm_numeric_fill_block_per_row_kernelILj1024ELj64ELj4096ELj137ELj64Eii21rocsparse_complex_numIdEEEvT5_PKS3_S5_NS_24const_host_device_scalarIT6_EEPKT4_S5_PKS7_SB_S5_SD_S8_SB_S5_SD_SB_S5_PS7_21rocsparse_index_base_SF_SF_SF_bbb.uses_flat_scratch, 0
	.set _ZN9rocsparseL41csrgemm_numeric_fill_block_per_row_kernelILj1024ELj64ELj4096ELj137ELj64Eii21rocsparse_complex_numIdEEEvT5_PKS3_S5_NS_24const_host_device_scalarIT6_EEPKT4_S5_PKS7_SB_S5_SD_S8_SB_S5_SD_SB_S5_PS7_21rocsparse_index_base_SF_SF_SF_bbb.has_dyn_sized_stack, 0
	.set _ZN9rocsparseL41csrgemm_numeric_fill_block_per_row_kernelILj1024ELj64ELj4096ELj137ELj64Eii21rocsparse_complex_numIdEEEvT5_PKS3_S5_NS_24const_host_device_scalarIT6_EEPKT4_S5_PKS7_SB_S5_SD_S8_SB_S5_SD_SB_S5_PS7_21rocsparse_index_base_SF_SF_SF_bbb.has_recursion, 0
	.set _ZN9rocsparseL41csrgemm_numeric_fill_block_per_row_kernelILj1024ELj64ELj4096ELj137ELj64Eii21rocsparse_complex_numIdEEEvT5_PKS3_S5_NS_24const_host_device_scalarIT6_EEPKT4_S5_PKS7_SB_S5_SD_S8_SB_S5_SD_SB_S5_PS7_21rocsparse_index_base_SF_SF_SF_bbb.has_indirect_call, 0
	.section	.AMDGPU.csdata,"",@progbits
; Kernel info:
; codeLenInByte = 3644
; TotalNumSgprs: 67
; NumVgprs: 30
; NumAgprs: 0
; TotalNumVgprs: 30
; ScratchSize: 40
; MemoryBound: 0
; FloatMode: 240
; IeeeMode: 1
; LDSByteSize: 0 bytes/workgroup (compile time only)
; SGPRBlocks: 8
; VGPRBlocks: 3
; NumSGPRsForWavesPerEU: 67
; NumVGPRsForWavesPerEU: 30
; AccumOffset: 32
; Occupancy: 8
; WaveLimiterHint : 1
; COMPUTE_PGM_RSRC2:SCRATCH_EN: 1
; COMPUTE_PGM_RSRC2:USER_SGPR: 2
; COMPUTE_PGM_RSRC2:TRAP_HANDLER: 0
; COMPUTE_PGM_RSRC2:TGID_X_EN: 1
; COMPUTE_PGM_RSRC2:TGID_Y_EN: 0
; COMPUTE_PGM_RSRC2:TGID_Z_EN: 0
; COMPUTE_PGM_RSRC2:TIDIG_COMP_CNT: 0
; COMPUTE_PGM_RSRC3_GFX90A:ACCUM_OFFSET: 7
; COMPUTE_PGM_RSRC3_GFX90A:TG_SPLIT: 0
	.section	.text._ZN9rocsparseL41csrgemm_numeric_fill_block_per_row_kernelILj1024ELj64ELj8192ELj137ELj32Eii21rocsparse_complex_numIdEEEvT5_PKS3_S5_NS_24const_host_device_scalarIT6_EEPKT4_S5_PKS7_SB_S5_SD_S8_SB_S5_SD_SB_S5_PS7_21rocsparse_index_base_SF_SF_SF_bbb,"axG",@progbits,_ZN9rocsparseL41csrgemm_numeric_fill_block_per_row_kernelILj1024ELj64ELj8192ELj137ELj32Eii21rocsparse_complex_numIdEEEvT5_PKS3_S5_NS_24const_host_device_scalarIT6_EEPKT4_S5_PKS7_SB_S5_SD_S8_SB_S5_SD_SB_S5_PS7_21rocsparse_index_base_SF_SF_SF_bbb,comdat
	.globl	_ZN9rocsparseL41csrgemm_numeric_fill_block_per_row_kernelILj1024ELj64ELj8192ELj137ELj32Eii21rocsparse_complex_numIdEEEvT5_PKS3_S5_NS_24const_host_device_scalarIT6_EEPKT4_S5_PKS7_SB_S5_SD_S8_SB_S5_SD_SB_S5_PS7_21rocsparse_index_base_SF_SF_SF_bbb ; -- Begin function _ZN9rocsparseL41csrgemm_numeric_fill_block_per_row_kernelILj1024ELj64ELj8192ELj137ELj32Eii21rocsparse_complex_numIdEEEvT5_PKS3_S5_NS_24const_host_device_scalarIT6_EEPKT4_S5_PKS7_SB_S5_SD_S8_SB_S5_SD_SB_S5_PS7_21rocsparse_index_base_SF_SF_SF_bbb
	.p2align	8
	.type	_ZN9rocsparseL41csrgemm_numeric_fill_block_per_row_kernelILj1024ELj64ELj8192ELj137ELj32Eii21rocsparse_complex_numIdEEEvT5_PKS3_S5_NS_24const_host_device_scalarIT6_EEPKT4_S5_PKS7_SB_S5_SD_S8_SB_S5_SD_SB_S5_PS7_21rocsparse_index_base_SF_SF_SF_bbb,@function
_ZN9rocsparseL41csrgemm_numeric_fill_block_per_row_kernelILj1024ELj64ELj8192ELj137ELj32Eii21rocsparse_complex_numIdEEEvT5_PKS3_S5_NS_24const_host_device_scalarIT6_EEPKT4_S5_PKS7_SB_S5_SD_S8_SB_S5_SD_SB_S5_PS7_21rocsparse_index_base_SF_SF_SF_bbb: ; @_ZN9rocsparseL41csrgemm_numeric_fill_block_per_row_kernelILj1024ELj64ELj8192ELj137ELj32Eii21rocsparse_complex_numIdEEEvT5_PKS3_S5_NS_24const_host_device_scalarIT6_EEPKT4_S5_PKS7_SB_S5_SD_S8_SB_S5_SD_SB_S5_PS7_21rocsparse_index_base_SF_SF_SF_bbb
; %bb.0:
	s_load_dword s3, s[0:1], 0xa8
	s_load_dwordx8 s[8:15], s[0:1], 0x8
	s_load_dwordx4 s[64:67], s[0:1], 0x98
	s_load_dwordx4 s[16:19], s[0:1], 0x58
	v_mov_b64_e32 v[6:7], 0
	v_mov_b64_e32 v[10:11], 0
	s_waitcnt lgkmcnt(0)
	s_bitcmp1_b32 s3, 0
	s_cselect_b64 s[6:7], -1, 0
	s_bitcmp1_b32 s3, 16
	s_cselect_b64 s[20:21], -1, 0
	s_xor_b64 s[4:5], s[20:21], -1
	v_mov_b64_e32 v[2:3], s[12:13]
	v_cndmask_b32_e64 v1, 0, 1, s[4:5]
	scratch_store_dwordx2 off, v[2:3], off offset:16
	v_mov_b64_e32 v[2:3], s[16:17]
	s_bitcmp0_b32 s3, 0
	v_cmp_ne_u32_e64 s[4:5], 1, v1
	v_mov_b64_e32 v[12:13], 0
	scratch_store_dwordx2 off, v[2:3], off offset:24
	s_cbranch_scc1 .LBB72_3
; %bb.1:
	s_mov_b64 s[22:23], src_private_base
	s_and_b64 s[24:25], s[20:21], exec
	s_cselect_b32 s22, s23, s13
	s_cselect_b32 s23, 16, s12
	v_mov_b32_e32 v2, s23
	v_mov_b32_e32 v3, s22
	flat_load_dwordx2 v[10:11], v[2:3]
	s_and_b64 vcc, exec, s[4:5]
	v_mov_b64_e32 v[12:13], s[14:15]
	s_cbranch_vccnz .LBB72_3
; %bb.2:
	v_mov_b64_e32 v[2:3], s[12:13]
	flat_load_dwordx2 v[12:13], v[2:3] offset:8
.LBB72_3:
	s_bitcmp1_b32 s3, 8
	s_cselect_b64 s[12:13], -1, 0
	s_bfe_u32 s3, s3, 0x10008
	s_cmp_eq_u32 s3, 0
	v_mov_b64_e32 v[8:9], 0
	s_cbranch_scc1 .LBB72_6
; %bb.4:
	s_mov_b64 s[14:15], src_private_base
	s_and_b64 s[20:21], s[20:21], exec
	s_cselect_b32 s3, s15, s17
	s_cselect_b32 s14, 24, s16
	v_mov_b32_e32 v2, s14
	v_mov_b32_e32 v3, s3
	flat_load_dwordx2 v[8:9], v[2:3]
	s_and_b64 vcc, exec, s[4:5]
	v_mov_b64_e32 v[6:7], s[18:19]
	s_cbranch_vccnz .LBB72_6
; %bb.5:
	v_mov_b64_e32 v[2:3], s[16:17]
	flat_load_dwordx2 v[6:7], v[2:3] offset:8
.LBB72_6:
	s_load_dword s33, s[0:1], 0x0
	s_mov_b32 s4, 0
	v_lshl_add_u32 v1, v0, 2, 0
	v_mad_u32_u24 v14, v0, 12, v1
	s_mov_b32 s5, s4
	s_waitcnt lgkmcnt(0)
	v_mov_b32_e32 v2, s33
	s_mov_b32 s14, s4
	s_mov_b32 s15, s4
	v_add_u32_e32 v15, 0x8000, v14
	ds_write_b32 v1, v2
	v_mov_b64_e32 v[2:3], s[4:5]
	v_mov_b64_e32 v[4:5], s[14:15]
	ds_write2_b64 v15, v[2:3], v[4:5] offset1:1
	v_mad_i32_i24 v14, v0, -12, v14
	v_mov_b32_e32 v15, s33
	s_add_i32 s3, 0, 0x8000
	ds_write_b32 v14, v15 offset:4096
	v_mad_u32_u24 v14, v0, 12, v14
	v_lshl_add_u32 v16, v0, 4, s3
	v_add_u32_e32 v15, 0xc000, v14
	v_add_u32_e32 v17, 0x8000, v16
	ds_write2_b64 v15, v[2:3], v[4:5] offset1:1
	v_mad_i32_i24 v14, v0, -12, v14
	v_mov_b32_e32 v15, s33
	ds_write2_b64 v17, v[2:3], v[4:5] offset1:1
	v_mov_b32_e32 v17, s33
	ds_write2st64_b32 v14, v15, v17 offset0:32 offset1:48
	v_add_u32_e32 v15, 0xc000, v16
	v_add_u32_e32 v17, 0x10000, v16
	ds_write2_b64 v15, v[2:3], v[4:5] offset1:1
	v_mov_b32_e32 v15, s33
	ds_write2_b64 v17, v[2:3], v[4:5] offset1:1
	v_mov_b32_e32 v17, s33
	ds_write2st64_b32 v14, v15, v17 offset0:64 offset1:80
	v_add_u32_e32 v15, 0x14000, v16
	v_add_u32_e32 v17, 0x18000, v16
	ds_write2_b64 v15, v[2:3], v[4:5] offset1:1
	v_mov_b32_e32 v15, s33
	ds_write2_b64 v17, v[2:3], v[4:5] offset1:1
	v_mov_b32_e32 v17, s33
	ds_write2st64_b32 v14, v15, v17 offset0:96 offset1:112
	v_add_u32_e32 v14, 0x1c000, v16
	ds_write2_b64 v14, v[2:3], v[4:5] offset1:1
	s_waitcnt lgkmcnt(0)
	s_barrier
	s_load_dword s3, s[8:9], 0x0
                                        ; implicit-def: $vgpr26 : SGPR spill to VGPR lane
	s_waitcnt lgkmcnt(0)
	s_add_i32 s2, s3, s2
	s_mov_b32 s3, s4
	s_lshl_b64 s[2:3], s[2:3], 2
	s_add_u32 s2, s10, s2
	s_addc_u32 s3, s11, s3
	s_load_dword s2, s[2:3], 0x0
	s_andn2_b64 vcc, exec, s[6:7]
	s_waitcnt lgkmcnt(0)
	v_writelane_b32 v26, s2, 0
	s_nop 1
	v_writelane_b32 v26, s3, 1
	s_cbranch_vccnz .LBB72_24
; %bb.7:
	s_load_dwordx2 s[2:3], s[0:1], 0x28
	v_readlane_b32 s4, v26, 0
	v_readlane_b32 s5, v26, 1
	s_mov_b32 s6, s4
	s_ashr_i32 s7, s4, 31
	v_writelane_b32 v26, s4, 0
	v_lshrrev_b32_e32 v2, 6, v0
	v_subrev_u32_e32 v2, s64, v2
	v_writelane_b32 v26, s5, 1
	s_lshl_b64 s[4:5], s[6:7], 2
	s_waitcnt lgkmcnt(0)
	s_add_u32 s2, s2, s4
	s_addc_u32 s3, s3, s5
	s_load_dwordx2 s[4:5], s[2:3], 0x0
	s_waitcnt lgkmcnt(0)
	s_sub_i32 s34, s5, s64
	v_add_u32_e32 v14, s4, v2
	v_cmp_gt_i32_e32 vcc, s34, v14
	s_and_saveexec_b64 s[2:3], vcc
	s_cbranch_execz .LBB72_23
; %bb.8:
	s_load_dwordx2 s[14:15], s[0:1], 0x50
	s_load_dwordx8 s[4:11], s[0:1], 0x30
	v_and_b32_e32 v2, 63, v0
	v_subrev_u32_e32 v22, s65, v2
	s_mov_b64 s[16:17], 0
	s_movk_i32 s35, 0x89
	s_branch .LBB72_10
.LBB72_9:                               ;   in Loop: Header=BB72_10 Depth=1
	s_or_b64 exec, exec, s[18:19]
	v_add_u32_e32 v14, 16, v14
	v_cmp_le_i32_e32 vcc, s34, v14
	s_or_b64 s[16:17], vcc, s[16:17]
	s_andn2_b64 exec, exec, s[16:17]
	s_cbranch_execz .LBB72_23
.LBB72_10:                              ; =>This Loop Header: Depth=1
                                        ;     Child Loop BB72_14 Depth 2
                                        ;       Child Loop BB72_17 Depth 3
	v_ashrrev_i32_e32 v15, 31, v14
	s_waitcnt lgkmcnt(0)
	v_lshl_add_u64 v[2:3], v[14:15], 2, s[4:5]
	global_load_dword v2, v[2:3], off
	s_waitcnt vmcnt(0)
	v_subrev_u32_e32 v2, s64, v2
	v_ashrrev_i32_e32 v3, 31, v2
	v_lshl_add_u64 v[2:3], v[2:3], 2, s[8:9]
	global_load_dwordx2 v[2:3], v[2:3], off
	s_waitcnt vmcnt(0)
	v_subrev_u32_e32 v23, s65, v3
	v_add_u32_e32 v16, v2, v22
	v_cmp_lt_i32_e32 vcc, v16, v23
	s_and_saveexec_b64 s[18:19], vcc
	s_cbranch_execz .LBB72_9
; %bb.11:                               ;   in Loop: Header=BB72_10 Depth=1
	v_lshl_add_u64 v[2:3], v[14:15], 4, s[6:7]
	global_load_dwordx4 v[2:5], v[2:3], off
	s_mov_b64 s[20:21], 0
	s_waitcnt vmcnt(0)
	v_mul_f64 v[18:19], v[4:5], -v[12:13]
	v_mul_f64 v[20:21], v[10:11], v[4:5]
	v_fmac_f64_e32 v[18:19], v[10:11], v[2:3]
	v_fmac_f64_e32 v[20:21], v[12:13], v[2:3]
	s_branch .LBB72_14
.LBB72_12:                              ;   in Loop: Header=BB72_14 Depth=2
	s_or_b64 exec, exec, s[24:25]
.LBB72_13:                              ;   in Loop: Header=BB72_14 Depth=2
	s_or_b64 exec, exec, s[22:23]
	s_waitcnt vmcnt(0)
	v_mul_f64 v[24:25], v[4:5], -v[20:21]
	v_mul_f64 v[4:5], v[18:19], v[4:5]
	v_fmac_f64_e32 v[24:25], v[18:19], v[2:3]
	v_fmac_f64_e32 v[4:5], v[20:21], v[2:3]
	v_lshl_add_u32 v2, v15, 4, 0
	ds_add_f64 v2, v[24:25] offset:32768
	ds_add_f64 v2, v[4:5] offset:32776
	v_add_u32_e32 v16, 64, v16
	v_cmp_ge_i32_e32 vcc, v16, v23
	s_or_b64 s[20:21], vcc, s[20:21]
	s_andn2_b64 exec, exec, s[20:21]
	s_cbranch_execz .LBB72_9
.LBB72_14:                              ;   Parent Loop BB72_10 Depth=1
                                        ; =>  This Loop Header: Depth=2
                                        ;       Child Loop BB72_17 Depth 3
	v_ashrrev_i32_e32 v17, 31, v16
	v_lshl_add_u64 v[2:3], v[16:17], 2, s[10:11]
	global_load_dword v15, v[2:3], off
	v_lshl_add_u64 v[2:3], v[16:17], 4, s[14:15]
	global_load_dwordx4 v[2:5], v[2:3], off
	s_waitcnt vmcnt(1)
	v_subrev_u32_e32 v17, s65, v15
	v_mul_lo_u32 v15, v17, s35
	v_and_b32_e32 v15, 0x1fff, v15
	v_lshl_add_u32 v24, v15, 2, 0
	ds_read_b32 v25, v24
	s_waitcnt lgkmcnt(0)
	v_cmp_ne_u32_e32 vcc, v25, v17
	s_and_saveexec_b64 s[22:23], vcc
	s_cbranch_execz .LBB72_13
; %bb.15:                               ;   in Loop: Header=BB72_14 Depth=2
	s_mov_b64 s[24:25], 0
	s_branch .LBB72_17
.LBB72_16:                              ;   in Loop: Header=BB72_17 Depth=3
	s_or_b64 exec, exec, s[30:31]
	s_and_b64 s[26:27], exec, s[28:29]
	s_or_b64 s[24:25], s[26:27], s[24:25]
	s_andn2_b64 exec, exec, s[24:25]
	s_cbranch_execz .LBB72_12
.LBB72_17:                              ;   Parent Loop BB72_10 Depth=1
                                        ;     Parent Loop BB72_14 Depth=2
                                        ; =>    This Inner Loop Header: Depth=3
	v_cmp_ne_u32_e32 vcc, s33, v25
	s_mov_b64 s[26:27], 0
	s_and_saveexec_b64 s[28:29], vcc
	s_xor_b64 s[28:29], exec, s[28:29]
	s_cbranch_execz .LBB72_19
; %bb.18:                               ;   in Loop: Header=BB72_17 Depth=3
	v_add_u32_e32 v15, 1, v15
	s_mov_b64 s[26:27], exec
	v_and_b32_e32 v15, 0x1fff, v15
                                        ; implicit-def: $vgpr24
	s_andn2_saveexec_b64 s[28:29], s[28:29]
	s_cbranch_execz .LBB72_21
	s_branch .LBB72_20
.LBB72_19:                              ;   in Loop: Header=BB72_17 Depth=3
	s_andn2_saveexec_b64 s[28:29], s[28:29]
	s_cbranch_execz .LBB72_21
.LBB72_20:                              ;   in Loop: Header=BB72_17 Depth=3
	v_mov_b32_e32 v25, s33
	ds_cmpst_rtn_b32 v24, v24, v25, v17
	s_andn2_b64 s[26:27], s[26:27], exec
	s_waitcnt lgkmcnt(0)
	v_cmp_ne_u32_e32 vcc, s33, v24
	s_and_b64 s[30:31], vcc, exec
	s_or_b64 s[26:27], s[26:27], s[30:31]
.LBB72_21:                              ;   in Loop: Header=BB72_17 Depth=3
	s_or_b64 exec, exec, s[28:29]
	s_mov_b64 s[28:29], -1
                                        ; implicit-def: $vgpr24
                                        ; implicit-def: $vgpr25
	s_and_saveexec_b64 s[30:31], s[26:27]
	s_cbranch_execz .LBB72_16
; %bb.22:                               ;   in Loop: Header=BB72_17 Depth=3
	v_lshl_add_u32 v24, v15, 2, 0
	ds_read_b32 v25, v24
	s_waitcnt lgkmcnt(0)
	v_cmp_eq_u32_e32 vcc, v25, v17
	s_orn2_b64 s[28:29], vcc, exec
	s_branch .LBB72_16
.LBB72_23:
	s_or_b64 exec, exec, s[2:3]
.LBB72_24:
	s_load_dwordx2 s[20:21], s[0:1], 0x90
	s_load_dwordx2 s[2:3], s[0:1], 0x80
	s_andn2_b64 vcc, exec, s[12:13]
	s_waitcnt lgkmcnt(0)
	v_writelane_b32 v26, s2, 2
	s_nop 1
	v_writelane_b32 v26, s3, 3
	s_cbranch_vccnz .LBB72_39
; %bb.25:
	s_load_dwordx2 s[2:3], s[0:1], 0x68
	v_readlane_b32 s4, v26, 0
	v_readlane_b32 s5, v26, 1
	s_mov_b32 s6, s4
	s_ashr_i32 s7, s4, 31
	v_writelane_b32 v26, s4, 0
	v_subrev_u32_e32 v2, s67, v0
	s_nop 0
	v_writelane_b32 v26, s5, 1
	s_lshl_b64 s[4:5], s[6:7], 2
	s_waitcnt lgkmcnt(0)
	s_add_u32 s2, s2, s4
	s_addc_u32 s3, s3, s5
	s_load_dwordx2 s[4:5], s[2:3], 0x0
	s_waitcnt lgkmcnt(0)
	s_sub_i32 s18, s5, s67
	s_waitcnt vmcnt(0)
	v_add_u32_e32 v10, s4, v2
	v_cmp_gt_i32_e32 vcc, s18, v10
	s_and_saveexec_b64 s[2:3], vcc
	s_cbranch_execz .LBB72_38
; %bb.26:
	s_load_dwordx4 s[4:7], s[0:1], 0x70
	s_mov_b64 s[0:1], 0
	s_movk_i32 s19, 0x89
	s_branch .LBB72_29
.LBB72_27:                              ;   in Loop: Header=BB72_29 Depth=1
	s_or_b64 exec, exec, s[10:11]
.LBB72_28:                              ;   in Loop: Header=BB72_29 Depth=1
	s_or_b64 exec, exec, s[8:9]
	s_waitcnt vmcnt(0)
	v_mul_f64 v[12:13], v[4:5], -v[6:7]
	v_mul_f64 v[4:5], v[8:9], v[4:5]
	v_fmac_f64_e32 v[12:13], v[8:9], v[2:3]
	v_fmac_f64_e32 v[4:5], v[6:7], v[2:3]
	v_lshl_add_u32 v2, v11, 4, 0
	ds_add_f64 v2, v[12:13] offset:32768
	ds_add_f64 v2, v[4:5] offset:32776
	v_add_u32_e32 v10, 0x400, v10
	v_cmp_le_i32_e32 vcc, s18, v10
	s_or_b64 s[0:1], vcc, s[0:1]
	s_andn2_b64 exec, exec, s[0:1]
	s_cbranch_execz .LBB72_38
.LBB72_29:                              ; =>This Loop Header: Depth=1
                                        ;     Child Loop BB72_32 Depth 2
	v_ashrrev_i32_e32 v11, 31, v10
	s_waitcnt lgkmcnt(0)
	v_lshl_add_u64 v[2:3], v[10:11], 2, s[4:5]
	global_load_dword v12, v[2:3], off
	v_lshl_add_u64 v[2:3], v[10:11], 4, s[6:7]
	global_load_dwordx4 v[2:5], v[2:3], off
	s_waitcnt vmcnt(1)
	v_subrev_u32_e32 v12, s67, v12
	v_mul_lo_u32 v11, v12, s19
	v_and_b32_e32 v11, 0x1fff, v11
	v_lshl_add_u32 v13, v11, 2, 0
	ds_read_b32 v14, v13
	s_waitcnt lgkmcnt(0)
	v_cmp_ne_u32_e32 vcc, v14, v12
	s_and_saveexec_b64 s[8:9], vcc
	s_cbranch_execz .LBB72_28
; %bb.30:                               ;   in Loop: Header=BB72_29 Depth=1
	s_mov_b64 s[10:11], 0
	s_branch .LBB72_32
.LBB72_31:                              ;   in Loop: Header=BB72_32 Depth=2
	s_or_b64 exec, exec, s[16:17]
	s_and_b64 s[12:13], exec, s[14:15]
	s_or_b64 s[10:11], s[12:13], s[10:11]
	s_andn2_b64 exec, exec, s[10:11]
	s_cbranch_execz .LBB72_27
.LBB72_32:                              ;   Parent Loop BB72_29 Depth=1
                                        ; =>  This Inner Loop Header: Depth=2
	v_cmp_ne_u32_e32 vcc, s33, v14
	s_mov_b64 s[12:13], 0
	s_and_saveexec_b64 s[14:15], vcc
	s_xor_b64 s[14:15], exec, s[14:15]
	s_cbranch_execz .LBB72_34
; %bb.33:                               ;   in Loop: Header=BB72_32 Depth=2
	v_add_u32_e32 v11, 1, v11
	s_mov_b64 s[12:13], exec
	v_and_b32_e32 v11, 0x1fff, v11
                                        ; implicit-def: $vgpr13
	s_andn2_saveexec_b64 s[14:15], s[14:15]
	s_cbranch_execz .LBB72_36
	s_branch .LBB72_35
.LBB72_34:                              ;   in Loop: Header=BB72_32 Depth=2
	s_andn2_saveexec_b64 s[14:15], s[14:15]
	s_cbranch_execz .LBB72_36
.LBB72_35:                              ;   in Loop: Header=BB72_32 Depth=2
	v_mov_b32_e32 v14, s33
	ds_cmpst_rtn_b32 v13, v13, v14, v12
	s_andn2_b64 s[12:13], s[12:13], exec
	s_waitcnt lgkmcnt(0)
	v_cmp_ne_u32_e32 vcc, s33, v13
	s_and_b64 s[16:17], vcc, exec
	s_or_b64 s[12:13], s[12:13], s[16:17]
.LBB72_36:                              ;   in Loop: Header=BB72_32 Depth=2
	s_or_b64 exec, exec, s[14:15]
	s_mov_b64 s[14:15], -1
                                        ; implicit-def: $vgpr13
                                        ; implicit-def: $vgpr14
	s_and_saveexec_b64 s[16:17], s[12:13]
	s_cbranch_execz .LBB72_31
; %bb.37:                               ;   in Loop: Header=BB72_32 Depth=2
	v_lshl_add_u32 v13, v11, 2, 0
	ds_read_b32 v14, v13
	s_waitcnt lgkmcnt(0)
	v_cmp_eq_u32_e32 vcc, v14, v12
	s_orn2_b64 s[14:15], vcc, exec
	s_branch .LBB72_31
.LBB72_38:
	s_or_b64 exec, exec, s[2:3]
.LBB72_39:
	v_writelane_b32 v26, s20, 4
	s_add_i32 s0, 0, 0x28000
	v_lshrrev_b32_e32 v4, 3, v0
	v_writelane_b32 v26, s21, 5
	v_writelane_b32 v26, s0, 6
	s_add_i32 s60, 0, 0x28004
	v_mbcnt_lo_u32_b32 v2, -1, 0
	v_and_b32_e32 v4, 0x7c, v4
	v_writelane_b32 v26, s60, 7
	s_add_i32 s60, 0, 0x28008
	v_mbcnt_hi_u32_b32 v2, -1, v2
	v_add_u32_e32 v4, s0, v4
	s_movk_i32 s0, 0x3ff
	v_writelane_b32 v26, s60, 8
	s_add_i32 s60, 0, 0x2800c
	v_sub_u32_e32 v2, 63, v2
	v_cmp_eq_u32_e32 vcc, s0, v0
	s_movk_i32 s0, 0x5f
	s_movk_i32 s2, 0x7f
	;; [unrolled: 1-line block ×29, first 2 shown]
	v_lshl_add_u32 v5, v0, 4, 0
	v_writelane_b32 v26, s60, 9
	s_add_i32 s60, 0, 0x28014
	v_lshrrev_b64 v[2:3], v2, -1
	v_cmp_lt_u32_e64 s[0:1], s0, v0
	v_cmp_lt_u32_e64 s[2:3], s2, v0
	;; [unrolled: 1-line block ×29, first 2 shown]
	v_add_u32_e32 v5, 0x8000, v5
	s_waitcnt vmcnt(0)
	v_or_b32_e32 v6, 0xfffffc00, v0
	v_mov_b32_e32 v7, 0
	s_add_i32 s79, 0, 0x28010
	v_writelane_b32 v26, s60, 10
	s_add_i32 s82, 0, 0x28018
	s_add_i32 s83, 0, 0x2801c
	;; [unrolled: 1-line block ×26, first 2 shown]
	v_cmp_lt_u32_e64 s[60:61], 31, v0
	v_cmp_lt_u32_e64 s[62:63], 63, v0
	s_mov_b64 s[74:75], 0
	s_waitcnt lgkmcnt(0)
	s_barrier
	s_branch .LBB72_41
.LBB72_40:                              ;   in Loop: Header=BB72_41 Depth=1
	s_or_b64 exec, exec, s[64:65]
	v_mov_b32_e32 v8, s78
	s_waitcnt lgkmcnt(0)
	s_barrier
	ds_read_b32 v8, v8
	v_add_u32_e32 v6, 0x400, v6
	s_movk_i32 s64, 0x1bff
	v_cmp_lt_u32_e64 s[64:65], s64, v6
	v_add_u32_e32 v5, 0x4000, v5
	s_waitcnt lgkmcnt(0)
	v_add_u32_e32 v7, v8, v7
	s_or_b64 s[74:75], s[64:65], s[74:75]
	v_add_u32_e32 v1, 0x1000, v1
	s_andn2_b64 exec, exec, s[74:75]
	s_cbranch_execz .LBB72_107
.LBB72_41:                              ; =>This Inner Loop Header: Depth=1
	ds_read2_b64 v[10:13], v5 offset1:1
	ds_read_b32 v9, v1
	s_waitcnt lgkmcnt(1)
	scratch_store_dwordx4 off, v[10:13], off
	s_waitcnt lgkmcnt(0)
	v_cmp_gt_i32_e64 s[64:65], s33, v9
	s_bcnt1_i32_b64 s76, s[64:65]
	s_nop 0
	v_and_b32_e32 v10, s64, v2
	v_and_b32_e32 v8, s65, v3
	v_bcnt_u32_b32 v10, v10, 0
	v_bcnt_u32_b32 v8, v8, v10
	v_mov_b32_e32 v10, s76
	s_barrier
	ds_write_b32 v4, v10
	s_waitcnt lgkmcnt(0)
	s_barrier
	s_and_saveexec_b64 s[76:77], s[60:61]
	s_cbranch_execz .LBB72_74
; %bb.42:                               ;   in Loop: Header=BB72_41 Depth=1
	v_readlane_b32 s80, v26, 6
	s_nop 1
	v_mov_b32_e32 v10, s80
	ds_read_b32 v10, v10
	s_waitcnt lgkmcnt(0)
	v_add_u32_e32 v8, v10, v8
	s_or_b64 exec, exec, s[76:77]
	s_and_saveexec_b64 s[76:77], s[62:63]
	s_cbranch_execnz .LBB72_75
.LBB72_43:                              ;   in Loop: Header=BB72_41 Depth=1
	s_or_b64 exec, exec, s[76:77]
	s_and_saveexec_b64 s[76:77], s[0:1]
	s_cbranch_execz .LBB72_76
.LBB72_44:                              ;   in Loop: Header=BB72_41 Depth=1
	v_readlane_b32 s80, v26, 8
	s_nop 1
	v_mov_b32_e32 v10, s80
	ds_read_b32 v10, v10
	s_waitcnt lgkmcnt(0)
	v_add_u32_e32 v8, v10, v8
	s_or_b64 exec, exec, s[76:77]
	s_and_saveexec_b64 s[76:77], s[2:3]
	s_cbranch_execnz .LBB72_77
.LBB72_45:                              ;   in Loop: Header=BB72_41 Depth=1
	s_or_b64 exec, exec, s[76:77]
	s_and_saveexec_b64 s[76:77], s[4:5]
	s_cbranch_execz .LBB72_78
.LBB72_46:                              ;   in Loop: Header=BB72_41 Depth=1
	v_mov_b32_e32 v10, s79
	ds_read_b32 v10, v10
	s_waitcnt lgkmcnt(0)
	v_add_u32_e32 v8, v10, v8
	s_or_b64 exec, exec, s[76:77]
	s_and_saveexec_b64 s[76:77], s[6:7]
	s_cbranch_execnz .LBB72_79
.LBB72_47:                              ;   in Loop: Header=BB72_41 Depth=1
	s_or_b64 exec, exec, s[76:77]
	s_and_saveexec_b64 s[76:77], s[8:9]
	s_cbranch_execz .LBB72_80
.LBB72_48:                              ;   in Loop: Header=BB72_41 Depth=1
	v_mov_b32_e32 v10, s82
	ds_read_b32 v10, v10
	s_waitcnt lgkmcnt(0)
	v_add_u32_e32 v8, v10, v8
	s_or_b64 exec, exec, s[76:77]
	s_and_saveexec_b64 s[76:77], s[10:11]
	s_cbranch_execnz .LBB72_81
.LBB72_49:                              ;   in Loop: Header=BB72_41 Depth=1
	s_or_b64 exec, exec, s[76:77]
	s_and_saveexec_b64 s[76:77], s[12:13]
	s_cbranch_execz .LBB72_82
.LBB72_50:                              ;   in Loop: Header=BB72_41 Depth=1
	v_mov_b32_e32 v10, s84
	ds_read_b32 v10, v10
	s_waitcnt lgkmcnt(0)
	v_add_u32_e32 v8, v10, v8
	s_or_b64 exec, exec, s[76:77]
	s_and_saveexec_b64 s[76:77], s[14:15]
	s_cbranch_execnz .LBB72_83
.LBB72_51:                              ;   in Loop: Header=BB72_41 Depth=1
	s_or_b64 exec, exec, s[76:77]
	s_and_saveexec_b64 s[76:77], s[16:17]
	s_cbranch_execz .LBB72_84
.LBB72_52:                              ;   in Loop: Header=BB72_41 Depth=1
	v_mov_b32_e32 v10, s86
	ds_read_b32 v10, v10
	s_waitcnt lgkmcnt(0)
	v_add_u32_e32 v8, v10, v8
	s_or_b64 exec, exec, s[76:77]
	s_and_saveexec_b64 s[76:77], s[18:19]
	s_cbranch_execnz .LBB72_85
.LBB72_53:                              ;   in Loop: Header=BB72_41 Depth=1
	s_or_b64 exec, exec, s[76:77]
	s_and_saveexec_b64 s[76:77], s[20:21]
	s_cbranch_execz .LBB72_86
.LBB72_54:                              ;   in Loop: Header=BB72_41 Depth=1
	v_mov_b32_e32 v10, s88
	ds_read_b32 v10, v10
	s_waitcnt lgkmcnt(0)
	v_add_u32_e32 v8, v10, v8
	s_or_b64 exec, exec, s[76:77]
	s_and_saveexec_b64 s[76:77], s[22:23]
	s_cbranch_execnz .LBB72_87
.LBB72_55:                              ;   in Loop: Header=BB72_41 Depth=1
	s_or_b64 exec, exec, s[76:77]
	s_and_saveexec_b64 s[76:77], s[24:25]
	s_cbranch_execz .LBB72_88
.LBB72_56:                              ;   in Loop: Header=BB72_41 Depth=1
	v_mov_b32_e32 v10, s90
	ds_read_b32 v10, v10
	s_waitcnt lgkmcnt(0)
	v_add_u32_e32 v8, v10, v8
	s_or_b64 exec, exec, s[76:77]
	s_and_saveexec_b64 s[76:77], s[26:27]
	s_cbranch_execnz .LBB72_89
.LBB72_57:                              ;   in Loop: Header=BB72_41 Depth=1
	s_or_b64 exec, exec, s[76:77]
	s_and_saveexec_b64 s[76:77], s[28:29]
	s_cbranch_execz .LBB72_90
.LBB72_58:                              ;   in Loop: Header=BB72_41 Depth=1
	v_mov_b32_e32 v10, s92
	ds_read_b32 v10, v10
	s_waitcnt lgkmcnt(0)
	v_add_u32_e32 v8, v10, v8
	s_or_b64 exec, exec, s[76:77]
	s_and_saveexec_b64 s[76:77], s[30:31]
	s_cbranch_execnz .LBB72_91
.LBB72_59:                              ;   in Loop: Header=BB72_41 Depth=1
	s_or_b64 exec, exec, s[76:77]
	s_and_saveexec_b64 s[76:77], s[34:35]
	s_cbranch_execz .LBB72_92
.LBB72_60:                              ;   in Loop: Header=BB72_41 Depth=1
	v_mov_b32_e32 v10, s94
	ds_read_b32 v10, v10
	s_waitcnt lgkmcnt(0)
	v_add_u32_e32 v8, v10, v8
	s_or_b64 exec, exec, s[76:77]
	s_and_saveexec_b64 s[76:77], s[36:37]
	s_cbranch_execnz .LBB72_93
.LBB72_61:                              ;   in Loop: Header=BB72_41 Depth=1
	s_or_b64 exec, exec, s[76:77]
	s_and_saveexec_b64 s[76:77], s[38:39]
	s_cbranch_execz .LBB72_94
.LBB72_62:                              ;   in Loop: Header=BB72_41 Depth=1
	v_mov_b32_e32 v10, s96
	ds_read_b32 v10, v10
	s_waitcnt lgkmcnt(0)
	v_add_u32_e32 v8, v10, v8
	s_or_b64 exec, exec, s[76:77]
	s_and_saveexec_b64 s[76:77], s[40:41]
	s_cbranch_execnz .LBB72_95
.LBB72_63:                              ;   in Loop: Header=BB72_41 Depth=1
	s_or_b64 exec, exec, s[76:77]
	s_and_saveexec_b64 s[76:77], s[42:43]
	s_cbranch_execz .LBB72_96
.LBB72_64:                              ;   in Loop: Header=BB72_41 Depth=1
	v_mov_b32_e32 v10, s98
	ds_read_b32 v10, v10
	s_waitcnt lgkmcnt(0)
	v_add_u32_e32 v8, v10, v8
	s_or_b64 exec, exec, s[76:77]
	s_and_saveexec_b64 s[76:77], s[44:45]
	s_cbranch_execnz .LBB72_97
.LBB72_65:                              ;   in Loop: Header=BB72_41 Depth=1
	s_or_b64 exec, exec, s[76:77]
	s_and_saveexec_b64 s[76:77], s[46:47]
	s_cbranch_execz .LBB72_98
.LBB72_66:                              ;   in Loop: Header=BB72_41 Depth=1
	v_mov_b32_e32 v10, s72
	ds_read_b32 v10, v10
	s_waitcnt lgkmcnt(0)
	v_add_u32_e32 v8, v10, v8
	s_or_b64 exec, exec, s[76:77]
	s_and_saveexec_b64 s[76:77], s[48:49]
	s_cbranch_execnz .LBB72_99
.LBB72_67:                              ;   in Loop: Header=BB72_41 Depth=1
	s_or_b64 exec, exec, s[76:77]
	s_and_saveexec_b64 s[76:77], s[50:51]
	s_cbranch_execz .LBB72_100
.LBB72_68:                              ;   in Loop: Header=BB72_41 Depth=1
	v_mov_b32_e32 v10, s70
	ds_read_b32 v10, v10
	s_waitcnt lgkmcnt(0)
	v_add_u32_e32 v8, v10, v8
	s_or_b64 exec, exec, s[76:77]
	s_and_saveexec_b64 s[76:77], s[52:53]
	s_cbranch_execnz .LBB72_101
.LBB72_69:                              ;   in Loop: Header=BB72_41 Depth=1
	s_or_b64 exec, exec, s[76:77]
	s_and_saveexec_b64 s[76:77], s[54:55]
	s_cbranch_execz .LBB72_102
.LBB72_70:                              ;   in Loop: Header=BB72_41 Depth=1
	v_mov_b32_e32 v10, s69
	ds_read_b32 v10, v10
	s_waitcnt lgkmcnt(0)
	v_add_u32_e32 v8, v10, v8
	s_or_b64 exec, exec, s[76:77]
	s_and_saveexec_b64 s[76:77], s[56:57]
	s_cbranch_execnz .LBB72_103
.LBB72_71:                              ;   in Loop: Header=BB72_41 Depth=1
	s_or_b64 exec, exec, s[76:77]
	s_and_saveexec_b64 s[76:77], s[58:59]
	s_cbranch_execz .LBB72_104
.LBB72_72:                              ;   in Loop: Header=BB72_41 Depth=1
	v_mov_b32_e32 v10, s71
	ds_read_b32 v10, v10
	s_waitcnt lgkmcnt(0)
	v_add_u32_e32 v8, v10, v8
	s_or_b64 exec, exec, s[76:77]
	s_and_saveexec_b64 s[76:77], s[64:65]
	s_cbranch_execnz .LBB72_105
.LBB72_73:                              ;   in Loop: Header=BB72_41 Depth=1
	s_or_b64 exec, exec, s[76:77]
	s_and_saveexec_b64 s[64:65], vcc
	s_cbranch_execz .LBB72_40
	s_branch .LBB72_106
.LBB72_74:                              ;   in Loop: Header=BB72_41 Depth=1
	s_or_b64 exec, exec, s[76:77]
	s_and_saveexec_b64 s[76:77], s[62:63]
	s_cbranch_execz .LBB72_43
.LBB72_75:                              ;   in Loop: Header=BB72_41 Depth=1
	v_readlane_b32 s80, v26, 7
	s_nop 1
	v_mov_b32_e32 v10, s80
	ds_read_b32 v10, v10
	s_waitcnt lgkmcnt(0)
	v_add_u32_e32 v8, v10, v8
	s_or_b64 exec, exec, s[76:77]
	s_and_saveexec_b64 s[76:77], s[0:1]
	s_cbranch_execnz .LBB72_44
.LBB72_76:                              ;   in Loop: Header=BB72_41 Depth=1
	s_or_b64 exec, exec, s[76:77]
	s_and_saveexec_b64 s[76:77], s[2:3]
	s_cbranch_execz .LBB72_45
.LBB72_77:                              ;   in Loop: Header=BB72_41 Depth=1
	v_readlane_b32 s80, v26, 9
	s_nop 1
	v_mov_b32_e32 v10, s80
	ds_read_b32 v10, v10
	s_waitcnt lgkmcnt(0)
	v_add_u32_e32 v8, v10, v8
	s_or_b64 exec, exec, s[76:77]
	s_and_saveexec_b64 s[76:77], s[4:5]
	s_cbranch_execnz .LBB72_46
.LBB72_78:                              ;   in Loop: Header=BB72_41 Depth=1
	s_or_b64 exec, exec, s[76:77]
	s_and_saveexec_b64 s[76:77], s[6:7]
	s_cbranch_execz .LBB72_47
.LBB72_79:                              ;   in Loop: Header=BB72_41 Depth=1
	v_readlane_b32 s80, v26, 10
	s_nop 1
	v_mov_b32_e32 v10, s80
	ds_read_b32 v10, v10
	s_waitcnt lgkmcnt(0)
	v_add_u32_e32 v8, v10, v8
	s_or_b64 exec, exec, s[76:77]
	s_and_saveexec_b64 s[76:77], s[8:9]
	s_cbranch_execnz .LBB72_48
.LBB72_80:                              ;   in Loop: Header=BB72_41 Depth=1
	s_or_b64 exec, exec, s[76:77]
	s_and_saveexec_b64 s[76:77], s[10:11]
	s_cbranch_execz .LBB72_49
.LBB72_81:                              ;   in Loop: Header=BB72_41 Depth=1
	v_mov_b32_e32 v10, s83
	ds_read_b32 v10, v10
	s_waitcnt lgkmcnt(0)
	v_add_u32_e32 v8, v10, v8
	s_or_b64 exec, exec, s[76:77]
	s_and_saveexec_b64 s[76:77], s[12:13]
	s_cbranch_execnz .LBB72_50
.LBB72_82:                              ;   in Loop: Header=BB72_41 Depth=1
	s_or_b64 exec, exec, s[76:77]
	s_and_saveexec_b64 s[76:77], s[14:15]
	s_cbranch_execz .LBB72_51
.LBB72_83:                              ;   in Loop: Header=BB72_41 Depth=1
	v_mov_b32_e32 v10, s85
	ds_read_b32 v10, v10
	s_waitcnt lgkmcnt(0)
	v_add_u32_e32 v8, v10, v8
	s_or_b64 exec, exec, s[76:77]
	s_and_saveexec_b64 s[76:77], s[16:17]
	s_cbranch_execnz .LBB72_52
.LBB72_84:                              ;   in Loop: Header=BB72_41 Depth=1
	s_or_b64 exec, exec, s[76:77]
	s_and_saveexec_b64 s[76:77], s[18:19]
	s_cbranch_execz .LBB72_53
.LBB72_85:                              ;   in Loop: Header=BB72_41 Depth=1
	v_mov_b32_e32 v10, s87
	ds_read_b32 v10, v10
	s_waitcnt lgkmcnt(0)
	v_add_u32_e32 v8, v10, v8
	s_or_b64 exec, exec, s[76:77]
	s_and_saveexec_b64 s[76:77], s[20:21]
	s_cbranch_execnz .LBB72_54
.LBB72_86:                              ;   in Loop: Header=BB72_41 Depth=1
	s_or_b64 exec, exec, s[76:77]
	s_and_saveexec_b64 s[76:77], s[22:23]
	s_cbranch_execz .LBB72_55
.LBB72_87:                              ;   in Loop: Header=BB72_41 Depth=1
	v_mov_b32_e32 v10, s89
	ds_read_b32 v10, v10
	s_waitcnt lgkmcnt(0)
	v_add_u32_e32 v8, v10, v8
	s_or_b64 exec, exec, s[76:77]
	s_and_saveexec_b64 s[76:77], s[24:25]
	s_cbranch_execnz .LBB72_56
.LBB72_88:                              ;   in Loop: Header=BB72_41 Depth=1
	s_or_b64 exec, exec, s[76:77]
	s_and_saveexec_b64 s[76:77], s[26:27]
	s_cbranch_execz .LBB72_57
.LBB72_89:                              ;   in Loop: Header=BB72_41 Depth=1
	v_mov_b32_e32 v10, s91
	ds_read_b32 v10, v10
	s_waitcnt lgkmcnt(0)
	v_add_u32_e32 v8, v10, v8
	s_or_b64 exec, exec, s[76:77]
	s_and_saveexec_b64 s[76:77], s[28:29]
	s_cbranch_execnz .LBB72_58
.LBB72_90:                              ;   in Loop: Header=BB72_41 Depth=1
	s_or_b64 exec, exec, s[76:77]
	s_and_saveexec_b64 s[76:77], s[30:31]
	s_cbranch_execz .LBB72_59
.LBB72_91:                              ;   in Loop: Header=BB72_41 Depth=1
	v_mov_b32_e32 v10, s93
	ds_read_b32 v10, v10
	s_waitcnt lgkmcnt(0)
	v_add_u32_e32 v8, v10, v8
	s_or_b64 exec, exec, s[76:77]
	s_and_saveexec_b64 s[76:77], s[34:35]
	s_cbranch_execnz .LBB72_60
.LBB72_92:                              ;   in Loop: Header=BB72_41 Depth=1
	s_or_b64 exec, exec, s[76:77]
	s_and_saveexec_b64 s[76:77], s[36:37]
	s_cbranch_execz .LBB72_61
.LBB72_93:                              ;   in Loop: Header=BB72_41 Depth=1
	v_mov_b32_e32 v10, s95
	ds_read_b32 v10, v10
	s_waitcnt lgkmcnt(0)
	v_add_u32_e32 v8, v10, v8
	s_or_b64 exec, exec, s[76:77]
	s_and_saveexec_b64 s[76:77], s[38:39]
	s_cbranch_execnz .LBB72_62
.LBB72_94:                              ;   in Loop: Header=BB72_41 Depth=1
	s_or_b64 exec, exec, s[76:77]
	s_and_saveexec_b64 s[76:77], s[40:41]
	s_cbranch_execz .LBB72_63
.LBB72_95:                              ;   in Loop: Header=BB72_41 Depth=1
	v_mov_b32_e32 v10, s97
	ds_read_b32 v10, v10
	s_waitcnt lgkmcnt(0)
	v_add_u32_e32 v8, v10, v8
	s_or_b64 exec, exec, s[76:77]
	s_and_saveexec_b64 s[76:77], s[42:43]
	s_cbranch_execnz .LBB72_64
.LBB72_96:                              ;   in Loop: Header=BB72_41 Depth=1
	s_or_b64 exec, exec, s[76:77]
	s_and_saveexec_b64 s[76:77], s[44:45]
	s_cbranch_execz .LBB72_65
.LBB72_97:                              ;   in Loop: Header=BB72_41 Depth=1
	v_mov_b32_e32 v10, s99
	ds_read_b32 v10, v10
	s_waitcnt lgkmcnt(0)
	v_add_u32_e32 v8, v10, v8
	s_or_b64 exec, exec, s[76:77]
	s_and_saveexec_b64 s[76:77], s[46:47]
	s_cbranch_execnz .LBB72_66
.LBB72_98:                              ;   in Loop: Header=BB72_41 Depth=1
	s_or_b64 exec, exec, s[76:77]
	s_and_saveexec_b64 s[76:77], s[48:49]
	s_cbranch_execz .LBB72_67
.LBB72_99:                              ;   in Loop: Header=BB72_41 Depth=1
	v_mov_b32_e32 v10, s73
	ds_read_b32 v10, v10
	s_waitcnt lgkmcnt(0)
	v_add_u32_e32 v8, v10, v8
	s_or_b64 exec, exec, s[76:77]
	s_and_saveexec_b64 s[76:77], s[50:51]
	s_cbranch_execnz .LBB72_68
.LBB72_100:                             ;   in Loop: Header=BB72_41 Depth=1
	s_or_b64 exec, exec, s[76:77]
	s_and_saveexec_b64 s[76:77], s[52:53]
	s_cbranch_execz .LBB72_69
.LBB72_101:                             ;   in Loop: Header=BB72_41 Depth=1
	v_mov_b32_e32 v10, s68
	ds_read_b32 v10, v10
	s_waitcnt lgkmcnt(0)
	v_add_u32_e32 v8, v10, v8
	s_or_b64 exec, exec, s[76:77]
	s_and_saveexec_b64 s[76:77], s[54:55]
	s_cbranch_execnz .LBB72_70
.LBB72_102:                             ;   in Loop: Header=BB72_41 Depth=1
	s_or_b64 exec, exec, s[76:77]
	s_and_saveexec_b64 s[76:77], s[56:57]
	s_cbranch_execz .LBB72_71
.LBB72_103:                             ;   in Loop: Header=BB72_41 Depth=1
	v_mov_b32_e32 v10, s67
	ds_read_b32 v10, v10
	s_waitcnt lgkmcnt(0)
	v_add_u32_e32 v8, v10, v8
	s_or_b64 exec, exec, s[76:77]
	s_and_saveexec_b64 s[76:77], s[58:59]
	s_cbranch_execnz .LBB72_72
.LBB72_104:                             ;   in Loop: Header=BB72_41 Depth=1
	s_or_b64 exec, exec, s[76:77]
	s_and_saveexec_b64 s[76:77], s[64:65]
	s_cbranch_execz .LBB72_73
.LBB72_105:                             ;   in Loop: Header=BB72_41 Depth=1
	scratch_load_dwordx4 v[10:13], off, off
	v_add3_u32 v14, v7, -1, v8
	v_add_u32_e32 v15, v7, v8
	v_lshl_add_u32 v14, v14, 2, 0
	v_lshl_add_u32 v15, v15, 4, 0
	v_add_u32_e32 v15, 0x7ff0, v15
	ds_write_b32 v14, v9
	s_waitcnt vmcnt(0)
	ds_write2_b64 v15, v[10:11], v[12:13] offset1:1
	s_or_b64 exec, exec, s[76:77]
	s_and_saveexec_b64 s[64:65], vcc
	s_cbranch_execz .LBB72_40
.LBB72_106:                             ;   in Loop: Header=BB72_41 Depth=1
	v_mov_b32_e32 v9, s78
	ds_write_b32 v9, v8
	s_branch .LBB72_40
.LBB72_107:
	s_or_b64 exec, exec, s[74:75]
	v_readlane_b32 s0, v26, 0
	v_readlane_b32 s1, v26, 1
	s_ashr_i32 s1, s0, 31
	s_lshl_b64 s[0:1], s[0:1], 2
	v_readlane_b32 s2, v26, 2
	v_readlane_b32 s3, v26, 3
	s_add_u32 s2, s2, s0
	s_addc_u32 s3, s3, s1
	s_load_dwordx2 s[0:1], s[2:3], 0x0
	s_waitcnt lgkmcnt(0)
	s_sub_i32 s14, s1, s0
	v_cmp_gt_i32_e32 vcc, s14, v0
	s_and_saveexec_b64 s[2:3], vcc
	v_readlane_b32 s22, v26, 4
	v_readlane_b32 s23, v26, 5
	s_cbranch_execz .LBB72_121
; %bb.108:
	s_sub_i32 s8, s0, s66
	v_sub_co_u32_e64 v1, s[0:1], s14, 2
	s_nop 0
	v_readfirstlane_b32 s2, v1
	s_lshr_b32 s2, s2, 1
	s_add_i32 s2, s2, 1
	s_xor_b64 s[0:1], s[0:1], -1
	s_and_b32 s15, s14, -2
	s_and_b32 s3, s2, 7
	s_and_b32 s16, s2, -8
	s_cmp_lg_u32 s3, 0
	v_cmp_lt_u32_e32 vcc, 13, v1
	s_cselect_b64 s[4:5], -1, 0
	s_cmp_lg_u32 s14, s15
	v_cndmask_b32_e64 v1, 0, 1, vcc
	s_cselect_b64 s[10:11], -1, 0
	s_lshl_b32 s17, s3, 3
	v_cndmask_b32_e64 v2, 0, 1, s[0:1]
	v_cmp_ne_u32_e64 s[2:3], 1, v1
	v_cndmask_b32_e64 v1, 0, 1, s[4:5]
	s_mov_b32 s9, 0
	s_mov_b64 s[12:13], 0
	v_cmp_ne_u32_e64 s[0:1], 1, v2
	v_cmp_ne_u32_e64 s[4:5], 1, v1
	s_mov_b32 s18, 0x8000
	s_branch .LBB72_110
.LBB72_109:                             ;   in Loop: Header=BB72_110 Depth=1
	v_mul_lo_u32 v3, v0, 12
	v_add3_u32 v1, v1, v3, s18
	s_waitcnt lgkmcnt(0)
	ds_read2_b64 v[4:7], v1 offset1:1
	v_add_u32_e32 v0, 0x400, v0
	v_ashrrev_i32_e32 v3, 31, v2
	v_cmp_le_i32_e32 vcc, s14, v0
	v_lshl_add_u64 v[2:3], v[2:3], 4, s[22:23]
	s_or_b64 s[12:13], vcc, s[12:13]
	s_waitcnt lgkmcnt(0)
	global_store_dwordx4 v[2:3], v[4:7], off
	s_andn2_b64 exec, exec, s[12:13]
	s_cbranch_execz .LBB72_121
.LBB72_110:                             ; =>This Loop Header: Depth=1
                                        ;     Child Loop BB72_113 Depth 2
                                        ;     Child Loop BB72_116 Depth 2
	;; [unrolled: 1-line block ×3, first 2 shown]
	v_lshl_add_u32 v1, v0, 2, 0
	ds_read_b32 v4, v1
	s_and_b64 vcc, exec, s[0:1]
	v_mov_b32_e32 v2, s8
	s_mov_b32 s19, 0
	s_mov_b64 s[6:7], -1
	s_cbranch_vccnz .LBB72_118
; %bb.111:                              ;   in Loop: Header=BB72_110 Depth=1
	s_and_b64 vcc, exec, s[2:3]
	v_mov_b64_e32 v[2:3], s[8:9]
	s_cbranch_vccnz .LBB72_114
; %bb.112:                              ;   in Loop: Header=BB72_110 Depth=1
	s_mov_b32 s20, 0
	v_mov_b32_e32 v2, s8
	v_mov_b32_e32 v3, 0
	s_mov_b32 s21, s16
.LBB72_113:                             ;   Parent Loop BB72_110 Depth=1
                                        ; =>  This Inner Loop Header: Depth=2
	v_mov_b32_e32 v5, s20
	ds_read2_b32 v[6:7], v5 offset1:1
	ds_read2_b32 v[8:9], v5 offset0:2 offset1:3
	ds_read2_b32 v[10:11], v5 offset0:4 offset1:5
	;; [unrolled: 1-line block ×7, first 2 shown]
	s_waitcnt lgkmcnt(7)
	v_cmp_gt_i32_e32 vcc, v4, v7
	s_waitcnt lgkmcnt(5)
	v_cmp_gt_i32_e64 s[6:7], v4, v10
	s_add_i32 s19, s19, 16
	v_cndmask_b32_e64 v5, 0, 1, vcc
	v_cmp_gt_i32_e32 vcc, v4, v6
	v_cndmask_b32_e64 v7, 0, 1, s[6:7]
	v_cmp_gt_i32_e64 s[6:7], v4, v11
	v_cndmask_b32_e64 v6, 0, 1, vcc
	v_cmp_gt_i32_e32 vcc, v4, v9
	v_cndmask_b32_e64 v9, 0, 1, s[6:7]
	s_waitcnt lgkmcnt(3)
	v_cmp_gt_i32_e64 s[6:7], v4, v15
	v_addc_co_u32_e32 v3, vcc, v3, v5, vcc
	s_nop 0
	v_cndmask_b32_e64 v10, 0, 1, s[6:7]
	v_cmp_gt_i32_e64 s[6:7], v4, v14
	v_cmp_gt_i32_e32 vcc, v4, v12
	s_add_i32 s20, s20, 64
	v_cndmask_b32_e64 v11, 0, 1, s[6:7]
	s_waitcnt lgkmcnt(1)
	v_cmp_gt_i32_e64 s[6:7], v4, v18
	s_add_i32 s21, s21, -8
	s_cmp_lg_u32 s21, 0
	v_cndmask_b32_e64 v14, 0, 1, s[6:7]
	v_cmp_gt_i32_e64 s[6:7], v4, v19
	s_nop 1
	v_cndmask_b32_e64 v15, 0, 1, s[6:7]
	v_cmp_gt_i32_e64 s[6:7], v4, v8
	s_nop 1
	v_addc_co_u32_e64 v2, s[6:7], v2, v6, s[6:7]
	v_cmp_gt_i32_e64 s[6:7], v4, v13
	v_addc_co_u32_e32 v2, vcc, v2, v7, vcc
	s_nop 0
	v_addc_co_u32_e64 v3, s[6:7], v3, v9, s[6:7]
	v_cmp_gt_i32_e32 vcc, v4, v17
	v_cmp_gt_i32_e64 s[6:7], v4, v16
	s_nop 0
	v_addc_co_u32_e32 v3, vcc, v3, v10, vcc
	v_addc_co_u32_e64 v2, s[6:7], v2, v11, s[6:7]
	s_waitcnt lgkmcnt(0)
	v_cmp_gt_i32_e32 vcc, v4, v20
	v_cmp_gt_i32_e64 s[6:7], v4, v21
	s_nop 0
	v_addc_co_u32_e32 v2, vcc, v2, v14, vcc
	v_addc_co_u32_e64 v3, s[6:7], v3, v15, s[6:7]
	s_cbranch_scc1 .LBB72_113
.LBB72_114:                             ;   in Loop: Header=BB72_110 Depth=1
	s_and_b64 vcc, exec, s[4:5]
	s_cbranch_vccnz .LBB72_117
; %bb.115:                              ;   in Loop: Header=BB72_110 Depth=1
	s_lshl_b32 s6, s19, 2
	s_add_i32 s6, s6, 0
	s_mov_b32 s7, s17
.LBB72_116:                             ;   Parent Loop BB72_110 Depth=1
                                        ; =>  This Inner Loop Header: Depth=2
	v_mov_b32_e32 v5, s6
	ds_read2_b32 v[6:7], v5 offset1:1
	s_add_i32 s6, s6, 8
	s_add_i32 s7, s7, -8
	s_cmp_lg_u32 s7, 0
	s_waitcnt lgkmcnt(0)
	v_cmp_gt_i32_e32 vcc, v4, v7
	s_nop 1
	v_addc_co_u32_e32 v3, vcc, 0, v3, vcc
	v_cmp_gt_i32_e32 vcc, v4, v6
	s_nop 1
	v_addc_co_u32_e32 v2, vcc, 0, v2, vcc
	s_cbranch_scc1 .LBB72_116
.LBB72_117:                             ;   in Loop: Header=BB72_110 Depth=1
	v_add_u32_e32 v2, v2, v3
	s_mov_b32 s19, s15
	s_mov_b64 s[6:7], s[10:11]
.LBB72_118:                             ;   in Loop: Header=BB72_110 Depth=1
	s_and_b64 vcc, exec, s[6:7]
	s_cbranch_vccz .LBB72_109
; %bb.119:                              ;   in Loop: Header=BB72_110 Depth=1
	s_lshl_b32 s6, s19, 2
	s_add_i32 s6, s6, 0
.LBB72_120:                             ;   Parent Loop BB72_110 Depth=1
                                        ; =>  This Inner Loop Header: Depth=2
	v_mov_b32_e32 v3, s6
	ds_read_b32 v3, v3
	s_add_i32 s19, s19, 1
	s_add_i32 s6, s6, 4
	s_cmp_ge_i32 s19, s14
	s_waitcnt lgkmcnt(0)
	v_cmp_gt_i32_e32 vcc, v4, v3
	s_nop 1
	v_addc_co_u32_e32 v2, vcc, 0, v2, vcc
	s_cbranch_scc0 .LBB72_120
	s_branch .LBB72_109
.LBB72_121:
	s_endpgm
	.section	.rodata,"a",@progbits
	.p2align	6, 0x0
	.amdhsa_kernel _ZN9rocsparseL41csrgemm_numeric_fill_block_per_row_kernelILj1024ELj64ELj8192ELj137ELj32Eii21rocsparse_complex_numIdEEEvT5_PKS3_S5_NS_24const_host_device_scalarIT6_EEPKT4_S5_PKS7_SB_S5_SD_S8_SB_S5_SD_SB_S5_PS7_21rocsparse_index_base_SF_SF_SF_bbb
		.amdhsa_group_segment_fixed_size 0
		.amdhsa_private_segment_fixed_size 40
		.amdhsa_kernarg_size 172
		.amdhsa_user_sgpr_count 2
		.amdhsa_user_sgpr_dispatch_ptr 0
		.amdhsa_user_sgpr_queue_ptr 0
		.amdhsa_user_sgpr_kernarg_segment_ptr 1
		.amdhsa_user_sgpr_dispatch_id 0
		.amdhsa_user_sgpr_kernarg_preload_length 0
		.amdhsa_user_sgpr_kernarg_preload_offset 0
		.amdhsa_user_sgpr_private_segment_size 0
		.amdhsa_uses_dynamic_stack 0
		.amdhsa_enable_private_segment 1
		.amdhsa_system_sgpr_workgroup_id_x 1
		.amdhsa_system_sgpr_workgroup_id_y 0
		.amdhsa_system_sgpr_workgroup_id_z 0
		.amdhsa_system_sgpr_workgroup_info 0
		.amdhsa_system_vgpr_workitem_id 0
		.amdhsa_next_free_vgpr 27
		.amdhsa_next_free_sgpr 100
		.amdhsa_accum_offset 28
		.amdhsa_reserve_vcc 1
		.amdhsa_float_round_mode_32 0
		.amdhsa_float_round_mode_16_64 0
		.amdhsa_float_denorm_mode_32 3
		.amdhsa_float_denorm_mode_16_64 3
		.amdhsa_dx10_clamp 1
		.amdhsa_ieee_mode 1
		.amdhsa_fp16_overflow 0
		.amdhsa_tg_split 0
		.amdhsa_exception_fp_ieee_invalid_op 0
		.amdhsa_exception_fp_denorm_src 0
		.amdhsa_exception_fp_ieee_div_zero 0
		.amdhsa_exception_fp_ieee_overflow 0
		.amdhsa_exception_fp_ieee_underflow 0
		.amdhsa_exception_fp_ieee_inexact 0
		.amdhsa_exception_int_div_zero 0
	.end_amdhsa_kernel
	.section	.text._ZN9rocsparseL41csrgemm_numeric_fill_block_per_row_kernelILj1024ELj64ELj8192ELj137ELj32Eii21rocsparse_complex_numIdEEEvT5_PKS3_S5_NS_24const_host_device_scalarIT6_EEPKT4_S5_PKS7_SB_S5_SD_S8_SB_S5_SD_SB_S5_PS7_21rocsparse_index_base_SF_SF_SF_bbb,"axG",@progbits,_ZN9rocsparseL41csrgemm_numeric_fill_block_per_row_kernelILj1024ELj64ELj8192ELj137ELj32Eii21rocsparse_complex_numIdEEEvT5_PKS3_S5_NS_24const_host_device_scalarIT6_EEPKT4_S5_PKS7_SB_S5_SD_S8_SB_S5_SD_SB_S5_PS7_21rocsparse_index_base_SF_SF_SF_bbb,comdat
.Lfunc_end72:
	.size	_ZN9rocsparseL41csrgemm_numeric_fill_block_per_row_kernelILj1024ELj64ELj8192ELj137ELj32Eii21rocsparse_complex_numIdEEEvT5_PKS3_S5_NS_24const_host_device_scalarIT6_EEPKT4_S5_PKS7_SB_S5_SD_S8_SB_S5_SD_SB_S5_PS7_21rocsparse_index_base_SF_SF_SF_bbb, .Lfunc_end72-_ZN9rocsparseL41csrgemm_numeric_fill_block_per_row_kernelILj1024ELj64ELj8192ELj137ELj32Eii21rocsparse_complex_numIdEEEvT5_PKS3_S5_NS_24const_host_device_scalarIT6_EEPKT4_S5_PKS7_SB_S5_SD_S8_SB_S5_SD_SB_S5_PS7_21rocsparse_index_base_SF_SF_SF_bbb
                                        ; -- End function
	.set _ZN9rocsparseL41csrgemm_numeric_fill_block_per_row_kernelILj1024ELj64ELj8192ELj137ELj32Eii21rocsparse_complex_numIdEEEvT5_PKS3_S5_NS_24const_host_device_scalarIT6_EEPKT4_S5_PKS7_SB_S5_SD_S8_SB_S5_SD_SB_S5_PS7_21rocsparse_index_base_SF_SF_SF_bbb.num_vgpr, 27
	.set _ZN9rocsparseL41csrgemm_numeric_fill_block_per_row_kernelILj1024ELj64ELj8192ELj137ELj32Eii21rocsparse_complex_numIdEEEvT5_PKS3_S5_NS_24const_host_device_scalarIT6_EEPKT4_S5_PKS7_SB_S5_SD_S8_SB_S5_SD_SB_S5_PS7_21rocsparse_index_base_SF_SF_SF_bbb.num_agpr, 0
	.set _ZN9rocsparseL41csrgemm_numeric_fill_block_per_row_kernelILj1024ELj64ELj8192ELj137ELj32Eii21rocsparse_complex_numIdEEEvT5_PKS3_S5_NS_24const_host_device_scalarIT6_EEPKT4_S5_PKS7_SB_S5_SD_S8_SB_S5_SD_SB_S5_PS7_21rocsparse_index_base_SF_SF_SF_bbb.numbered_sgpr, 100
	.set _ZN9rocsparseL41csrgemm_numeric_fill_block_per_row_kernelILj1024ELj64ELj8192ELj137ELj32Eii21rocsparse_complex_numIdEEEvT5_PKS3_S5_NS_24const_host_device_scalarIT6_EEPKT4_S5_PKS7_SB_S5_SD_S8_SB_S5_SD_SB_S5_PS7_21rocsparse_index_base_SF_SF_SF_bbb.num_named_barrier, 0
	.set _ZN9rocsparseL41csrgemm_numeric_fill_block_per_row_kernelILj1024ELj64ELj8192ELj137ELj32Eii21rocsparse_complex_numIdEEEvT5_PKS3_S5_NS_24const_host_device_scalarIT6_EEPKT4_S5_PKS7_SB_S5_SD_S8_SB_S5_SD_SB_S5_PS7_21rocsparse_index_base_SF_SF_SF_bbb.private_seg_size, 40
	.set _ZN9rocsparseL41csrgemm_numeric_fill_block_per_row_kernelILj1024ELj64ELj8192ELj137ELj32Eii21rocsparse_complex_numIdEEEvT5_PKS3_S5_NS_24const_host_device_scalarIT6_EEPKT4_S5_PKS7_SB_S5_SD_S8_SB_S5_SD_SB_S5_PS7_21rocsparse_index_base_SF_SF_SF_bbb.uses_vcc, 1
	.set _ZN9rocsparseL41csrgemm_numeric_fill_block_per_row_kernelILj1024ELj64ELj8192ELj137ELj32Eii21rocsparse_complex_numIdEEEvT5_PKS3_S5_NS_24const_host_device_scalarIT6_EEPKT4_S5_PKS7_SB_S5_SD_S8_SB_S5_SD_SB_S5_PS7_21rocsparse_index_base_SF_SF_SF_bbb.uses_flat_scratch, 0
	.set _ZN9rocsparseL41csrgemm_numeric_fill_block_per_row_kernelILj1024ELj64ELj8192ELj137ELj32Eii21rocsparse_complex_numIdEEEvT5_PKS3_S5_NS_24const_host_device_scalarIT6_EEPKT4_S5_PKS7_SB_S5_SD_S8_SB_S5_SD_SB_S5_PS7_21rocsparse_index_base_SF_SF_SF_bbb.has_dyn_sized_stack, 0
	.set _ZN9rocsparseL41csrgemm_numeric_fill_block_per_row_kernelILj1024ELj64ELj8192ELj137ELj32Eii21rocsparse_complex_numIdEEEvT5_PKS3_S5_NS_24const_host_device_scalarIT6_EEPKT4_S5_PKS7_SB_S5_SD_S8_SB_S5_SD_SB_S5_PS7_21rocsparse_index_base_SF_SF_SF_bbb.has_recursion, 0
	.set _ZN9rocsparseL41csrgemm_numeric_fill_block_per_row_kernelILj1024ELj64ELj8192ELj137ELj32Eii21rocsparse_complex_numIdEEEvT5_PKS3_S5_NS_24const_host_device_scalarIT6_EEPKT4_S5_PKS7_SB_S5_SD_S8_SB_S5_SD_SB_S5_PS7_21rocsparse_index_base_SF_SF_SF_bbb.has_indirect_call, 0
	.section	.AMDGPU.csdata,"",@progbits
; Kernel info:
; codeLenInByte = 5152
; TotalNumSgprs: 106
; NumVgprs: 27
; NumAgprs: 0
; TotalNumVgprs: 27
; ScratchSize: 40
; MemoryBound: 0
; FloatMode: 240
; IeeeMode: 1
; LDSByteSize: 0 bytes/workgroup (compile time only)
; SGPRBlocks: 13
; VGPRBlocks: 3
; NumSGPRsForWavesPerEU: 106
; NumVGPRsForWavesPerEU: 27
; AccumOffset: 28
; Occupancy: 7
; WaveLimiterHint : 1
; COMPUTE_PGM_RSRC2:SCRATCH_EN: 1
; COMPUTE_PGM_RSRC2:USER_SGPR: 2
; COMPUTE_PGM_RSRC2:TRAP_HANDLER: 0
; COMPUTE_PGM_RSRC2:TGID_X_EN: 1
; COMPUTE_PGM_RSRC2:TGID_Y_EN: 0
; COMPUTE_PGM_RSRC2:TGID_Z_EN: 0
; COMPUTE_PGM_RSRC2:TIDIG_COMP_CNT: 0
; COMPUTE_PGM_RSRC3_GFX90A:ACCUM_OFFSET: 6
; COMPUTE_PGM_RSRC3_GFX90A:TG_SPLIT: 0
	.section	.text._ZN9rocsparseL41csrgemm_numeric_fill_block_per_row_kernelILj1024ELj64ELj8192ELj137ELj64Eii21rocsparse_complex_numIdEEEvT5_PKS3_S5_NS_24const_host_device_scalarIT6_EEPKT4_S5_PKS7_SB_S5_SD_S8_SB_S5_SD_SB_S5_PS7_21rocsparse_index_base_SF_SF_SF_bbb,"axG",@progbits,_ZN9rocsparseL41csrgemm_numeric_fill_block_per_row_kernelILj1024ELj64ELj8192ELj137ELj64Eii21rocsparse_complex_numIdEEEvT5_PKS3_S5_NS_24const_host_device_scalarIT6_EEPKT4_S5_PKS7_SB_S5_SD_S8_SB_S5_SD_SB_S5_PS7_21rocsparse_index_base_SF_SF_SF_bbb,comdat
	.globl	_ZN9rocsparseL41csrgemm_numeric_fill_block_per_row_kernelILj1024ELj64ELj8192ELj137ELj64Eii21rocsparse_complex_numIdEEEvT5_PKS3_S5_NS_24const_host_device_scalarIT6_EEPKT4_S5_PKS7_SB_S5_SD_S8_SB_S5_SD_SB_S5_PS7_21rocsparse_index_base_SF_SF_SF_bbb ; -- Begin function _ZN9rocsparseL41csrgemm_numeric_fill_block_per_row_kernelILj1024ELj64ELj8192ELj137ELj64Eii21rocsparse_complex_numIdEEEvT5_PKS3_S5_NS_24const_host_device_scalarIT6_EEPKT4_S5_PKS7_SB_S5_SD_S8_SB_S5_SD_SB_S5_PS7_21rocsparse_index_base_SF_SF_SF_bbb
	.p2align	8
	.type	_ZN9rocsparseL41csrgemm_numeric_fill_block_per_row_kernelILj1024ELj64ELj8192ELj137ELj64Eii21rocsparse_complex_numIdEEEvT5_PKS3_S5_NS_24const_host_device_scalarIT6_EEPKT4_S5_PKS7_SB_S5_SD_S8_SB_S5_SD_SB_S5_PS7_21rocsparse_index_base_SF_SF_SF_bbb,@function
_ZN9rocsparseL41csrgemm_numeric_fill_block_per_row_kernelILj1024ELj64ELj8192ELj137ELj64Eii21rocsparse_complex_numIdEEEvT5_PKS3_S5_NS_24const_host_device_scalarIT6_EEPKT4_S5_PKS7_SB_S5_SD_S8_SB_S5_SD_SB_S5_PS7_21rocsparse_index_base_SF_SF_SF_bbb: ; @_ZN9rocsparseL41csrgemm_numeric_fill_block_per_row_kernelILj1024ELj64ELj8192ELj137ELj64Eii21rocsparse_complex_numIdEEEvT5_PKS3_S5_NS_24const_host_device_scalarIT6_EEPKT4_S5_PKS7_SB_S5_SD_S8_SB_S5_SD_SB_S5_PS7_21rocsparse_index_base_SF_SF_SF_bbb
; %bb.0:
	s_load_dword s3, s[0:1], 0xa8
	s_load_dwordx8 s[8:15], s[0:1], 0x8
	s_load_dwordx4 s[36:39], s[0:1], 0x98
	s_load_dwordx4 s[16:19], s[0:1], 0x58
	v_mov_b64_e32 v[6:7], 0
	v_mov_b64_e32 v[10:11], 0
	s_waitcnt lgkmcnt(0)
	s_bitcmp1_b32 s3, 0
	s_cselect_b64 s[6:7], -1, 0
	s_bitcmp1_b32 s3, 16
	s_cselect_b64 s[20:21], -1, 0
	s_xor_b64 s[4:5], s[20:21], -1
	v_mov_b64_e32 v[2:3], s[12:13]
	v_cndmask_b32_e64 v1, 0, 1, s[4:5]
	scratch_store_dwordx2 off, v[2:3], off offset:16
	v_mov_b64_e32 v[2:3], s[16:17]
	s_bitcmp0_b32 s3, 0
	v_cmp_ne_u32_e64 s[4:5], 1, v1
	v_mov_b64_e32 v[12:13], 0
	scratch_store_dwordx2 off, v[2:3], off offset:24
	s_cbranch_scc1 .LBB73_3
; %bb.1:
	s_mov_b64 s[22:23], src_private_base
	s_and_b64 s[24:25], s[20:21], exec
	s_cselect_b32 s22, s23, s13
	s_cselect_b32 s23, 16, s12
	v_mov_b32_e32 v2, s23
	v_mov_b32_e32 v3, s22
	flat_load_dwordx2 v[10:11], v[2:3]
	s_and_b64 vcc, exec, s[4:5]
	v_mov_b64_e32 v[12:13], s[14:15]
	s_cbranch_vccnz .LBB73_3
; %bb.2:
	v_mov_b64_e32 v[2:3], s[12:13]
	flat_load_dwordx2 v[12:13], v[2:3] offset:8
.LBB73_3:
	s_bitcmp1_b32 s3, 8
	s_cselect_b64 s[12:13], -1, 0
	s_bfe_u32 s3, s3, 0x10008
	s_cmp_eq_u32 s3, 0
	v_mov_b64_e32 v[8:9], 0
	s_cbranch_scc1 .LBB73_6
; %bb.4:
	s_mov_b64 s[14:15], src_private_base
	s_and_b64 s[20:21], s[20:21], exec
	s_cselect_b32 s3, s15, s17
	s_cselect_b32 s14, 24, s16
	v_mov_b32_e32 v2, s14
	v_mov_b32_e32 v3, s3
	flat_load_dwordx2 v[8:9], v[2:3]
	s_and_b64 vcc, exec, s[4:5]
	v_mov_b64_e32 v[6:7], s[18:19]
	s_cbranch_vccnz .LBB73_6
; %bb.5:
	v_mov_b64_e32 v[2:3], s[16:17]
	flat_load_dwordx2 v[6:7], v[2:3] offset:8
.LBB73_6:
	s_load_dword s33, s[0:1], 0x0
	s_mov_b32 s4, 0
	v_lshl_add_u32 v1, v0, 2, 0
	v_mad_u32_u24 v14, v0, 12, v1
	s_mov_b32 s5, s4
	s_waitcnt lgkmcnt(0)
	v_mov_b32_e32 v2, s33
	s_mov_b32 s14, s4
	s_mov_b32 s15, s4
	v_add_u32_e32 v15, 0x8000, v14
	ds_write_b32 v1, v2
	v_mov_b64_e32 v[2:3], s[4:5]
	v_mov_b64_e32 v[4:5], s[14:15]
	ds_write2_b64 v15, v[2:3], v[4:5] offset1:1
	v_mad_i32_i24 v14, v0, -12, v14
	v_mov_b32_e32 v15, s33
	s_add_i32 s3, 0, 0x8000
	ds_write_b32 v14, v15 offset:4096
	v_mad_u32_u24 v14, v0, 12, v14
	v_lshl_add_u32 v16, v0, 4, s3
	v_add_u32_e32 v15, 0xc000, v14
	v_add_u32_e32 v17, 0x8000, v16
	ds_write2_b64 v15, v[2:3], v[4:5] offset1:1
	v_mad_i32_i24 v14, v0, -12, v14
	v_mov_b32_e32 v15, s33
	ds_write2_b64 v17, v[2:3], v[4:5] offset1:1
	v_mov_b32_e32 v17, s33
	ds_write2st64_b32 v14, v15, v17 offset0:32 offset1:48
	v_add_u32_e32 v15, 0xc000, v16
	v_add_u32_e32 v17, 0x10000, v16
	ds_write2_b64 v15, v[2:3], v[4:5] offset1:1
	v_mov_b32_e32 v15, s33
	ds_write2_b64 v17, v[2:3], v[4:5] offset1:1
	v_mov_b32_e32 v17, s33
	ds_write2st64_b32 v14, v15, v17 offset0:64 offset1:80
	v_add_u32_e32 v15, 0x14000, v16
	v_add_u32_e32 v17, 0x18000, v16
	ds_write2_b64 v15, v[2:3], v[4:5] offset1:1
	v_mov_b32_e32 v15, s33
	ds_write2_b64 v17, v[2:3], v[4:5] offset1:1
	v_mov_b32_e32 v17, s33
	ds_write2st64_b32 v14, v15, v17 offset0:96 offset1:112
	v_add_u32_e32 v14, 0x1c000, v16
	ds_write2_b64 v14, v[2:3], v[4:5] offset1:1
	s_waitcnt lgkmcnt(0)
	s_barrier
	s_load_dword s3, s[8:9], 0x0
	v_lshrrev_b32_e32 v22, 6, v0
	s_waitcnt lgkmcnt(0)
	s_add_i32 s2, s3, s2
	s_mov_b32 s3, s4
	s_lshl_b64 s[2:3], s[2:3], 2
	s_add_u32 s2, s10, s2
	s_addc_u32 s3, s11, s3
	s_load_dword s40, s[2:3], 0x0
	s_andn2_b64 vcc, exec, s[6:7]
	s_cbranch_vccnz .LBB73_24
; %bb.7:
	s_load_dwordx2 s[2:3], s[0:1], 0x28
	s_waitcnt lgkmcnt(0)
	s_ashr_i32 s41, s40, 31
	s_lshl_b64 s[4:5], s[40:41], 2
	v_subrev_u32_e32 v2, s36, v22
	s_add_u32 s2, s2, s4
	s_addc_u32 s3, s3, s5
	s_load_dwordx2 s[4:5], s[2:3], 0x0
	s_waitcnt lgkmcnt(0)
	s_sub_i32 s34, s5, s36
	v_add_u32_e32 v14, s4, v2
	v_cmp_gt_i32_e32 vcc, s34, v14
	s_and_saveexec_b64 s[2:3], vcc
	s_cbranch_execz .LBB73_23
; %bb.8:
	s_load_dwordx2 s[14:15], s[0:1], 0x50
	s_load_dwordx8 s[4:11], s[0:1], 0x30
	v_and_b32_e32 v2, 63, v0
	v_subrev_u32_e32 v23, s37, v2
	s_mov_b64 s[16:17], 0
	s_movk_i32 s35, 0x89
	s_branch .LBB73_10
.LBB73_9:                               ;   in Loop: Header=BB73_10 Depth=1
	s_or_b64 exec, exec, s[18:19]
	v_add_u32_e32 v14, 16, v14
	v_cmp_le_i32_e32 vcc, s34, v14
	s_or_b64 s[16:17], vcc, s[16:17]
	s_andn2_b64 exec, exec, s[16:17]
	s_cbranch_execz .LBB73_23
.LBB73_10:                              ; =>This Loop Header: Depth=1
                                        ;     Child Loop BB73_14 Depth 2
                                        ;       Child Loop BB73_17 Depth 3
	v_ashrrev_i32_e32 v15, 31, v14
	s_waitcnt lgkmcnt(0)
	v_lshl_add_u64 v[2:3], v[14:15], 2, s[4:5]
	global_load_dword v2, v[2:3], off
	s_waitcnt vmcnt(0)
	v_subrev_u32_e32 v2, s36, v2
	v_ashrrev_i32_e32 v3, 31, v2
	v_lshl_add_u64 v[2:3], v[2:3], 2, s[8:9]
	global_load_dwordx2 v[2:3], v[2:3], off
	s_waitcnt vmcnt(0)
	v_subrev_u32_e32 v24, s37, v3
	v_add_u32_e32 v16, v2, v23
	v_cmp_lt_i32_e32 vcc, v16, v24
	s_and_saveexec_b64 s[18:19], vcc
	s_cbranch_execz .LBB73_9
; %bb.11:                               ;   in Loop: Header=BB73_10 Depth=1
	v_lshl_add_u64 v[2:3], v[14:15], 4, s[6:7]
	global_load_dwordx4 v[2:5], v[2:3], off
	s_mov_b64 s[20:21], 0
	s_waitcnt vmcnt(0)
	v_mul_f64 v[18:19], v[4:5], -v[12:13]
	v_mul_f64 v[20:21], v[10:11], v[4:5]
	v_fmac_f64_e32 v[18:19], v[10:11], v[2:3]
	v_fmac_f64_e32 v[20:21], v[12:13], v[2:3]
	s_branch .LBB73_14
.LBB73_12:                              ;   in Loop: Header=BB73_14 Depth=2
	s_or_b64 exec, exec, s[24:25]
.LBB73_13:                              ;   in Loop: Header=BB73_14 Depth=2
	s_or_b64 exec, exec, s[22:23]
	s_waitcnt vmcnt(0)
	v_mul_f64 v[26:27], v[4:5], -v[20:21]
	v_mul_f64 v[4:5], v[18:19], v[4:5]
	v_fmac_f64_e32 v[26:27], v[18:19], v[2:3]
	v_fmac_f64_e32 v[4:5], v[20:21], v[2:3]
	v_lshl_add_u32 v2, v15, 4, 0
	ds_add_f64 v2, v[26:27] offset:32768
	ds_add_f64 v2, v[4:5] offset:32776
	v_add_u32_e32 v16, 64, v16
	v_cmp_ge_i32_e32 vcc, v16, v24
	s_or_b64 s[20:21], vcc, s[20:21]
	s_andn2_b64 exec, exec, s[20:21]
	s_cbranch_execz .LBB73_9
.LBB73_14:                              ;   Parent Loop BB73_10 Depth=1
                                        ; =>  This Loop Header: Depth=2
                                        ;       Child Loop BB73_17 Depth 3
	v_ashrrev_i32_e32 v17, 31, v16
	v_lshl_add_u64 v[2:3], v[16:17], 2, s[10:11]
	global_load_dword v15, v[2:3], off
	v_lshl_add_u64 v[2:3], v[16:17], 4, s[14:15]
	global_load_dwordx4 v[2:5], v[2:3], off
	s_waitcnt vmcnt(1)
	v_subrev_u32_e32 v17, s37, v15
	v_mul_lo_u32 v15, v17, s35
	v_and_b32_e32 v15, 0x1fff, v15
	v_lshl_add_u32 v25, v15, 2, 0
	ds_read_b32 v26, v25
	s_waitcnt lgkmcnt(0)
	v_cmp_ne_u32_e32 vcc, v26, v17
	s_and_saveexec_b64 s[22:23], vcc
	s_cbranch_execz .LBB73_13
; %bb.15:                               ;   in Loop: Header=BB73_14 Depth=2
	s_mov_b64 s[24:25], 0
	s_branch .LBB73_17
.LBB73_16:                              ;   in Loop: Header=BB73_17 Depth=3
	s_or_b64 exec, exec, s[30:31]
	s_and_b64 s[26:27], exec, s[28:29]
	s_or_b64 s[24:25], s[26:27], s[24:25]
	s_andn2_b64 exec, exec, s[24:25]
	s_cbranch_execz .LBB73_12
.LBB73_17:                              ;   Parent Loop BB73_10 Depth=1
                                        ;     Parent Loop BB73_14 Depth=2
                                        ; =>    This Inner Loop Header: Depth=3
	v_cmp_ne_u32_e32 vcc, s33, v26
	s_mov_b64 s[26:27], 0
	s_and_saveexec_b64 s[28:29], vcc
	s_xor_b64 s[28:29], exec, s[28:29]
	s_cbranch_execz .LBB73_19
; %bb.18:                               ;   in Loop: Header=BB73_17 Depth=3
	v_add_u32_e32 v15, 1, v15
	s_mov_b64 s[26:27], exec
	v_and_b32_e32 v15, 0x1fff, v15
                                        ; implicit-def: $vgpr25
	s_andn2_saveexec_b64 s[28:29], s[28:29]
	s_cbranch_execz .LBB73_21
	s_branch .LBB73_20
.LBB73_19:                              ;   in Loop: Header=BB73_17 Depth=3
	s_andn2_saveexec_b64 s[28:29], s[28:29]
	s_cbranch_execz .LBB73_21
.LBB73_20:                              ;   in Loop: Header=BB73_17 Depth=3
	v_mov_b32_e32 v26, s33
	ds_cmpst_rtn_b32 v25, v25, v26, v17
	s_andn2_b64 s[26:27], s[26:27], exec
	s_waitcnt lgkmcnt(0)
	v_cmp_ne_u32_e32 vcc, s33, v25
	s_and_b64 s[30:31], vcc, exec
	s_or_b64 s[26:27], s[26:27], s[30:31]
.LBB73_21:                              ;   in Loop: Header=BB73_17 Depth=3
	s_or_b64 exec, exec, s[28:29]
	s_mov_b64 s[28:29], -1
                                        ; implicit-def: $vgpr25
                                        ; implicit-def: $vgpr26
	s_and_saveexec_b64 s[30:31], s[26:27]
	s_cbranch_execz .LBB73_16
; %bb.22:                               ;   in Loop: Header=BB73_17 Depth=3
	v_lshl_add_u32 v25, v15, 2, 0
	ds_read_b32 v26, v25
	s_waitcnt lgkmcnt(0)
	v_cmp_eq_u32_e32 vcc, v26, v17
	s_orn2_b64 s[28:29], vcc, exec
	s_branch .LBB73_16
.LBB73_23:
	s_or_b64 exec, exec, s[2:3]
.LBB73_24:
	s_load_dwordx2 s[34:35], s[0:1], 0x90
	s_load_dwordx2 s[36:37], s[0:1], 0x80
	s_andn2_b64 vcc, exec, s[12:13]
	s_cbranch_vccnz .LBB73_39
; %bb.25:
	s_load_dwordx2 s[2:3], s[0:1], 0x68
	s_waitcnt lgkmcnt(0)
	s_ashr_i32 s41, s40, 31
	s_lshl_b64 s[4:5], s[40:41], 2
	v_subrev_u32_e32 v2, s39, v0
	s_add_u32 s2, s2, s4
	s_addc_u32 s3, s3, s5
	s_load_dwordx2 s[4:5], s[2:3], 0x0
	s_waitcnt lgkmcnt(0)
	s_sub_i32 s18, s5, s39
	s_waitcnt vmcnt(0)
	v_add_u32_e32 v10, s4, v2
	v_cmp_gt_i32_e32 vcc, s18, v10
	s_and_saveexec_b64 s[2:3], vcc
	s_cbranch_execz .LBB73_38
; %bb.26:
	s_load_dwordx4 s[4:7], s[0:1], 0x70
	s_mov_b64 s[0:1], 0
	s_movk_i32 s19, 0x89
	s_branch .LBB73_29
.LBB73_27:                              ;   in Loop: Header=BB73_29 Depth=1
	s_or_b64 exec, exec, s[10:11]
.LBB73_28:                              ;   in Loop: Header=BB73_29 Depth=1
	s_or_b64 exec, exec, s[8:9]
	s_waitcnt vmcnt(0)
	v_mul_f64 v[12:13], v[4:5], -v[6:7]
	v_mul_f64 v[4:5], v[8:9], v[4:5]
	v_fmac_f64_e32 v[12:13], v[8:9], v[2:3]
	v_fmac_f64_e32 v[4:5], v[6:7], v[2:3]
	v_lshl_add_u32 v2, v11, 4, 0
	ds_add_f64 v2, v[12:13] offset:32768
	ds_add_f64 v2, v[4:5] offset:32776
	v_add_u32_e32 v10, 0x400, v10
	v_cmp_le_i32_e32 vcc, s18, v10
	s_or_b64 s[0:1], vcc, s[0:1]
	s_andn2_b64 exec, exec, s[0:1]
	s_cbranch_execz .LBB73_38
.LBB73_29:                              ; =>This Loop Header: Depth=1
                                        ;     Child Loop BB73_32 Depth 2
	v_ashrrev_i32_e32 v11, 31, v10
	s_waitcnt lgkmcnt(0)
	v_lshl_add_u64 v[2:3], v[10:11], 2, s[4:5]
	global_load_dword v12, v[2:3], off
	v_lshl_add_u64 v[2:3], v[10:11], 4, s[6:7]
	global_load_dwordx4 v[2:5], v[2:3], off
	s_waitcnt vmcnt(1)
	v_subrev_u32_e32 v12, s39, v12
	v_mul_lo_u32 v11, v12, s19
	v_and_b32_e32 v11, 0x1fff, v11
	v_lshl_add_u32 v13, v11, 2, 0
	ds_read_b32 v14, v13
	s_waitcnt lgkmcnt(0)
	v_cmp_ne_u32_e32 vcc, v14, v12
	s_and_saveexec_b64 s[8:9], vcc
	s_cbranch_execz .LBB73_28
; %bb.30:                               ;   in Loop: Header=BB73_29 Depth=1
	s_mov_b64 s[10:11], 0
	s_branch .LBB73_32
.LBB73_31:                              ;   in Loop: Header=BB73_32 Depth=2
	s_or_b64 exec, exec, s[16:17]
	s_and_b64 s[12:13], exec, s[14:15]
	s_or_b64 s[10:11], s[12:13], s[10:11]
	s_andn2_b64 exec, exec, s[10:11]
	s_cbranch_execz .LBB73_27
.LBB73_32:                              ;   Parent Loop BB73_29 Depth=1
                                        ; =>  This Inner Loop Header: Depth=2
	v_cmp_ne_u32_e32 vcc, s33, v14
	s_mov_b64 s[12:13], 0
	s_and_saveexec_b64 s[14:15], vcc
	s_xor_b64 s[14:15], exec, s[14:15]
	s_cbranch_execz .LBB73_34
; %bb.33:                               ;   in Loop: Header=BB73_32 Depth=2
	v_add_u32_e32 v11, 1, v11
	s_mov_b64 s[12:13], exec
	v_and_b32_e32 v11, 0x1fff, v11
                                        ; implicit-def: $vgpr13
	s_andn2_saveexec_b64 s[14:15], s[14:15]
	s_cbranch_execz .LBB73_36
	s_branch .LBB73_35
.LBB73_34:                              ;   in Loop: Header=BB73_32 Depth=2
	s_andn2_saveexec_b64 s[14:15], s[14:15]
	s_cbranch_execz .LBB73_36
.LBB73_35:                              ;   in Loop: Header=BB73_32 Depth=2
	v_mov_b32_e32 v14, s33
	ds_cmpst_rtn_b32 v13, v13, v14, v12
	s_andn2_b64 s[12:13], s[12:13], exec
	s_waitcnt lgkmcnt(0)
	v_cmp_ne_u32_e32 vcc, s33, v13
	s_and_b64 s[16:17], vcc, exec
	s_or_b64 s[12:13], s[12:13], s[16:17]
.LBB73_36:                              ;   in Loop: Header=BB73_32 Depth=2
	s_or_b64 exec, exec, s[14:15]
	s_mov_b64 s[14:15], -1
                                        ; implicit-def: $vgpr13
                                        ; implicit-def: $vgpr14
	s_and_saveexec_b64 s[16:17], s[12:13]
	s_cbranch_execz .LBB73_31
; %bb.37:                               ;   in Loop: Header=BB73_32 Depth=2
	v_lshl_add_u32 v13, v11, 2, 0
	ds_read_b32 v14, v13
	s_waitcnt lgkmcnt(0)
	v_cmp_eq_u32_e32 vcc, v14, v12
	s_orn2_b64 s[14:15], vcc, exec
	s_branch .LBB73_31
.LBB73_38:
	s_or_b64 exec, exec, s[2:3]
.LBB73_39:
	v_mbcnt_lo_u32_b32 v2, -1, 0
	v_mbcnt_hi_u32_b32 v2, -1, v2
	v_sub_u32_e32 v2, 63, v2
	s_add_i32 s39, 0, 0x28000
	s_movk_i32 s0, 0x3ff
	s_movk_i32 s2, 0x7f
	;; [unrolled: 1-line block ×15, first 2 shown]
	v_lshl_add_u32 v5, v0, 4, 0
	s_add_i32 s59, 0, 0x2803c
	v_lshrrev_b64 v[2:3], v2, -1
	v_lshl_add_u32 v4, v22, 2, s39
	v_cmp_eq_u32_e32 vcc, s0, v0
	v_cmp_lt_u32_e64 s[0:1], 63, v0
	v_cmp_lt_u32_e64 s[2:3], s2, v0
	;; [unrolled: 1-line block ×15, first 2 shown]
	v_add_u32_e32 v5, 0x8000, v5
	s_waitcnt vmcnt(0)
	v_or_b32_e32 v6, 0xfffffc00, v0
	s_mov_b64 s[42:43], 0
	v_mov_b32_e32 v7, 0
	s_add_i32 s41, 0, 0x28004
	s_add_i32 s46, 0, 0x28008
	;; [unrolled: 1-line block ×14, first 2 shown]
	v_mov_b32_e32 v8, s59
	s_movk_i32 s60, 0x1bff
	s_waitcnt lgkmcnt(0)
	s_barrier
	s_branch .LBB73_41
.LBB73_40:                              ;   in Loop: Header=BB73_41 Depth=1
	s_or_b64 exec, exec, s[30:31]
	s_waitcnt lgkmcnt(0)
	s_barrier
	ds_read_b32 v9, v8
	v_add_u32_e32 v6, 0x400, v6
	v_cmp_lt_u32_e64 s[30:31], s60, v6
	v_add_u32_e32 v5, 0x4000, v5
	s_or_b64 s[42:43], s[30:31], s[42:43]
	s_waitcnt lgkmcnt(0)
	v_add_u32_e32 v7, v9, v7
	v_add_u32_e32 v1, 0x1000, v1
	s_andn2_b64 exec, exec, s[42:43]
	s_cbranch_execz .LBB73_75
.LBB73_41:                              ; =>This Inner Loop Header: Depth=1
	ds_read2_b64 v[12:15], v5 offset1:1
	ds_read_b32 v10, v1
	s_waitcnt lgkmcnt(1)
	scratch_store_dwordx4 off, v[12:15], off
	s_waitcnt lgkmcnt(0)
	v_cmp_gt_i32_e64 s[30:31], s33, v10
	s_bcnt1_i32_b64 s44, s[30:31]
	s_nop 0
	v_and_b32_e32 v11, s30, v2
	v_and_b32_e32 v9, s31, v3
	v_bcnt_u32_b32 v11, v11, 0
	v_bcnt_u32_b32 v9, v9, v11
	v_mov_b32_e32 v11, s44
	s_barrier
	ds_write_b32 v4, v11
	s_waitcnt lgkmcnt(0)
	s_barrier
	s_and_saveexec_b64 s[44:45], s[0:1]
	s_cbranch_execz .LBB73_58
; %bb.42:                               ;   in Loop: Header=BB73_41 Depth=1
	v_mov_b32_e32 v11, s39
	ds_read_b32 v11, v11
	s_waitcnt lgkmcnt(0)
	v_add_u32_e32 v9, v11, v9
	s_or_b64 exec, exec, s[44:45]
	s_and_saveexec_b64 s[44:45], s[2:3]
	s_cbranch_execnz .LBB73_59
.LBB73_43:                              ;   in Loop: Header=BB73_41 Depth=1
	s_or_b64 exec, exec, s[44:45]
	s_and_saveexec_b64 s[44:45], s[4:5]
	s_cbranch_execz .LBB73_60
.LBB73_44:                              ;   in Loop: Header=BB73_41 Depth=1
	v_mov_b32_e32 v11, s46
	ds_read_b32 v11, v11
	s_waitcnt lgkmcnt(0)
	v_add_u32_e32 v9, v11, v9
	s_or_b64 exec, exec, s[44:45]
	s_and_saveexec_b64 s[44:45], s[6:7]
	s_cbranch_execnz .LBB73_61
.LBB73_45:                              ;   in Loop: Header=BB73_41 Depth=1
	s_or_b64 exec, exec, s[44:45]
	s_and_saveexec_b64 s[44:45], s[8:9]
	s_cbranch_execz .LBB73_62
.LBB73_46:                              ;   in Loop: Header=BB73_41 Depth=1
	v_mov_b32_e32 v11, s48
	ds_read_b32 v11, v11
	s_waitcnt lgkmcnt(0)
	v_add_u32_e32 v9, v11, v9
	s_or_b64 exec, exec, s[44:45]
	s_and_saveexec_b64 s[44:45], s[10:11]
	s_cbranch_execnz .LBB73_63
.LBB73_47:                              ;   in Loop: Header=BB73_41 Depth=1
	s_or_b64 exec, exec, s[44:45]
	s_and_saveexec_b64 s[44:45], s[12:13]
	s_cbranch_execz .LBB73_64
.LBB73_48:                              ;   in Loop: Header=BB73_41 Depth=1
	v_mov_b32_e32 v11, s50
	ds_read_b32 v11, v11
	s_waitcnt lgkmcnt(0)
	v_add_u32_e32 v9, v11, v9
	s_or_b64 exec, exec, s[44:45]
	s_and_saveexec_b64 s[44:45], s[14:15]
	s_cbranch_execnz .LBB73_65
.LBB73_49:                              ;   in Loop: Header=BB73_41 Depth=1
	s_or_b64 exec, exec, s[44:45]
	s_and_saveexec_b64 s[44:45], s[16:17]
	s_cbranch_execz .LBB73_66
.LBB73_50:                              ;   in Loop: Header=BB73_41 Depth=1
	v_mov_b32_e32 v11, s52
	ds_read_b32 v11, v11
	s_waitcnt lgkmcnt(0)
	v_add_u32_e32 v9, v11, v9
	s_or_b64 exec, exec, s[44:45]
	s_and_saveexec_b64 s[44:45], s[18:19]
	s_cbranch_execnz .LBB73_67
.LBB73_51:                              ;   in Loop: Header=BB73_41 Depth=1
	s_or_b64 exec, exec, s[44:45]
	s_and_saveexec_b64 s[44:45], s[20:21]
	s_cbranch_execz .LBB73_68
.LBB73_52:                              ;   in Loop: Header=BB73_41 Depth=1
	v_mov_b32_e32 v11, s54
	ds_read_b32 v11, v11
	s_waitcnt lgkmcnt(0)
	v_add_u32_e32 v9, v11, v9
	s_or_b64 exec, exec, s[44:45]
	s_and_saveexec_b64 s[44:45], s[22:23]
	s_cbranch_execnz .LBB73_69
.LBB73_53:                              ;   in Loop: Header=BB73_41 Depth=1
	s_or_b64 exec, exec, s[44:45]
	s_and_saveexec_b64 s[44:45], s[24:25]
	s_cbranch_execz .LBB73_70
.LBB73_54:                              ;   in Loop: Header=BB73_41 Depth=1
	v_mov_b32_e32 v11, s56
	ds_read_b32 v11, v11
	s_waitcnt lgkmcnt(0)
	v_add_u32_e32 v9, v11, v9
	s_or_b64 exec, exec, s[44:45]
	s_and_saveexec_b64 s[44:45], s[26:27]
	s_cbranch_execnz .LBB73_71
.LBB73_55:                              ;   in Loop: Header=BB73_41 Depth=1
	s_or_b64 exec, exec, s[44:45]
	s_and_saveexec_b64 s[44:45], s[28:29]
	s_cbranch_execz .LBB73_72
.LBB73_56:                              ;   in Loop: Header=BB73_41 Depth=1
	v_mov_b32_e32 v11, s58
	ds_read_b32 v11, v11
	s_waitcnt lgkmcnt(0)
	v_add_u32_e32 v9, v11, v9
	s_or_b64 exec, exec, s[44:45]
	s_and_saveexec_b64 s[44:45], s[30:31]
	s_cbranch_execnz .LBB73_73
.LBB73_57:                              ;   in Loop: Header=BB73_41 Depth=1
	s_or_b64 exec, exec, s[44:45]
	s_and_saveexec_b64 s[30:31], vcc
	s_cbranch_execz .LBB73_40
	s_branch .LBB73_74
.LBB73_58:                              ;   in Loop: Header=BB73_41 Depth=1
	s_or_b64 exec, exec, s[44:45]
	s_and_saveexec_b64 s[44:45], s[2:3]
	s_cbranch_execz .LBB73_43
.LBB73_59:                              ;   in Loop: Header=BB73_41 Depth=1
	v_mov_b32_e32 v11, s41
	ds_read_b32 v11, v11
	s_waitcnt lgkmcnt(0)
	v_add_u32_e32 v9, v11, v9
	s_or_b64 exec, exec, s[44:45]
	s_and_saveexec_b64 s[44:45], s[4:5]
	s_cbranch_execnz .LBB73_44
.LBB73_60:                              ;   in Loop: Header=BB73_41 Depth=1
	s_or_b64 exec, exec, s[44:45]
	s_and_saveexec_b64 s[44:45], s[6:7]
	s_cbranch_execz .LBB73_45
.LBB73_61:                              ;   in Loop: Header=BB73_41 Depth=1
	v_mov_b32_e32 v11, s47
	ds_read_b32 v11, v11
	s_waitcnt lgkmcnt(0)
	v_add_u32_e32 v9, v11, v9
	s_or_b64 exec, exec, s[44:45]
	s_and_saveexec_b64 s[44:45], s[8:9]
	s_cbranch_execnz .LBB73_46
.LBB73_62:                              ;   in Loop: Header=BB73_41 Depth=1
	s_or_b64 exec, exec, s[44:45]
	s_and_saveexec_b64 s[44:45], s[10:11]
	s_cbranch_execz .LBB73_47
.LBB73_63:                              ;   in Loop: Header=BB73_41 Depth=1
	v_mov_b32_e32 v11, s49
	ds_read_b32 v11, v11
	s_waitcnt lgkmcnt(0)
	v_add_u32_e32 v9, v11, v9
	s_or_b64 exec, exec, s[44:45]
	s_and_saveexec_b64 s[44:45], s[12:13]
	s_cbranch_execnz .LBB73_48
.LBB73_64:                              ;   in Loop: Header=BB73_41 Depth=1
	s_or_b64 exec, exec, s[44:45]
	s_and_saveexec_b64 s[44:45], s[14:15]
	s_cbranch_execz .LBB73_49
.LBB73_65:                              ;   in Loop: Header=BB73_41 Depth=1
	v_mov_b32_e32 v11, s51
	ds_read_b32 v11, v11
	s_waitcnt lgkmcnt(0)
	v_add_u32_e32 v9, v11, v9
	s_or_b64 exec, exec, s[44:45]
	s_and_saveexec_b64 s[44:45], s[16:17]
	s_cbranch_execnz .LBB73_50
.LBB73_66:                              ;   in Loop: Header=BB73_41 Depth=1
	s_or_b64 exec, exec, s[44:45]
	s_and_saveexec_b64 s[44:45], s[18:19]
	s_cbranch_execz .LBB73_51
.LBB73_67:                              ;   in Loop: Header=BB73_41 Depth=1
	v_mov_b32_e32 v11, s53
	ds_read_b32 v11, v11
	s_waitcnt lgkmcnt(0)
	v_add_u32_e32 v9, v11, v9
	s_or_b64 exec, exec, s[44:45]
	s_and_saveexec_b64 s[44:45], s[20:21]
	s_cbranch_execnz .LBB73_52
.LBB73_68:                              ;   in Loop: Header=BB73_41 Depth=1
	s_or_b64 exec, exec, s[44:45]
	s_and_saveexec_b64 s[44:45], s[22:23]
	s_cbranch_execz .LBB73_53
.LBB73_69:                              ;   in Loop: Header=BB73_41 Depth=1
	v_mov_b32_e32 v11, s55
	ds_read_b32 v11, v11
	s_waitcnt lgkmcnt(0)
	v_add_u32_e32 v9, v11, v9
	s_or_b64 exec, exec, s[44:45]
	s_and_saveexec_b64 s[44:45], s[24:25]
	s_cbranch_execnz .LBB73_54
.LBB73_70:                              ;   in Loop: Header=BB73_41 Depth=1
	s_or_b64 exec, exec, s[44:45]
	s_and_saveexec_b64 s[44:45], s[26:27]
	s_cbranch_execz .LBB73_55
.LBB73_71:                              ;   in Loop: Header=BB73_41 Depth=1
	v_mov_b32_e32 v11, s57
	ds_read_b32 v11, v11
	s_waitcnt lgkmcnt(0)
	v_add_u32_e32 v9, v11, v9
	s_or_b64 exec, exec, s[44:45]
	s_and_saveexec_b64 s[44:45], s[28:29]
	s_cbranch_execnz .LBB73_56
.LBB73_72:                              ;   in Loop: Header=BB73_41 Depth=1
	s_or_b64 exec, exec, s[44:45]
	s_and_saveexec_b64 s[44:45], s[30:31]
	s_cbranch_execz .LBB73_57
.LBB73_73:                              ;   in Loop: Header=BB73_41 Depth=1
	scratch_load_dwordx4 v[12:15], off, off
	v_add3_u32 v11, v7, -1, v9
	v_add_u32_e32 v16, v7, v9
	v_lshl_add_u32 v11, v11, 2, 0
	v_lshl_add_u32 v16, v16, 4, 0
	v_add_u32_e32 v16, 0x7ff0, v16
	ds_write_b32 v11, v10
	s_waitcnt vmcnt(0)
	ds_write2_b64 v16, v[12:13], v[14:15] offset1:1
	s_or_b64 exec, exec, s[44:45]
	s_and_saveexec_b64 s[30:31], vcc
	s_cbranch_execz .LBB73_40
.LBB73_74:                              ;   in Loop: Header=BB73_41 Depth=1
	v_mov_b32_e32 v10, s59
	ds_write_b32 v10, v9
	s_branch .LBB73_40
.LBB73_75:
	s_or_b64 exec, exec, s[42:43]
	s_ashr_i32 s41, s40, 31
	s_lshl_b64 s[0:1], s[40:41], 2
	s_add_u32 s2, s36, s0
	s_addc_u32 s3, s37, s1
	s_load_dwordx2 s[0:1], s[2:3], 0x0
	s_waitcnt lgkmcnt(0)
	s_sub_i32 s14, s1, s0
	v_cmp_gt_i32_e32 vcc, s14, v0
	s_and_saveexec_b64 s[2:3], vcc
	s_cbranch_execz .LBB73_89
; %bb.76:
	s_sub_i32 s8, s0, s38
	v_sub_co_u32_e64 v1, s[0:1], s14, 2
	s_nop 0
	v_readfirstlane_b32 s2, v1
	s_lshr_b32 s2, s2, 1
	s_add_i32 s2, s2, 1
	s_xor_b64 s[0:1], s[0:1], -1
	s_and_b32 s15, s14, -2
	s_and_b32 s3, s2, 7
	s_and_b32 s16, s2, -8
	s_cmp_lg_u32 s3, 0
	v_cmp_lt_u32_e32 vcc, 13, v1
	s_cselect_b64 s[4:5], -1, 0
	s_cmp_lg_u32 s14, s15
	v_cndmask_b32_e64 v1, 0, 1, vcc
	s_cselect_b64 s[10:11], -1, 0
	s_lshl_b32 s17, s3, 3
	v_cndmask_b32_e64 v2, 0, 1, s[0:1]
	v_cmp_ne_u32_e64 s[2:3], 1, v1
	v_cndmask_b32_e64 v1, 0, 1, s[4:5]
	s_mov_b32 s9, 0
	s_mov_b64 s[12:13], 0
	v_cmp_ne_u32_e64 s[0:1], 1, v2
	v_cmp_ne_u32_e64 s[4:5], 1, v1
	s_mov_b32 s18, 0x8000
	s_branch .LBB73_78
.LBB73_77:                              ;   in Loop: Header=BB73_78 Depth=1
	v_mul_lo_u32 v3, v0, 12
	v_add3_u32 v1, v1, v3, s18
	s_waitcnt lgkmcnt(0)
	ds_read2_b64 v[4:7], v1 offset1:1
	v_add_u32_e32 v0, 0x400, v0
	v_ashrrev_i32_e32 v3, 31, v2
	v_cmp_le_i32_e32 vcc, s14, v0
	v_lshl_add_u64 v[2:3], v[2:3], 4, s[34:35]
	s_or_b64 s[12:13], vcc, s[12:13]
	s_waitcnt lgkmcnt(0)
	global_store_dwordx4 v[2:3], v[4:7], off
	s_andn2_b64 exec, exec, s[12:13]
	s_cbranch_execz .LBB73_89
.LBB73_78:                              ; =>This Loop Header: Depth=1
                                        ;     Child Loop BB73_81 Depth 2
                                        ;     Child Loop BB73_84 Depth 2
	;; [unrolled: 1-line block ×3, first 2 shown]
	v_lshl_add_u32 v1, v0, 2, 0
	ds_read_b32 v4, v1
	s_and_b64 vcc, exec, s[0:1]
	v_mov_b32_e32 v2, s8
	s_mov_b32 s19, 0
	s_mov_b64 s[6:7], -1
	s_cbranch_vccnz .LBB73_86
; %bb.79:                               ;   in Loop: Header=BB73_78 Depth=1
	s_and_b64 vcc, exec, s[2:3]
	v_mov_b64_e32 v[2:3], s[8:9]
	s_cbranch_vccnz .LBB73_82
; %bb.80:                               ;   in Loop: Header=BB73_78 Depth=1
	s_mov_b32 s20, 0
	v_mov_b32_e32 v2, s8
	v_mov_b32_e32 v3, 0
	s_mov_b32 s21, s16
.LBB73_81:                              ;   Parent Loop BB73_78 Depth=1
                                        ; =>  This Inner Loop Header: Depth=2
	v_mov_b32_e32 v5, s20
	ds_read2_b32 v[6:7], v5 offset1:1
	ds_read2_b32 v[8:9], v5 offset0:2 offset1:3
	ds_read2_b32 v[10:11], v5 offset0:4 offset1:5
	;; [unrolled: 1-line block ×7, first 2 shown]
	s_waitcnt lgkmcnt(7)
	v_cmp_gt_i32_e32 vcc, v4, v7
	s_waitcnt lgkmcnt(5)
	v_cmp_gt_i32_e64 s[6:7], v4, v10
	s_add_i32 s19, s19, 16
	v_cndmask_b32_e64 v5, 0, 1, vcc
	v_cmp_gt_i32_e32 vcc, v4, v6
	v_cndmask_b32_e64 v7, 0, 1, s[6:7]
	v_cmp_gt_i32_e64 s[6:7], v4, v11
	v_cndmask_b32_e64 v6, 0, 1, vcc
	v_cmp_gt_i32_e32 vcc, v4, v9
	v_cndmask_b32_e64 v9, 0, 1, s[6:7]
	s_waitcnt lgkmcnt(3)
	v_cmp_gt_i32_e64 s[6:7], v4, v15
	v_addc_co_u32_e32 v3, vcc, v3, v5, vcc
	s_nop 0
	v_cndmask_b32_e64 v10, 0, 1, s[6:7]
	v_cmp_gt_i32_e64 s[6:7], v4, v14
	v_cmp_gt_i32_e32 vcc, v4, v12
	s_add_i32 s20, s20, 64
	v_cndmask_b32_e64 v11, 0, 1, s[6:7]
	s_waitcnt lgkmcnt(1)
	v_cmp_gt_i32_e64 s[6:7], v4, v18
	s_add_i32 s21, s21, -8
	s_cmp_lg_u32 s21, 0
	v_cndmask_b32_e64 v14, 0, 1, s[6:7]
	v_cmp_gt_i32_e64 s[6:7], v4, v19
	s_nop 1
	v_cndmask_b32_e64 v15, 0, 1, s[6:7]
	v_cmp_gt_i32_e64 s[6:7], v4, v8
	s_nop 1
	v_addc_co_u32_e64 v2, s[6:7], v2, v6, s[6:7]
	v_cmp_gt_i32_e64 s[6:7], v4, v13
	v_addc_co_u32_e32 v2, vcc, v2, v7, vcc
	s_nop 0
	v_addc_co_u32_e64 v3, s[6:7], v3, v9, s[6:7]
	v_cmp_gt_i32_e32 vcc, v4, v17
	v_cmp_gt_i32_e64 s[6:7], v4, v16
	s_nop 0
	v_addc_co_u32_e32 v3, vcc, v3, v10, vcc
	v_addc_co_u32_e64 v2, s[6:7], v2, v11, s[6:7]
	s_waitcnt lgkmcnt(0)
	v_cmp_gt_i32_e32 vcc, v4, v20
	v_cmp_gt_i32_e64 s[6:7], v4, v21
	s_nop 0
	v_addc_co_u32_e32 v2, vcc, v2, v14, vcc
	v_addc_co_u32_e64 v3, s[6:7], v3, v15, s[6:7]
	s_cbranch_scc1 .LBB73_81
.LBB73_82:                              ;   in Loop: Header=BB73_78 Depth=1
	s_and_b64 vcc, exec, s[4:5]
	s_cbranch_vccnz .LBB73_85
; %bb.83:                               ;   in Loop: Header=BB73_78 Depth=1
	s_lshl_b32 s6, s19, 2
	s_add_i32 s6, s6, 0
	s_mov_b32 s7, s17
.LBB73_84:                              ;   Parent Loop BB73_78 Depth=1
                                        ; =>  This Inner Loop Header: Depth=2
	v_mov_b32_e32 v5, s6
	ds_read2_b32 v[6:7], v5 offset1:1
	s_add_i32 s6, s6, 8
	s_add_i32 s7, s7, -8
	s_cmp_lg_u32 s7, 0
	s_waitcnt lgkmcnt(0)
	v_cmp_gt_i32_e32 vcc, v4, v7
	s_nop 1
	v_addc_co_u32_e32 v3, vcc, 0, v3, vcc
	v_cmp_gt_i32_e32 vcc, v4, v6
	s_nop 1
	v_addc_co_u32_e32 v2, vcc, 0, v2, vcc
	s_cbranch_scc1 .LBB73_84
.LBB73_85:                              ;   in Loop: Header=BB73_78 Depth=1
	v_add_u32_e32 v2, v2, v3
	s_mov_b32 s19, s15
	s_mov_b64 s[6:7], s[10:11]
.LBB73_86:                              ;   in Loop: Header=BB73_78 Depth=1
	s_and_b64 vcc, exec, s[6:7]
	s_cbranch_vccz .LBB73_77
; %bb.87:                               ;   in Loop: Header=BB73_78 Depth=1
	s_lshl_b32 s6, s19, 2
	s_add_i32 s6, s6, 0
.LBB73_88:                              ;   Parent Loop BB73_78 Depth=1
                                        ; =>  This Inner Loop Header: Depth=2
	v_mov_b32_e32 v3, s6
	ds_read_b32 v3, v3
	s_add_i32 s19, s19, 1
	s_add_i32 s6, s6, 4
	s_cmp_ge_i32 s19, s14
	s_waitcnt lgkmcnt(0)
	v_cmp_gt_i32_e32 vcc, v4, v3
	s_nop 1
	v_addc_co_u32_e32 v2, vcc, 0, v2, vcc
	s_cbranch_scc0 .LBB73_88
	s_branch .LBB73_77
.LBB73_89:
	s_endpgm
	.section	.rodata,"a",@progbits
	.p2align	6, 0x0
	.amdhsa_kernel _ZN9rocsparseL41csrgemm_numeric_fill_block_per_row_kernelILj1024ELj64ELj8192ELj137ELj64Eii21rocsparse_complex_numIdEEEvT5_PKS3_S5_NS_24const_host_device_scalarIT6_EEPKT4_S5_PKS7_SB_S5_SD_S8_SB_S5_SD_SB_S5_PS7_21rocsparse_index_base_SF_SF_SF_bbb
		.amdhsa_group_segment_fixed_size 0
		.amdhsa_private_segment_fixed_size 40
		.amdhsa_kernarg_size 172
		.amdhsa_user_sgpr_count 2
		.amdhsa_user_sgpr_dispatch_ptr 0
		.amdhsa_user_sgpr_queue_ptr 0
		.amdhsa_user_sgpr_kernarg_segment_ptr 1
		.amdhsa_user_sgpr_dispatch_id 0
		.amdhsa_user_sgpr_kernarg_preload_length 0
		.amdhsa_user_sgpr_kernarg_preload_offset 0
		.amdhsa_user_sgpr_private_segment_size 0
		.amdhsa_uses_dynamic_stack 0
		.amdhsa_enable_private_segment 1
		.amdhsa_system_sgpr_workgroup_id_x 1
		.amdhsa_system_sgpr_workgroup_id_y 0
		.amdhsa_system_sgpr_workgroup_id_z 0
		.amdhsa_system_sgpr_workgroup_info 0
		.amdhsa_system_vgpr_workitem_id 0
		.amdhsa_next_free_vgpr 28
		.amdhsa_next_free_sgpr 61
		.amdhsa_accum_offset 28
		.amdhsa_reserve_vcc 1
		.amdhsa_float_round_mode_32 0
		.amdhsa_float_round_mode_16_64 0
		.amdhsa_float_denorm_mode_32 3
		.amdhsa_float_denorm_mode_16_64 3
		.amdhsa_dx10_clamp 1
		.amdhsa_ieee_mode 1
		.amdhsa_fp16_overflow 0
		.amdhsa_tg_split 0
		.amdhsa_exception_fp_ieee_invalid_op 0
		.amdhsa_exception_fp_denorm_src 0
		.amdhsa_exception_fp_ieee_div_zero 0
		.amdhsa_exception_fp_ieee_overflow 0
		.amdhsa_exception_fp_ieee_underflow 0
		.amdhsa_exception_fp_ieee_inexact 0
		.amdhsa_exception_int_div_zero 0
	.end_amdhsa_kernel
	.section	.text._ZN9rocsparseL41csrgemm_numeric_fill_block_per_row_kernelILj1024ELj64ELj8192ELj137ELj64Eii21rocsparse_complex_numIdEEEvT5_PKS3_S5_NS_24const_host_device_scalarIT6_EEPKT4_S5_PKS7_SB_S5_SD_S8_SB_S5_SD_SB_S5_PS7_21rocsparse_index_base_SF_SF_SF_bbb,"axG",@progbits,_ZN9rocsparseL41csrgemm_numeric_fill_block_per_row_kernelILj1024ELj64ELj8192ELj137ELj64Eii21rocsparse_complex_numIdEEEvT5_PKS3_S5_NS_24const_host_device_scalarIT6_EEPKT4_S5_PKS7_SB_S5_SD_S8_SB_S5_SD_SB_S5_PS7_21rocsparse_index_base_SF_SF_SF_bbb,comdat
.Lfunc_end73:
	.size	_ZN9rocsparseL41csrgemm_numeric_fill_block_per_row_kernelILj1024ELj64ELj8192ELj137ELj64Eii21rocsparse_complex_numIdEEEvT5_PKS3_S5_NS_24const_host_device_scalarIT6_EEPKT4_S5_PKS7_SB_S5_SD_S8_SB_S5_SD_SB_S5_PS7_21rocsparse_index_base_SF_SF_SF_bbb, .Lfunc_end73-_ZN9rocsparseL41csrgemm_numeric_fill_block_per_row_kernelILj1024ELj64ELj8192ELj137ELj64Eii21rocsparse_complex_numIdEEEvT5_PKS3_S5_NS_24const_host_device_scalarIT6_EEPKT4_S5_PKS7_SB_S5_SD_S8_SB_S5_SD_SB_S5_PS7_21rocsparse_index_base_SF_SF_SF_bbb
                                        ; -- End function
	.set _ZN9rocsparseL41csrgemm_numeric_fill_block_per_row_kernelILj1024ELj64ELj8192ELj137ELj64Eii21rocsparse_complex_numIdEEEvT5_PKS3_S5_NS_24const_host_device_scalarIT6_EEPKT4_S5_PKS7_SB_S5_SD_S8_SB_S5_SD_SB_S5_PS7_21rocsparse_index_base_SF_SF_SF_bbb.num_vgpr, 28
	.set _ZN9rocsparseL41csrgemm_numeric_fill_block_per_row_kernelILj1024ELj64ELj8192ELj137ELj64Eii21rocsparse_complex_numIdEEEvT5_PKS3_S5_NS_24const_host_device_scalarIT6_EEPKT4_S5_PKS7_SB_S5_SD_S8_SB_S5_SD_SB_S5_PS7_21rocsparse_index_base_SF_SF_SF_bbb.num_agpr, 0
	.set _ZN9rocsparseL41csrgemm_numeric_fill_block_per_row_kernelILj1024ELj64ELj8192ELj137ELj64Eii21rocsparse_complex_numIdEEEvT5_PKS3_S5_NS_24const_host_device_scalarIT6_EEPKT4_S5_PKS7_SB_S5_SD_S8_SB_S5_SD_SB_S5_PS7_21rocsparse_index_base_SF_SF_SF_bbb.numbered_sgpr, 61
	.set _ZN9rocsparseL41csrgemm_numeric_fill_block_per_row_kernelILj1024ELj64ELj8192ELj137ELj64Eii21rocsparse_complex_numIdEEEvT5_PKS3_S5_NS_24const_host_device_scalarIT6_EEPKT4_S5_PKS7_SB_S5_SD_S8_SB_S5_SD_SB_S5_PS7_21rocsparse_index_base_SF_SF_SF_bbb.num_named_barrier, 0
	.set _ZN9rocsparseL41csrgemm_numeric_fill_block_per_row_kernelILj1024ELj64ELj8192ELj137ELj64Eii21rocsparse_complex_numIdEEEvT5_PKS3_S5_NS_24const_host_device_scalarIT6_EEPKT4_S5_PKS7_SB_S5_SD_S8_SB_S5_SD_SB_S5_PS7_21rocsparse_index_base_SF_SF_SF_bbb.private_seg_size, 40
	.set _ZN9rocsparseL41csrgemm_numeric_fill_block_per_row_kernelILj1024ELj64ELj8192ELj137ELj64Eii21rocsparse_complex_numIdEEEvT5_PKS3_S5_NS_24const_host_device_scalarIT6_EEPKT4_S5_PKS7_SB_S5_SD_S8_SB_S5_SD_SB_S5_PS7_21rocsparse_index_base_SF_SF_SF_bbb.uses_vcc, 1
	.set _ZN9rocsparseL41csrgemm_numeric_fill_block_per_row_kernelILj1024ELj64ELj8192ELj137ELj64Eii21rocsparse_complex_numIdEEEvT5_PKS3_S5_NS_24const_host_device_scalarIT6_EEPKT4_S5_PKS7_SB_S5_SD_S8_SB_S5_SD_SB_S5_PS7_21rocsparse_index_base_SF_SF_SF_bbb.uses_flat_scratch, 0
	.set _ZN9rocsparseL41csrgemm_numeric_fill_block_per_row_kernelILj1024ELj64ELj8192ELj137ELj64Eii21rocsparse_complex_numIdEEEvT5_PKS3_S5_NS_24const_host_device_scalarIT6_EEPKT4_S5_PKS7_SB_S5_SD_S8_SB_S5_SD_SB_S5_PS7_21rocsparse_index_base_SF_SF_SF_bbb.has_dyn_sized_stack, 0
	.set _ZN9rocsparseL41csrgemm_numeric_fill_block_per_row_kernelILj1024ELj64ELj8192ELj137ELj64Eii21rocsparse_complex_numIdEEEvT5_PKS3_S5_NS_24const_host_device_scalarIT6_EEPKT4_S5_PKS7_SB_S5_SD_S8_SB_S5_SD_SB_S5_PS7_21rocsparse_index_base_SF_SF_SF_bbb.has_recursion, 0
	.set _ZN9rocsparseL41csrgemm_numeric_fill_block_per_row_kernelILj1024ELj64ELj8192ELj137ELj64Eii21rocsparse_complex_numIdEEEvT5_PKS3_S5_NS_24const_host_device_scalarIT6_EEPKT4_S5_PKS7_SB_S5_SD_S8_SB_S5_SD_SB_S5_PS7_21rocsparse_index_base_SF_SF_SF_bbb.has_indirect_call, 0
	.section	.AMDGPU.csdata,"",@progbits
; Kernel info:
; codeLenInByte = 3836
; TotalNumSgprs: 67
; NumVgprs: 28
; NumAgprs: 0
; TotalNumVgprs: 28
; ScratchSize: 40
; MemoryBound: 0
; FloatMode: 240
; IeeeMode: 1
; LDSByteSize: 0 bytes/workgroup (compile time only)
; SGPRBlocks: 8
; VGPRBlocks: 3
; NumSGPRsForWavesPerEU: 67
; NumVGPRsForWavesPerEU: 28
; AccumOffset: 28
; Occupancy: 8
; WaveLimiterHint : 1
; COMPUTE_PGM_RSRC2:SCRATCH_EN: 1
; COMPUTE_PGM_RSRC2:USER_SGPR: 2
; COMPUTE_PGM_RSRC2:TRAP_HANDLER: 0
; COMPUTE_PGM_RSRC2:TGID_X_EN: 1
; COMPUTE_PGM_RSRC2:TGID_Y_EN: 0
; COMPUTE_PGM_RSRC2:TGID_Z_EN: 0
; COMPUTE_PGM_RSRC2:TIDIG_COMP_CNT: 0
; COMPUTE_PGM_RSRC3_GFX90A:ACCUM_OFFSET: 6
; COMPUTE_PGM_RSRC3_GFX90A:TG_SPLIT: 0
	.section	.text._ZN9rocsparseL41csrgemm_numeric_fill_block_per_row_kernelILj1024ELj64ELj16384ELj137ELj32Eii21rocsparse_complex_numIdEEEvT5_PKS3_S5_NS_24const_host_device_scalarIT6_EEPKT4_S5_PKS7_SB_S5_SD_S8_SB_S5_SD_SB_S5_PS7_21rocsparse_index_base_SF_SF_SF_bbb,"axG",@progbits,_ZN9rocsparseL41csrgemm_numeric_fill_block_per_row_kernelILj1024ELj64ELj16384ELj137ELj32Eii21rocsparse_complex_numIdEEEvT5_PKS3_S5_NS_24const_host_device_scalarIT6_EEPKT4_S5_PKS7_SB_S5_SD_S8_SB_S5_SD_SB_S5_PS7_21rocsparse_index_base_SF_SF_SF_bbb,comdat
	.globl	_ZN9rocsparseL41csrgemm_numeric_fill_block_per_row_kernelILj1024ELj64ELj16384ELj137ELj32Eii21rocsparse_complex_numIdEEEvT5_PKS3_S5_NS_24const_host_device_scalarIT6_EEPKT4_S5_PKS7_SB_S5_SD_S8_SB_S5_SD_SB_S5_PS7_21rocsparse_index_base_SF_SF_SF_bbb ; -- Begin function _ZN9rocsparseL41csrgemm_numeric_fill_block_per_row_kernelILj1024ELj64ELj16384ELj137ELj32Eii21rocsparse_complex_numIdEEEvT5_PKS3_S5_NS_24const_host_device_scalarIT6_EEPKT4_S5_PKS7_SB_S5_SD_S8_SB_S5_SD_SB_S5_PS7_21rocsparse_index_base_SF_SF_SF_bbb
	.p2align	8
	.type	_ZN9rocsparseL41csrgemm_numeric_fill_block_per_row_kernelILj1024ELj64ELj16384ELj137ELj32Eii21rocsparse_complex_numIdEEEvT5_PKS3_S5_NS_24const_host_device_scalarIT6_EEPKT4_S5_PKS7_SB_S5_SD_S8_SB_S5_SD_SB_S5_PS7_21rocsparse_index_base_SF_SF_SF_bbb,@function
_ZN9rocsparseL41csrgemm_numeric_fill_block_per_row_kernelILj1024ELj64ELj16384ELj137ELj32Eii21rocsparse_complex_numIdEEEvT5_PKS3_S5_NS_24const_host_device_scalarIT6_EEPKT4_S5_PKS7_SB_S5_SD_S8_SB_S5_SD_SB_S5_PS7_21rocsparse_index_base_SF_SF_SF_bbb: ; @_ZN9rocsparseL41csrgemm_numeric_fill_block_per_row_kernelILj1024ELj64ELj16384ELj137ELj32Eii21rocsparse_complex_numIdEEEvT5_PKS3_S5_NS_24const_host_device_scalarIT6_EEPKT4_S5_PKS7_SB_S5_SD_S8_SB_S5_SD_SB_S5_PS7_21rocsparse_index_base_SF_SF_SF_bbb
; %bb.0:
	s_load_dword s3, s[0:1], 0xa8
	s_load_dwordx4 s[68:71], s[0:1], 0x98
	s_load_dwordx4 s[8:11], s[0:1], 0x18
	;; [unrolled: 1-line block ×3, first 2 shown]
	v_mov_b64_e32 v[6:7], 0
	s_waitcnt lgkmcnt(0)
	s_bitcmp1_b32 s3, 0
	s_cselect_b64 s[28:29], -1, 0
	s_bitcmp1_b32 s3, 16
	s_cselect_b64 s[30:31], -1, 0
	s_xor_b64 s[4:5], s[30:31], -1
	v_mov_b64_e32 v[2:3], s[8:9]
	v_cndmask_b32_e64 v1, 0, 1, s[4:5]
	scratch_store_dwordx2 off, v[2:3], off offset:16
	v_mov_b64_e32 v[2:3], s[24:25]
	s_bitcmp0_b32 s3, 0
	v_cmp_ne_u32_e64 s[4:5], 1, v1
	v_mov_b64_e32 v[10:11], 0
	v_mov_b64_e32 v[12:13], 0
	scratch_store_dwordx2 off, v[2:3], off offset:24
	s_cbranch_scc1 .LBB74_3
; %bb.1:
	s_mov_b64 s[6:7], src_private_base
	s_and_b64 s[12:13], s[30:31], exec
	s_cselect_b32 s6, s7, s9
	s_cselect_b32 s7, 16, s8
	v_mov_b32_e32 v2, s7
	v_mov_b32_e32 v3, s6
	flat_load_dwordx2 v[10:11], v[2:3]
	s_and_b64 vcc, exec, s[4:5]
	v_mov_b64_e32 v[12:13], s[10:11]
	s_cbranch_vccnz .LBB74_3
; %bb.2:
	v_mov_b64_e32 v[2:3], s[8:9]
	flat_load_dwordx2 v[12:13], v[2:3] offset:8
.LBB74_3:
	s_load_dwordx2 s[6:7], s[0:1], 0x90
	s_load_dwordx8 s[8:15], s[0:1], 0x68
                                        ; implicit-def: $vgpr28 : SGPR spill to VGPR lane
	s_bitcmp1_b32 s3, 8
	v_mov_b64_e32 v[8:9], 0
	s_waitcnt lgkmcnt(0)
	v_writelane_b32 v28, s6, 0
	s_nop 1
	v_writelane_b32 v28, s7, 1
	v_writelane_b32 v28, s8, 2
	s_cselect_b64 s[6:7], -1, 0
	s_bfe_u32 s3, s3, 0x10008
	v_writelane_b32 v28, s9, 3
	v_writelane_b32 v28, s10, 4
	;; [unrolled: 1-line block ×7, first 2 shown]
	s_load_dwordx4 s[16:19], s[0:1], 0x48
	s_load_dwordx4 s[20:23], s[0:1], 0x8
	s_load_dwordx8 s[8:15], s[0:1], 0x28
	s_cmp_eq_u32 s3, 0
	s_cbranch_scc1 .LBB74_6
; %bb.4:
	s_mov_b64 s[34:35], src_private_base
	s_and_b64 s[30:31], s[30:31], exec
	s_cselect_b32 s3, s35, s25
	s_cselect_b32 s30, 24, s24
	v_mov_b32_e32 v2, s30
	v_mov_b32_e32 v3, s3
	flat_load_dwordx2 v[8:9], v[2:3]
	s_and_b64 vcc, exec, s[4:5]
	v_mov_b64_e32 v[6:7], s[26:27]
	s_cbranch_vccnz .LBB74_6
; %bb.5:
	v_mov_b64_e32 v[2:3], s[24:25]
	flat_load_dwordx2 v[6:7], v[2:3] offset:8
.LBB74_6:
	s_load_dword s33, s[0:1], 0x0
	v_lshlrev_b32_e32 v2, 4, v0
	s_mov_b32 s4, 0
	v_or_b32_e32 v1, 0xfffffc00, v0
	v_add_u32_e32 v23, 0, v2
	v_lshl_add_u32 v22, v0, 2, 0
	s_mov_b32 s5, s4
	s_mov_b32 s24, s4
	;; [unrolled: 1-line block ×3, first 2 shown]
	v_add_u32_e32 v14, 0x10008, v23
	s_mov_b64 s[0:1], 0
	s_waitcnt lgkmcnt(0)
	v_mov_b32_e32 v17, s33
	v_mov_b64_e32 v[2:3], s[4:5]
	v_mov_b64_e32 v[4:5], s[24:25]
	s_movk_i32 s3, 0x3bff
	v_mov_b32_e32 v15, v22
	v_mov_b32_e32 v16, v1
.LBB74_7:                               ; =>This Inner Loop Header: Depth=1
	v_add_u32_e32 v16, 0x400, v16
	v_cmp_lt_u32_e32 vcc, s3, v16
	ds_write_b32 v15, v17
	v_add_u32_e32 v18, -8, v14
	v_add_u32_e32 v14, 0x4000, v14
	v_add_u32_e32 v15, 0x1000, v15
	s_or_b64 s[0:1], vcc, s[0:1]
	ds_write2_b64 v18, v[2:3], v[4:5] offset1:1
	s_andn2_b64 exec, exec, s[0:1]
	s_cbranch_execnz .LBB74_7
; %bb.8:
	s_or_b64 exec, exec, s[0:1]
	s_waitcnt lgkmcnt(0)
	s_barrier
	s_load_dword s0, s[20:21], 0x0
	s_mov_b32 s1, 0
	s_waitcnt lgkmcnt(0)
	s_add_i32 s0, s0, s2
	s_lshl_b64 s[0:1], s[0:1], 2
	s_add_u32 s0, s22, s0
	s_addc_u32 s1, s23, s1
	s_load_dword s0, s[0:1], 0x0
	s_and_b64 vcc, exec, s[28:29]
	s_waitcnt lgkmcnt(0)
	v_writelane_b32 v28, s0, 10
	s_nop 1
	v_writelane_b32 v28, s1, 11
	s_cbranch_vccz .LBB74_26
; %bb.9:
	v_readlane_b32 s0, v28, 10
	v_readlane_b32 s1, v28, 11
	s_mov_b32 s2, s0
	s_ashr_i32 s3, s0, 31
	v_writelane_b32 v28, s0, 10
	v_lshrrev_b32_e32 v2, 6, v0
	v_subrev_u32_e32 v2, s68, v2
	v_writelane_b32 v28, s1, 11
	s_lshl_b64 s[0:1], s[2:3], 2
	s_add_u32 s0, s8, s0
	s_addc_u32 s1, s9, s1
	s_load_dwordx2 s[2:3], s[0:1], 0x0
	s_waitcnt lgkmcnt(0)
	s_sub_i32 s30, s3, s68
	v_add_u32_e32 v14, s2, v2
	v_cmp_gt_i32_e32 vcc, s30, v14
	s_and_saveexec_b64 s[0:1], vcc
	s_cbranch_execz .LBB74_25
; %bb.10:
	v_and_b32_e32 v2, 63, v0
	v_subrev_u32_e32 v24, s69, v2
	s_mov_b64 s[2:3], 0
	s_movk_i32 s31, 0x89
	s_branch .LBB74_12
.LBB74_11:                              ;   in Loop: Header=BB74_12 Depth=1
	s_or_b64 exec, exec, s[4:5]
	v_add_u32_e32 v14, 16, v14
	v_cmp_le_i32_e32 vcc, s30, v14
	s_or_b64 s[2:3], vcc, s[2:3]
	s_andn2_b64 exec, exec, s[2:3]
	s_cbranch_execz .LBB74_25
.LBB74_12:                              ; =>This Loop Header: Depth=1
                                        ;     Child Loop BB74_16 Depth 2
                                        ;       Child Loop BB74_19 Depth 3
	v_ashrrev_i32_e32 v15, 31, v14
	v_lshl_add_u64 v[2:3], v[14:15], 2, s[10:11]
	global_load_dword v2, v[2:3], off
	s_waitcnt vmcnt(0)
	v_subrev_u32_e32 v2, s68, v2
	v_ashrrev_i32_e32 v3, 31, v2
	v_lshl_add_u64 v[2:3], v[2:3], 2, s[14:15]
	global_load_dwordx2 v[2:3], v[2:3], off
	s_waitcnt vmcnt(0)
	v_subrev_u32_e32 v25, s69, v3
	v_add_u32_e32 v16, v2, v24
	v_cmp_lt_i32_e32 vcc, v16, v25
	s_and_saveexec_b64 s[4:5], vcc
	s_cbranch_execz .LBB74_11
; %bb.13:                               ;   in Loop: Header=BB74_12 Depth=1
	v_lshl_add_u64 v[2:3], v[14:15], 4, s[12:13]
	global_load_dwordx4 v[2:5], v[2:3], off
	s_mov_b64 s[8:9], 0
	s_waitcnt vmcnt(0)
	v_mul_f64 v[18:19], v[4:5], -v[12:13]
	v_mul_f64 v[20:21], v[10:11], v[4:5]
	v_fmac_f64_e32 v[18:19], v[10:11], v[2:3]
	v_fmac_f64_e32 v[20:21], v[12:13], v[2:3]
	s_branch .LBB74_16
.LBB74_14:                              ;   in Loop: Header=BB74_16 Depth=2
	s_or_b64 exec, exec, s[22:23]
.LBB74_15:                              ;   in Loop: Header=BB74_16 Depth=2
	s_or_b64 exec, exec, s[20:21]
	s_waitcnt vmcnt(0)
	v_mul_f64 v[26:27], v[4:5], -v[20:21]
	v_mul_f64 v[4:5], v[18:19], v[4:5]
	v_fmac_f64_e32 v[26:27], v[18:19], v[2:3]
	v_fmac_f64_e32 v[4:5], v[20:21], v[2:3]
	v_lshl_add_u32 v2, v15, 4, 0
	v_add_u32_e32 v2, 0x10000, v2
	ds_add_f64 v2, v[26:27]
	ds_add_f64 v2, v[4:5] offset:8
	v_add_u32_e32 v16, 64, v16
	v_cmp_ge_i32_e32 vcc, v16, v25
	s_or_b64 s[8:9], vcc, s[8:9]
	s_andn2_b64 exec, exec, s[8:9]
	s_cbranch_execz .LBB74_11
.LBB74_16:                              ;   Parent Loop BB74_12 Depth=1
                                        ; =>  This Loop Header: Depth=2
                                        ;       Child Loop BB74_19 Depth 3
	v_ashrrev_i32_e32 v17, 31, v16
	v_lshl_add_u64 v[2:3], v[16:17], 2, s[16:17]
	global_load_dword v15, v[2:3], off
	v_lshl_add_u64 v[2:3], v[16:17], 4, s[18:19]
	global_load_dwordx4 v[2:5], v[2:3], off
	s_waitcnt vmcnt(1)
	v_subrev_u32_e32 v17, s69, v15
	v_mul_lo_u32 v15, v17, s31
	v_and_b32_e32 v15, 0x3fff, v15
	v_lshl_add_u32 v26, v15, 2, 0
	ds_read_b32 v27, v26
	s_waitcnt lgkmcnt(0)
	v_cmp_ne_u32_e32 vcc, v27, v17
	s_and_saveexec_b64 s[20:21], vcc
	s_cbranch_execz .LBB74_15
; %bb.17:                               ;   in Loop: Header=BB74_16 Depth=2
	s_mov_b64 s[22:23], 0
	s_branch .LBB74_19
.LBB74_18:                              ;   in Loop: Header=BB74_19 Depth=3
	s_or_b64 exec, exec, s[28:29]
	s_and_b64 s[24:25], exec, s[26:27]
	s_or_b64 s[22:23], s[24:25], s[22:23]
	s_andn2_b64 exec, exec, s[22:23]
	s_cbranch_execz .LBB74_14
.LBB74_19:                              ;   Parent Loop BB74_12 Depth=1
                                        ;     Parent Loop BB74_16 Depth=2
                                        ; =>    This Inner Loop Header: Depth=3
	v_cmp_ne_u32_e32 vcc, s33, v27
	s_mov_b64 s[24:25], 0
	s_and_saveexec_b64 s[26:27], vcc
	s_xor_b64 s[26:27], exec, s[26:27]
	s_cbranch_execz .LBB74_21
; %bb.20:                               ;   in Loop: Header=BB74_19 Depth=3
	v_add_u32_e32 v15, 1, v15
	s_mov_b64 s[24:25], exec
	v_and_b32_e32 v15, 0x3fff, v15
                                        ; implicit-def: $vgpr26
	s_andn2_saveexec_b64 s[26:27], s[26:27]
	s_cbranch_execz .LBB74_23
	s_branch .LBB74_22
.LBB74_21:                              ;   in Loop: Header=BB74_19 Depth=3
	s_andn2_saveexec_b64 s[26:27], s[26:27]
	s_cbranch_execz .LBB74_23
.LBB74_22:                              ;   in Loop: Header=BB74_19 Depth=3
	v_mov_b32_e32 v27, s33
	ds_cmpst_rtn_b32 v26, v26, v27, v17
	s_andn2_b64 s[24:25], s[24:25], exec
	s_waitcnt lgkmcnt(0)
	v_cmp_ne_u32_e32 vcc, s33, v26
	s_and_b64 s[28:29], vcc, exec
	s_or_b64 s[24:25], s[24:25], s[28:29]
.LBB74_23:                              ;   in Loop: Header=BB74_19 Depth=3
	s_or_b64 exec, exec, s[26:27]
	s_mov_b64 s[26:27], -1
                                        ; implicit-def: $vgpr26
                                        ; implicit-def: $vgpr27
	s_and_saveexec_b64 s[28:29], s[24:25]
	s_cbranch_execz .LBB74_18
; %bb.24:                               ;   in Loop: Header=BB74_19 Depth=3
	v_lshl_add_u32 v26, v15, 2, 0
	ds_read_b32 v27, v26
	s_waitcnt lgkmcnt(0)
	v_cmp_eq_u32_e32 vcc, v27, v17
	s_orn2_b64 s[26:27], vcc, exec
	s_branch .LBB74_18
.LBB74_25:
	s_or_b64 exec, exec, s[0:1]
.LBB74_26:
	s_andn2_b64 vcc, exec, s[6:7]
	s_cbranch_vccnz .LBB74_41
; %bb.27:
	v_readlane_b32 s0, v28, 10
	v_readlane_b32 s1, v28, 11
	s_mov_b32 s2, s0
	s_ashr_i32 s3, s0, 31
	v_writelane_b32 v28, s0, 10
	v_subrev_u32_e32 v2, s71, v0
	s_nop 0
	v_writelane_b32 v28, s1, 11
	s_lshl_b64 s[0:1], s[2:3], 2
	v_readlane_b32 s4, v28, 2
	v_readlane_b32 s5, v28, 3
	s_add_u32 s0, s4, s0
	s_addc_u32 s1, s5, s1
	s_load_dwordx2 s[2:3], s[0:1], 0x0
	v_readlane_b32 s6, v28, 4
	v_readlane_b32 s7, v28, 5
	;; [unrolled: 1-line block ×4, first 2 shown]
	s_waitcnt lgkmcnt(0)
	s_sub_i32 s14, s3, s71
	s_waitcnt vmcnt(0)
	v_add_u32_e32 v10, s2, v2
	v_cmp_gt_i32_e32 vcc, s14, v10
	v_readlane_b32 s10, v28, 8
	v_readlane_b32 s11, v28, 9
	s_and_saveexec_b64 s[0:1], vcc
	s_cbranch_execz .LBB74_40
; %bb.28:
	s_mov_b64 s[2:3], 0
	s_movk_i32 s15, 0x89
	s_branch .LBB74_31
.LBB74_29:                              ;   in Loop: Header=BB74_31 Depth=1
	s_or_b64 exec, exec, s[6:7]
.LBB74_30:                              ;   in Loop: Header=BB74_31 Depth=1
	s_or_b64 exec, exec, s[4:5]
	s_waitcnt vmcnt(0)
	v_mul_f64 v[12:13], v[4:5], -v[6:7]
	v_mul_f64 v[4:5], v[8:9], v[4:5]
	v_fmac_f64_e32 v[12:13], v[8:9], v[2:3]
	v_fmac_f64_e32 v[4:5], v[6:7], v[2:3]
	v_lshl_add_u32 v2, v11, 4, 0
	v_add_u32_e32 v2, 0x10000, v2
	ds_add_f64 v2, v[12:13]
	ds_add_f64 v2, v[4:5] offset:8
	v_add_u32_e32 v10, 0x400, v10
	v_cmp_le_i32_e32 vcc, s14, v10
	s_or_b64 s[2:3], vcc, s[2:3]
	s_andn2_b64 exec, exec, s[2:3]
	s_cbranch_execz .LBB74_40
.LBB74_31:                              ; =>This Loop Header: Depth=1
                                        ;     Child Loop BB74_34 Depth 2
	v_readlane_b32 s4, v28, 2
	v_ashrrev_i32_e32 v11, 31, v10
	v_readlane_b32 s6, v28, 4
	v_readlane_b32 s7, v28, 5
	;; [unrolled: 1-line block ×4, first 2 shown]
	v_lshl_add_u64 v[2:3], v[10:11], 2, s[6:7]
	global_load_dword v12, v[2:3], off
	v_lshl_add_u64 v[2:3], v[10:11], 4, s[8:9]
	global_load_dwordx4 v[2:5], v[2:3], off
	v_readlane_b32 s5, v28, 3
	v_readlane_b32 s10, v28, 8
	v_readlane_b32 s11, v28, 9
	s_waitcnt vmcnt(1)
	v_subrev_u32_e32 v12, s71, v12
	v_mul_lo_u32 v11, v12, s15
	v_and_b32_e32 v11, 0x3fff, v11
	v_lshl_add_u32 v13, v11, 2, 0
	ds_read_b32 v14, v13
	s_waitcnt lgkmcnt(0)
	v_cmp_ne_u32_e32 vcc, v14, v12
	s_and_saveexec_b64 s[4:5], vcc
	s_cbranch_execz .LBB74_30
; %bb.32:                               ;   in Loop: Header=BB74_31 Depth=1
	s_mov_b64 s[6:7], 0
	s_branch .LBB74_34
.LBB74_33:                              ;   in Loop: Header=BB74_34 Depth=2
	s_or_b64 exec, exec, s[12:13]
	s_and_b64 s[8:9], exec, s[10:11]
	s_or_b64 s[6:7], s[8:9], s[6:7]
	s_andn2_b64 exec, exec, s[6:7]
	s_cbranch_execz .LBB74_29
.LBB74_34:                              ;   Parent Loop BB74_31 Depth=1
                                        ; =>  This Inner Loop Header: Depth=2
	v_cmp_ne_u32_e32 vcc, s33, v14
	s_mov_b64 s[8:9], 0
	s_and_saveexec_b64 s[10:11], vcc
	s_xor_b64 s[10:11], exec, s[10:11]
	s_cbranch_execz .LBB74_36
; %bb.35:                               ;   in Loop: Header=BB74_34 Depth=2
	v_add_u32_e32 v11, 1, v11
	s_mov_b64 s[8:9], exec
	v_and_b32_e32 v11, 0x3fff, v11
                                        ; implicit-def: $vgpr13
	s_andn2_saveexec_b64 s[10:11], s[10:11]
	s_cbranch_execz .LBB74_38
	s_branch .LBB74_37
.LBB74_36:                              ;   in Loop: Header=BB74_34 Depth=2
	s_andn2_saveexec_b64 s[10:11], s[10:11]
	s_cbranch_execz .LBB74_38
.LBB74_37:                              ;   in Loop: Header=BB74_34 Depth=2
	v_mov_b32_e32 v14, s33
	ds_cmpst_rtn_b32 v13, v13, v14, v12
	s_andn2_b64 s[8:9], s[8:9], exec
	s_waitcnt lgkmcnt(0)
	v_cmp_ne_u32_e32 vcc, s33, v13
	s_and_b64 s[12:13], vcc, exec
	s_or_b64 s[8:9], s[8:9], s[12:13]
.LBB74_38:                              ;   in Loop: Header=BB74_34 Depth=2
	s_or_b64 exec, exec, s[10:11]
	s_mov_b64 s[10:11], -1
                                        ; implicit-def: $vgpr13
                                        ; implicit-def: $vgpr14
	s_and_saveexec_b64 s[12:13], s[8:9]
	s_cbranch_execz .LBB74_33
; %bb.39:                               ;   in Loop: Header=BB74_34 Depth=2
	v_lshl_add_u32 v13, v11, 2, 0
	ds_read_b32 v14, v13
	s_waitcnt lgkmcnt(0)
	v_cmp_eq_u32_e32 vcc, v14, v12
	s_orn2_b64 s[10:11], vcc, exec
	s_branch .LBB74_33
.LBB74_40:
	s_or_b64 exec, exec, s[0:1]
.LBB74_41:
	s_add_i32 s0, 0, 0x50000
	v_lshrrev_b32_e32 v4, 3, v0
	v_writelane_b32 v28, s0, 12
	s_add_i32 s60, 0, 0x50004
	v_mbcnt_lo_u32_b32 v2, -1, 0
	v_and_b32_e32 v4, 0x7c, v4
	v_writelane_b32 v28, s60, 13
	s_add_i32 s60, 0, 0x50008
	v_mbcnt_hi_u32_b32 v2, -1, v2
	v_add_u32_e32 v4, s0, v4
	s_movk_i32 s0, 0x3ff
	v_writelane_b32 v28, s60, 14
	s_add_i32 s60, 0, 0x5000c
	v_sub_u32_e32 v2, 63, v2
	v_cmp_eq_u32_e32 vcc, s0, v0
	s_movk_i32 s0, 0x5f
	s_movk_i32 s2, 0x7f
	;; [unrolled: 1-line block ×29, first 2 shown]
	v_writelane_b32 v28, s60, 15
	s_add_i32 s60, 0, 0x50014
	v_lshrrev_b64 v[2:3], v2, -1
	v_cmp_lt_u32_e64 s[0:1], s0, v0
	v_cmp_lt_u32_e64 s[2:3], s2, v0
	;; [unrolled: 1-line block ×29, first 2 shown]
	v_add_u32_e32 v5, 0x10000, v23
	s_waitcnt vmcnt(0)
	v_mov_b32_e32 v6, 0
	s_add_i32 s79, 0, 0x50010
	v_writelane_b32 v28, s60, 16
	s_add_i32 s82, 0, 0x50018
	s_add_i32 s83, 0, 0x5001c
	;; [unrolled: 1-line block ×26, first 2 shown]
	v_cmp_lt_u32_e64 s[60:61], 31, v0
	v_cmp_lt_u32_e64 s[62:63], 63, v0
	s_mov_b64 s[68:69], 0
	s_waitcnt lgkmcnt(0)
	s_barrier
	s_branch .LBB74_43
.LBB74_42:                              ;   in Loop: Header=BB74_43 Depth=1
	s_or_b64 exec, exec, s[64:65]
	v_mov_b32_e32 v7, s78
	s_waitcnt lgkmcnt(0)
	s_barrier
	ds_read_b32 v7, v7
	v_add_u32_e32 v1, 0x400, v1
	s_movk_i32 s64, 0x3bff
	v_cmp_lt_u32_e64 s[64:65], s64, v1
	v_add_u32_e32 v5, 0x4000, v5
	s_waitcnt lgkmcnt(0)
	v_add_u32_e32 v6, v7, v6
	s_or_b64 s[68:69], s[64:65], s[68:69]
	v_add_u32_e32 v22, 0x1000, v22
	s_andn2_b64 exec, exec, s[68:69]
	s_cbranch_execz .LBB74_109
.LBB74_43:                              ; =>This Inner Loop Header: Depth=1
	ds_read2_b64 v[10:13], v5 offset1:1
	ds_read_b32 v8, v22
	s_waitcnt lgkmcnt(1)
	scratch_store_dwordx4 off, v[10:13], off
	s_waitcnt lgkmcnt(0)
	v_cmp_gt_i32_e64 s[64:65], s33, v8
	s_bcnt1_i32_b64 s76, s[64:65]
	s_nop 0
	v_and_b32_e32 v9, s64, v2
	v_and_b32_e32 v7, s65, v3
	v_bcnt_u32_b32 v9, v9, 0
	v_bcnt_u32_b32 v7, v7, v9
	v_mov_b32_e32 v9, s76
	s_barrier
	ds_write_b32 v4, v9
	s_waitcnt lgkmcnt(0)
	s_barrier
	s_and_saveexec_b64 s[76:77], s[60:61]
	s_cbranch_execz .LBB74_76
; %bb.44:                               ;   in Loop: Header=BB74_43 Depth=1
	v_readlane_b32 s80, v28, 12
	s_nop 1
	v_mov_b32_e32 v9, s80
	ds_read_b32 v9, v9
	s_waitcnt lgkmcnt(0)
	v_add_u32_e32 v7, v9, v7
	s_or_b64 exec, exec, s[76:77]
	s_and_saveexec_b64 s[76:77], s[62:63]
	s_cbranch_execnz .LBB74_77
.LBB74_45:                              ;   in Loop: Header=BB74_43 Depth=1
	s_or_b64 exec, exec, s[76:77]
	s_and_saveexec_b64 s[76:77], s[0:1]
	s_cbranch_execz .LBB74_78
.LBB74_46:                              ;   in Loop: Header=BB74_43 Depth=1
	v_readlane_b32 s80, v28, 14
	s_nop 1
	v_mov_b32_e32 v9, s80
	ds_read_b32 v9, v9
	s_waitcnt lgkmcnt(0)
	v_add_u32_e32 v7, v9, v7
	s_or_b64 exec, exec, s[76:77]
	s_and_saveexec_b64 s[76:77], s[2:3]
	s_cbranch_execnz .LBB74_79
.LBB74_47:                              ;   in Loop: Header=BB74_43 Depth=1
	s_or_b64 exec, exec, s[76:77]
	s_and_saveexec_b64 s[76:77], s[4:5]
	s_cbranch_execz .LBB74_80
.LBB74_48:                              ;   in Loop: Header=BB74_43 Depth=1
	v_mov_b32_e32 v9, s79
	ds_read_b32 v9, v9
	s_waitcnt lgkmcnt(0)
	v_add_u32_e32 v7, v9, v7
	s_or_b64 exec, exec, s[76:77]
	s_and_saveexec_b64 s[76:77], s[6:7]
	s_cbranch_execnz .LBB74_81
.LBB74_49:                              ;   in Loop: Header=BB74_43 Depth=1
	s_or_b64 exec, exec, s[76:77]
	s_and_saveexec_b64 s[76:77], s[8:9]
	s_cbranch_execz .LBB74_82
.LBB74_50:                              ;   in Loop: Header=BB74_43 Depth=1
	v_mov_b32_e32 v9, s82
	ds_read_b32 v9, v9
	s_waitcnt lgkmcnt(0)
	v_add_u32_e32 v7, v9, v7
	s_or_b64 exec, exec, s[76:77]
	s_and_saveexec_b64 s[76:77], s[10:11]
	s_cbranch_execnz .LBB74_83
.LBB74_51:                              ;   in Loop: Header=BB74_43 Depth=1
	s_or_b64 exec, exec, s[76:77]
	s_and_saveexec_b64 s[76:77], s[12:13]
	s_cbranch_execz .LBB74_84
.LBB74_52:                              ;   in Loop: Header=BB74_43 Depth=1
	v_mov_b32_e32 v9, s84
	ds_read_b32 v9, v9
	s_waitcnt lgkmcnt(0)
	v_add_u32_e32 v7, v9, v7
	s_or_b64 exec, exec, s[76:77]
	s_and_saveexec_b64 s[76:77], s[14:15]
	s_cbranch_execnz .LBB74_85
.LBB74_53:                              ;   in Loop: Header=BB74_43 Depth=1
	s_or_b64 exec, exec, s[76:77]
	s_and_saveexec_b64 s[76:77], s[16:17]
	s_cbranch_execz .LBB74_86
.LBB74_54:                              ;   in Loop: Header=BB74_43 Depth=1
	v_mov_b32_e32 v9, s86
	ds_read_b32 v9, v9
	s_waitcnt lgkmcnt(0)
	v_add_u32_e32 v7, v9, v7
	s_or_b64 exec, exec, s[76:77]
	s_and_saveexec_b64 s[76:77], s[18:19]
	s_cbranch_execnz .LBB74_87
.LBB74_55:                              ;   in Loop: Header=BB74_43 Depth=1
	s_or_b64 exec, exec, s[76:77]
	s_and_saveexec_b64 s[76:77], s[20:21]
	s_cbranch_execz .LBB74_88
.LBB74_56:                              ;   in Loop: Header=BB74_43 Depth=1
	v_mov_b32_e32 v9, s88
	ds_read_b32 v9, v9
	s_waitcnt lgkmcnt(0)
	v_add_u32_e32 v7, v9, v7
	s_or_b64 exec, exec, s[76:77]
	s_and_saveexec_b64 s[76:77], s[22:23]
	s_cbranch_execnz .LBB74_89
.LBB74_57:                              ;   in Loop: Header=BB74_43 Depth=1
	s_or_b64 exec, exec, s[76:77]
	s_and_saveexec_b64 s[76:77], s[24:25]
	s_cbranch_execz .LBB74_90
.LBB74_58:                              ;   in Loop: Header=BB74_43 Depth=1
	v_mov_b32_e32 v9, s90
	ds_read_b32 v9, v9
	s_waitcnt lgkmcnt(0)
	v_add_u32_e32 v7, v9, v7
	s_or_b64 exec, exec, s[76:77]
	s_and_saveexec_b64 s[76:77], s[26:27]
	s_cbranch_execnz .LBB74_91
.LBB74_59:                              ;   in Loop: Header=BB74_43 Depth=1
	s_or_b64 exec, exec, s[76:77]
	s_and_saveexec_b64 s[76:77], s[28:29]
	s_cbranch_execz .LBB74_92
.LBB74_60:                              ;   in Loop: Header=BB74_43 Depth=1
	v_mov_b32_e32 v9, s92
	ds_read_b32 v9, v9
	s_waitcnt lgkmcnt(0)
	v_add_u32_e32 v7, v9, v7
	s_or_b64 exec, exec, s[76:77]
	s_and_saveexec_b64 s[76:77], s[30:31]
	s_cbranch_execnz .LBB74_93
.LBB74_61:                              ;   in Loop: Header=BB74_43 Depth=1
	s_or_b64 exec, exec, s[76:77]
	s_and_saveexec_b64 s[76:77], s[34:35]
	s_cbranch_execz .LBB74_94
.LBB74_62:                              ;   in Loop: Header=BB74_43 Depth=1
	v_mov_b32_e32 v9, s94
	ds_read_b32 v9, v9
	s_waitcnt lgkmcnt(0)
	v_add_u32_e32 v7, v9, v7
	s_or_b64 exec, exec, s[76:77]
	s_and_saveexec_b64 s[76:77], s[36:37]
	s_cbranch_execnz .LBB74_95
.LBB74_63:                              ;   in Loop: Header=BB74_43 Depth=1
	s_or_b64 exec, exec, s[76:77]
	s_and_saveexec_b64 s[76:77], s[38:39]
	s_cbranch_execz .LBB74_96
.LBB74_64:                              ;   in Loop: Header=BB74_43 Depth=1
	v_mov_b32_e32 v9, s96
	ds_read_b32 v9, v9
	s_waitcnt lgkmcnt(0)
	v_add_u32_e32 v7, v9, v7
	s_or_b64 exec, exec, s[76:77]
	s_and_saveexec_b64 s[76:77], s[40:41]
	s_cbranch_execnz .LBB74_97
.LBB74_65:                              ;   in Loop: Header=BB74_43 Depth=1
	s_or_b64 exec, exec, s[76:77]
	s_and_saveexec_b64 s[76:77], s[42:43]
	s_cbranch_execz .LBB74_98
.LBB74_66:                              ;   in Loop: Header=BB74_43 Depth=1
	v_mov_b32_e32 v9, s98
	ds_read_b32 v9, v9
	s_waitcnt lgkmcnt(0)
	v_add_u32_e32 v7, v9, v7
	s_or_b64 exec, exec, s[76:77]
	s_and_saveexec_b64 s[76:77], s[44:45]
	s_cbranch_execnz .LBB74_99
.LBB74_67:                              ;   in Loop: Header=BB74_43 Depth=1
	s_or_b64 exec, exec, s[76:77]
	s_and_saveexec_b64 s[76:77], s[46:47]
	s_cbranch_execz .LBB74_100
.LBB74_68:                              ;   in Loop: Header=BB74_43 Depth=1
	v_mov_b32_e32 v9, s74
	ds_read_b32 v9, v9
	s_waitcnt lgkmcnt(0)
	v_add_u32_e32 v7, v9, v7
	s_or_b64 exec, exec, s[76:77]
	s_and_saveexec_b64 s[76:77], s[48:49]
	s_cbranch_execnz .LBB74_101
.LBB74_69:                              ;   in Loop: Header=BB74_43 Depth=1
	s_or_b64 exec, exec, s[76:77]
	s_and_saveexec_b64 s[76:77], s[50:51]
	s_cbranch_execz .LBB74_102
.LBB74_70:                              ;   in Loop: Header=BB74_43 Depth=1
	v_mov_b32_e32 v9, s73
	ds_read_b32 v9, v9
	s_waitcnt lgkmcnt(0)
	v_add_u32_e32 v7, v9, v7
	s_or_b64 exec, exec, s[76:77]
	s_and_saveexec_b64 s[76:77], s[52:53]
	s_cbranch_execnz .LBB74_103
.LBB74_71:                              ;   in Loop: Header=BB74_43 Depth=1
	s_or_b64 exec, exec, s[76:77]
	s_and_saveexec_b64 s[76:77], s[54:55]
	s_cbranch_execz .LBB74_104
.LBB74_72:                              ;   in Loop: Header=BB74_43 Depth=1
	v_mov_b32_e32 v9, s67
	ds_read_b32 v9, v9
	s_waitcnt lgkmcnt(0)
	v_add_u32_e32 v7, v9, v7
	s_or_b64 exec, exec, s[76:77]
	s_and_saveexec_b64 s[76:77], s[56:57]
	s_cbranch_execnz .LBB74_105
.LBB74_73:                              ;   in Loop: Header=BB74_43 Depth=1
	s_or_b64 exec, exec, s[76:77]
	s_and_saveexec_b64 s[76:77], s[58:59]
	s_cbranch_execz .LBB74_106
.LBB74_74:                              ;   in Loop: Header=BB74_43 Depth=1
	v_mov_b32_e32 v9, s75
	ds_read_b32 v9, v9
	s_waitcnt lgkmcnt(0)
	v_add_u32_e32 v7, v9, v7
	s_or_b64 exec, exec, s[76:77]
	s_and_saveexec_b64 s[76:77], s[64:65]
	s_cbranch_execnz .LBB74_107
.LBB74_75:                              ;   in Loop: Header=BB74_43 Depth=1
	s_or_b64 exec, exec, s[76:77]
	s_and_saveexec_b64 s[64:65], vcc
	s_cbranch_execz .LBB74_42
	s_branch .LBB74_108
.LBB74_76:                              ;   in Loop: Header=BB74_43 Depth=1
	s_or_b64 exec, exec, s[76:77]
	s_and_saveexec_b64 s[76:77], s[62:63]
	s_cbranch_execz .LBB74_45
.LBB74_77:                              ;   in Loop: Header=BB74_43 Depth=1
	v_readlane_b32 s80, v28, 13
	s_nop 1
	v_mov_b32_e32 v9, s80
	ds_read_b32 v9, v9
	s_waitcnt lgkmcnt(0)
	v_add_u32_e32 v7, v9, v7
	s_or_b64 exec, exec, s[76:77]
	s_and_saveexec_b64 s[76:77], s[0:1]
	s_cbranch_execnz .LBB74_46
.LBB74_78:                              ;   in Loop: Header=BB74_43 Depth=1
	s_or_b64 exec, exec, s[76:77]
	s_and_saveexec_b64 s[76:77], s[2:3]
	s_cbranch_execz .LBB74_47
.LBB74_79:                              ;   in Loop: Header=BB74_43 Depth=1
	v_readlane_b32 s80, v28, 15
	s_nop 1
	v_mov_b32_e32 v9, s80
	ds_read_b32 v9, v9
	s_waitcnt lgkmcnt(0)
	v_add_u32_e32 v7, v9, v7
	s_or_b64 exec, exec, s[76:77]
	s_and_saveexec_b64 s[76:77], s[4:5]
	s_cbranch_execnz .LBB74_48
.LBB74_80:                              ;   in Loop: Header=BB74_43 Depth=1
	s_or_b64 exec, exec, s[76:77]
	s_and_saveexec_b64 s[76:77], s[6:7]
	s_cbranch_execz .LBB74_49
.LBB74_81:                              ;   in Loop: Header=BB74_43 Depth=1
	v_readlane_b32 s80, v28, 16
	s_nop 1
	v_mov_b32_e32 v9, s80
	ds_read_b32 v9, v9
	s_waitcnt lgkmcnt(0)
	v_add_u32_e32 v7, v9, v7
	s_or_b64 exec, exec, s[76:77]
	s_and_saveexec_b64 s[76:77], s[8:9]
	s_cbranch_execnz .LBB74_50
.LBB74_82:                              ;   in Loop: Header=BB74_43 Depth=1
	s_or_b64 exec, exec, s[76:77]
	s_and_saveexec_b64 s[76:77], s[10:11]
	s_cbranch_execz .LBB74_51
.LBB74_83:                              ;   in Loop: Header=BB74_43 Depth=1
	v_mov_b32_e32 v9, s83
	ds_read_b32 v9, v9
	s_waitcnt lgkmcnt(0)
	v_add_u32_e32 v7, v9, v7
	s_or_b64 exec, exec, s[76:77]
	s_and_saveexec_b64 s[76:77], s[12:13]
	s_cbranch_execnz .LBB74_52
.LBB74_84:                              ;   in Loop: Header=BB74_43 Depth=1
	s_or_b64 exec, exec, s[76:77]
	s_and_saveexec_b64 s[76:77], s[14:15]
	s_cbranch_execz .LBB74_53
.LBB74_85:                              ;   in Loop: Header=BB74_43 Depth=1
	v_mov_b32_e32 v9, s85
	ds_read_b32 v9, v9
	s_waitcnt lgkmcnt(0)
	v_add_u32_e32 v7, v9, v7
	s_or_b64 exec, exec, s[76:77]
	s_and_saveexec_b64 s[76:77], s[16:17]
	s_cbranch_execnz .LBB74_54
.LBB74_86:                              ;   in Loop: Header=BB74_43 Depth=1
	s_or_b64 exec, exec, s[76:77]
	s_and_saveexec_b64 s[76:77], s[18:19]
	s_cbranch_execz .LBB74_55
.LBB74_87:                              ;   in Loop: Header=BB74_43 Depth=1
	v_mov_b32_e32 v9, s87
	ds_read_b32 v9, v9
	s_waitcnt lgkmcnt(0)
	v_add_u32_e32 v7, v9, v7
	s_or_b64 exec, exec, s[76:77]
	s_and_saveexec_b64 s[76:77], s[20:21]
	s_cbranch_execnz .LBB74_56
.LBB74_88:                              ;   in Loop: Header=BB74_43 Depth=1
	s_or_b64 exec, exec, s[76:77]
	s_and_saveexec_b64 s[76:77], s[22:23]
	s_cbranch_execz .LBB74_57
.LBB74_89:                              ;   in Loop: Header=BB74_43 Depth=1
	v_mov_b32_e32 v9, s89
	ds_read_b32 v9, v9
	s_waitcnt lgkmcnt(0)
	v_add_u32_e32 v7, v9, v7
	s_or_b64 exec, exec, s[76:77]
	s_and_saveexec_b64 s[76:77], s[24:25]
	s_cbranch_execnz .LBB74_58
.LBB74_90:                              ;   in Loop: Header=BB74_43 Depth=1
	s_or_b64 exec, exec, s[76:77]
	s_and_saveexec_b64 s[76:77], s[26:27]
	s_cbranch_execz .LBB74_59
.LBB74_91:                              ;   in Loop: Header=BB74_43 Depth=1
	v_mov_b32_e32 v9, s91
	ds_read_b32 v9, v9
	s_waitcnt lgkmcnt(0)
	v_add_u32_e32 v7, v9, v7
	s_or_b64 exec, exec, s[76:77]
	s_and_saveexec_b64 s[76:77], s[28:29]
	s_cbranch_execnz .LBB74_60
.LBB74_92:                              ;   in Loop: Header=BB74_43 Depth=1
	s_or_b64 exec, exec, s[76:77]
	s_and_saveexec_b64 s[76:77], s[30:31]
	s_cbranch_execz .LBB74_61
.LBB74_93:                              ;   in Loop: Header=BB74_43 Depth=1
	v_mov_b32_e32 v9, s93
	ds_read_b32 v9, v9
	s_waitcnt lgkmcnt(0)
	v_add_u32_e32 v7, v9, v7
	s_or_b64 exec, exec, s[76:77]
	s_and_saveexec_b64 s[76:77], s[34:35]
	s_cbranch_execnz .LBB74_62
.LBB74_94:                              ;   in Loop: Header=BB74_43 Depth=1
	s_or_b64 exec, exec, s[76:77]
	s_and_saveexec_b64 s[76:77], s[36:37]
	s_cbranch_execz .LBB74_63
.LBB74_95:                              ;   in Loop: Header=BB74_43 Depth=1
	v_mov_b32_e32 v9, s95
	ds_read_b32 v9, v9
	s_waitcnt lgkmcnt(0)
	v_add_u32_e32 v7, v9, v7
	s_or_b64 exec, exec, s[76:77]
	s_and_saveexec_b64 s[76:77], s[38:39]
	s_cbranch_execnz .LBB74_64
.LBB74_96:                              ;   in Loop: Header=BB74_43 Depth=1
	s_or_b64 exec, exec, s[76:77]
	s_and_saveexec_b64 s[76:77], s[40:41]
	s_cbranch_execz .LBB74_65
.LBB74_97:                              ;   in Loop: Header=BB74_43 Depth=1
	v_mov_b32_e32 v9, s97
	ds_read_b32 v9, v9
	s_waitcnt lgkmcnt(0)
	v_add_u32_e32 v7, v9, v7
	s_or_b64 exec, exec, s[76:77]
	s_and_saveexec_b64 s[76:77], s[42:43]
	s_cbranch_execnz .LBB74_66
.LBB74_98:                              ;   in Loop: Header=BB74_43 Depth=1
	s_or_b64 exec, exec, s[76:77]
	s_and_saveexec_b64 s[76:77], s[44:45]
	s_cbranch_execz .LBB74_67
.LBB74_99:                              ;   in Loop: Header=BB74_43 Depth=1
	v_mov_b32_e32 v9, s99
	ds_read_b32 v9, v9
	s_waitcnt lgkmcnt(0)
	v_add_u32_e32 v7, v9, v7
	s_or_b64 exec, exec, s[76:77]
	s_and_saveexec_b64 s[76:77], s[46:47]
	s_cbranch_execnz .LBB74_68
.LBB74_100:                             ;   in Loop: Header=BB74_43 Depth=1
	s_or_b64 exec, exec, s[76:77]
	s_and_saveexec_b64 s[76:77], s[48:49]
	s_cbranch_execz .LBB74_69
.LBB74_101:                             ;   in Loop: Header=BB74_43 Depth=1
	v_mov_b32_e32 v9, s72
	ds_read_b32 v9, v9
	s_waitcnt lgkmcnt(0)
	v_add_u32_e32 v7, v9, v7
	s_or_b64 exec, exec, s[76:77]
	s_and_saveexec_b64 s[76:77], s[50:51]
	s_cbranch_execnz .LBB74_70
.LBB74_102:                             ;   in Loop: Header=BB74_43 Depth=1
	s_or_b64 exec, exec, s[76:77]
	s_and_saveexec_b64 s[76:77], s[52:53]
	s_cbranch_execz .LBB74_71
.LBB74_103:                             ;   in Loop: Header=BB74_43 Depth=1
	v_mov_b32_e32 v9, s66
	ds_read_b32 v9, v9
	s_waitcnt lgkmcnt(0)
	v_add_u32_e32 v7, v9, v7
	s_or_b64 exec, exec, s[76:77]
	s_and_saveexec_b64 s[76:77], s[54:55]
	s_cbranch_execnz .LBB74_72
.LBB74_104:                             ;   in Loop: Header=BB74_43 Depth=1
	s_or_b64 exec, exec, s[76:77]
	s_and_saveexec_b64 s[76:77], s[56:57]
	s_cbranch_execz .LBB74_73
.LBB74_105:                             ;   in Loop: Header=BB74_43 Depth=1
	v_mov_b32_e32 v9, s71
	ds_read_b32 v9, v9
	s_waitcnt lgkmcnt(0)
	v_add_u32_e32 v7, v9, v7
	s_or_b64 exec, exec, s[76:77]
	s_and_saveexec_b64 s[76:77], s[58:59]
	s_cbranch_execnz .LBB74_74
.LBB74_106:                             ;   in Loop: Header=BB74_43 Depth=1
	s_or_b64 exec, exec, s[76:77]
	s_and_saveexec_b64 s[76:77], s[64:65]
	s_cbranch_execz .LBB74_75
.LBB74_107:                             ;   in Loop: Header=BB74_43 Depth=1
	scratch_load_dwordx4 v[10:13], off, off
	v_add3_u32 v9, v6, -1, v7
	v_add_u32_e32 v14, v6, v7
	v_lshl_add_u32 v9, v9, 2, 0
	v_lshl_add_u32 v14, v14, 4, 0
	v_add_u32_e32 v14, 0xfff0, v14
	ds_write_b32 v9, v8
	s_waitcnt vmcnt(0)
	ds_write2_b64 v14, v[10:11], v[12:13] offset1:1
	s_or_b64 exec, exec, s[76:77]
	s_and_saveexec_b64 s[64:65], vcc
	s_cbranch_execz .LBB74_42
.LBB74_108:                             ;   in Loop: Header=BB74_43 Depth=1
	v_mov_b32_e32 v8, s78
	ds_write_b32 v8, v7
	s_branch .LBB74_42
.LBB74_109:
	s_or_b64 exec, exec, s[68:69]
	v_readlane_b32 s0, v28, 10
	v_readlane_b32 s1, v28, 11
	;; [unrolled: 1-line block ×3, first 2 shown]
	s_ashr_i32 s1, s0, 31
	v_readlane_b32 s6, v28, 4
	v_readlane_b32 s7, v28, 5
	;; [unrolled: 1-line block ×4, first 2 shown]
	s_lshl_b64 s[0:1], s[0:1], 2
	s_mov_b64 s[6:7], s[10:11]
	s_add_u32 s2, s6, s0
	s_addc_u32 s3, s7, s1
	s_load_dwordx2 s[0:1], s[2:3], 0x0
	v_readlane_b32 s5, v28, 3
	v_readlane_b32 s8, v28, 6
	;; [unrolled: 1-line block ×3, first 2 shown]
	s_waitcnt lgkmcnt(0)
	s_sub_i32 s14, s1, s0
	v_cmp_gt_i32_e32 vcc, s14, v0
	s_and_saveexec_b64 s[2:3], vcc
	s_cbranch_execz .LBB74_123
; %bb.110:
	s_sub_i32 s8, s0, s70
	v_sub_co_u32_e64 v1, s[0:1], s14, 2
	s_nop 0
	v_readfirstlane_b32 s2, v1
	s_lshr_b32 s2, s2, 1
	s_add_i32 s2, s2, 1
	s_xor_b64 s[0:1], s[0:1], -1
	s_and_b32 s15, s14, -2
	s_and_b32 s3, s2, 7
	s_and_b32 s16, s2, -8
	s_cmp_lg_u32 s3, 0
	v_cmp_lt_u32_e32 vcc, 13, v1
	s_cselect_b64 s[4:5], -1, 0
	s_cmp_lg_u32 s14, s15
	v_cndmask_b32_e64 v1, 0, 1, vcc
	s_cselect_b64 s[10:11], -1, 0
	s_lshl_b32 s17, s3, 3
	v_cndmask_b32_e64 v2, 0, 1, s[0:1]
	v_cmp_ne_u32_e64 s[2:3], 1, v1
	v_cndmask_b32_e64 v1, 0, 1, s[4:5]
	s_mov_b32 s9, 0
	s_mov_b64 s[12:13], 0
	v_cmp_ne_u32_e64 s[0:1], 1, v2
	v_cmp_ne_u32_e64 s[4:5], 1, v1
	s_branch .LBB74_112
.LBB74_111:                             ;   in Loop: Header=BB74_112 Depth=1
	s_waitcnt lgkmcnt(0)
	v_lshl_add_u32 v1, v0, 4, 0
	v_add_u32_e32 v1, 0x10000, v1
	ds_read2_b64 v[4:7], v1 offset1:1
	v_readlane_b32 s6, v28, 0
	v_add_u32_e32 v0, 0x400, v0
	v_ashrrev_i32_e32 v3, 31, v2
	v_readlane_b32 s7, v28, 1
	v_cmp_le_i32_e32 vcc, s14, v0
	s_or_b64 s[12:13], vcc, s[12:13]
	v_lshl_add_u64 v[2:3], v[2:3], 4, s[6:7]
	s_waitcnt lgkmcnt(0)
	global_store_dwordx4 v[2:3], v[4:7], off
	s_andn2_b64 exec, exec, s[12:13]
	s_cbranch_execz .LBB74_123
.LBB74_112:                             ; =>This Loop Header: Depth=1
                                        ;     Child Loop BB74_115 Depth 2
                                        ;     Child Loop BB74_118 Depth 2
	;; [unrolled: 1-line block ×3, first 2 shown]
	v_lshl_add_u32 v1, v0, 2, 0
	ds_read_b32 v1, v1
	s_and_b64 vcc, exec, s[0:1]
	v_mov_b32_e32 v2, s8
	s_mov_b32 s18, 0
	s_mov_b64 s[6:7], -1
	s_cbranch_vccnz .LBB74_120
; %bb.113:                              ;   in Loop: Header=BB74_112 Depth=1
	s_and_b64 vcc, exec, s[2:3]
	v_mov_b64_e32 v[2:3], s[8:9]
	s_cbranch_vccnz .LBB74_116
; %bb.114:                              ;   in Loop: Header=BB74_112 Depth=1
	s_mov_b32 s19, 0
	v_mov_b32_e32 v2, s8
	v_mov_b32_e32 v3, 0
	s_mov_b32 s20, s16
.LBB74_115:                             ;   Parent Loop BB74_112 Depth=1
                                        ; =>  This Inner Loop Header: Depth=2
	v_mov_b32_e32 v18, s19
	ds_read2_b32 v[4:5], v18 offset1:1
	ds_read2_b32 v[6:7], v18 offset0:2 offset1:3
	ds_read2_b32 v[8:9], v18 offset0:4 offset1:5
	;; [unrolled: 1-line block ×7, first 2 shown]
	s_waitcnt lgkmcnt(7)
	v_cmp_gt_i32_e32 vcc, v1, v5
	s_waitcnt lgkmcnt(5)
	v_cmp_gt_i32_e64 s[6:7], v1, v8
	s_add_i32 s18, s18, 16
	v_cndmask_b32_e64 v5, 0, 1, vcc
	v_cmp_gt_i32_e32 vcc, v1, v4
	s_add_i32 s19, s19, 64
	s_add_i32 s20, s20, -8
	v_cndmask_b32_e64 v4, 0, 1, vcc
	v_cmp_gt_i32_e32 vcc, v1, v7
	v_cndmask_b32_e64 v7, 0, 1, s[6:7]
	v_cmp_gt_i32_e64 s[6:7], v1, v9
	v_addc_co_u32_e32 v3, vcc, v3, v5, vcc
	s_nop 0
	v_cndmask_b32_e64 v8, 0, 1, s[6:7]
	s_waitcnt lgkmcnt(3)
	v_cmp_gt_i32_e64 s[6:7], v1, v13
	v_cmp_gt_i32_e32 vcc, v1, v10
	s_cmp_lg_u32 s20, 0
	v_cndmask_b32_e64 v9, 0, 1, s[6:7]
	v_cmp_gt_i32_e64 s[6:7], v1, v12
	s_nop 1
	v_cndmask_b32_e64 v12, 0, 1, s[6:7]
	s_waitcnt lgkmcnt(1)
	v_cmp_gt_i32_e64 s[6:7], v1, v16
	s_nop 1
	v_cndmask_b32_e64 v13, 0, 1, s[6:7]
	v_cmp_gt_i32_e64 s[6:7], v1, v17
	s_nop 1
	v_cndmask_b32_e64 v16, 0, 1, s[6:7]
	v_cmp_gt_i32_e64 s[6:7], v1, v6
	s_nop 1
	v_addc_co_u32_e64 v2, s[6:7], v2, v4, s[6:7]
	v_cmp_gt_i32_e64 s[6:7], v1, v11
	v_addc_co_u32_e32 v2, vcc, v2, v7, vcc
	s_nop 0
	v_addc_co_u32_e64 v3, s[6:7], v3, v8, s[6:7]
	v_cmp_gt_i32_e32 vcc, v1, v15
	v_cmp_gt_i32_e64 s[6:7], v1, v14
	s_nop 0
	v_addc_co_u32_e32 v3, vcc, v3, v9, vcc
	v_addc_co_u32_e64 v2, s[6:7], v2, v12, s[6:7]
	s_waitcnt lgkmcnt(0)
	v_cmp_gt_i32_e32 vcc, v1, v18
	v_cmp_gt_i32_e64 s[6:7], v1, v19
	s_nop 0
	v_addc_co_u32_e32 v2, vcc, v2, v13, vcc
	v_addc_co_u32_e64 v3, s[6:7], v3, v16, s[6:7]
	s_cbranch_scc1 .LBB74_115
.LBB74_116:                             ;   in Loop: Header=BB74_112 Depth=1
	s_and_b64 vcc, exec, s[4:5]
	s_cbranch_vccnz .LBB74_119
; %bb.117:                              ;   in Loop: Header=BB74_112 Depth=1
	s_lshl_b32 s6, s18, 2
	s_add_i32 s6, s6, 0
	s_mov_b32 s7, s17
.LBB74_118:                             ;   Parent Loop BB74_112 Depth=1
                                        ; =>  This Inner Loop Header: Depth=2
	v_mov_b32_e32 v4, s6
	ds_read2_b32 v[4:5], v4 offset1:1
	s_add_i32 s6, s6, 8
	s_add_i32 s7, s7, -8
	s_cmp_lg_u32 s7, 0
	s_waitcnt lgkmcnt(0)
	v_cmp_gt_i32_e32 vcc, v1, v5
	s_nop 1
	v_addc_co_u32_e32 v3, vcc, 0, v3, vcc
	v_cmp_gt_i32_e32 vcc, v1, v4
	s_nop 1
	v_addc_co_u32_e32 v2, vcc, 0, v2, vcc
	s_cbranch_scc1 .LBB74_118
.LBB74_119:                             ;   in Loop: Header=BB74_112 Depth=1
	v_add_u32_e32 v2, v2, v3
	s_mov_b32 s18, s15
	s_mov_b64 s[6:7], s[10:11]
.LBB74_120:                             ;   in Loop: Header=BB74_112 Depth=1
	s_and_b64 vcc, exec, s[6:7]
	s_cbranch_vccz .LBB74_111
; %bb.121:                              ;   in Loop: Header=BB74_112 Depth=1
	s_lshl_b32 s6, s18, 2
	s_add_i32 s6, s6, 0
.LBB74_122:                             ;   Parent Loop BB74_112 Depth=1
                                        ; =>  This Inner Loop Header: Depth=2
	v_mov_b32_e32 v3, s6
	ds_read_b32 v3, v3
	s_add_i32 s18, s18, 1
	s_add_i32 s6, s6, 4
	s_cmp_ge_i32 s18, s14
	s_waitcnt lgkmcnt(0)
	v_cmp_gt_i32_e32 vcc, v1, v3
	s_nop 1
	v_addc_co_u32_e32 v2, vcc, 0, v2, vcc
	s_cbranch_scc0 .LBB74_122
	s_branch .LBB74_111
.LBB74_123:
	s_endpgm
	.section	.rodata,"a",@progbits
	.p2align	6, 0x0
	.amdhsa_kernel _ZN9rocsparseL41csrgemm_numeric_fill_block_per_row_kernelILj1024ELj64ELj16384ELj137ELj32Eii21rocsparse_complex_numIdEEEvT5_PKS3_S5_NS_24const_host_device_scalarIT6_EEPKT4_S5_PKS7_SB_S5_SD_S8_SB_S5_SD_SB_S5_PS7_21rocsparse_index_base_SF_SF_SF_bbb
		.amdhsa_group_segment_fixed_size 0
		.amdhsa_private_segment_fixed_size 40
		.amdhsa_kernarg_size 172
		.amdhsa_user_sgpr_count 2
		.amdhsa_user_sgpr_dispatch_ptr 0
		.amdhsa_user_sgpr_queue_ptr 0
		.amdhsa_user_sgpr_kernarg_segment_ptr 1
		.amdhsa_user_sgpr_dispatch_id 0
		.amdhsa_user_sgpr_kernarg_preload_length 0
		.amdhsa_user_sgpr_kernarg_preload_offset 0
		.amdhsa_user_sgpr_private_segment_size 0
		.amdhsa_uses_dynamic_stack 0
		.amdhsa_enable_private_segment 1
		.amdhsa_system_sgpr_workgroup_id_x 1
		.amdhsa_system_sgpr_workgroup_id_y 0
		.amdhsa_system_sgpr_workgroup_id_z 0
		.amdhsa_system_sgpr_workgroup_info 0
		.amdhsa_system_vgpr_workitem_id 0
		.amdhsa_next_free_vgpr 29
		.amdhsa_next_free_sgpr 100
		.amdhsa_accum_offset 32
		.amdhsa_reserve_vcc 1
		.amdhsa_float_round_mode_32 0
		.amdhsa_float_round_mode_16_64 0
		.amdhsa_float_denorm_mode_32 3
		.amdhsa_float_denorm_mode_16_64 3
		.amdhsa_dx10_clamp 1
		.amdhsa_ieee_mode 1
		.amdhsa_fp16_overflow 0
		.amdhsa_tg_split 0
		.amdhsa_exception_fp_ieee_invalid_op 0
		.amdhsa_exception_fp_denorm_src 0
		.amdhsa_exception_fp_ieee_div_zero 0
		.amdhsa_exception_fp_ieee_overflow 0
		.amdhsa_exception_fp_ieee_underflow 0
		.amdhsa_exception_fp_ieee_inexact 0
		.amdhsa_exception_int_div_zero 0
	.end_amdhsa_kernel
	.section	.text._ZN9rocsparseL41csrgemm_numeric_fill_block_per_row_kernelILj1024ELj64ELj16384ELj137ELj32Eii21rocsparse_complex_numIdEEEvT5_PKS3_S5_NS_24const_host_device_scalarIT6_EEPKT4_S5_PKS7_SB_S5_SD_S8_SB_S5_SD_SB_S5_PS7_21rocsparse_index_base_SF_SF_SF_bbb,"axG",@progbits,_ZN9rocsparseL41csrgemm_numeric_fill_block_per_row_kernelILj1024ELj64ELj16384ELj137ELj32Eii21rocsparse_complex_numIdEEEvT5_PKS3_S5_NS_24const_host_device_scalarIT6_EEPKT4_S5_PKS7_SB_S5_SD_S8_SB_S5_SD_SB_S5_PS7_21rocsparse_index_base_SF_SF_SF_bbb,comdat
.Lfunc_end74:
	.size	_ZN9rocsparseL41csrgemm_numeric_fill_block_per_row_kernelILj1024ELj64ELj16384ELj137ELj32Eii21rocsparse_complex_numIdEEEvT5_PKS3_S5_NS_24const_host_device_scalarIT6_EEPKT4_S5_PKS7_SB_S5_SD_S8_SB_S5_SD_SB_S5_PS7_21rocsparse_index_base_SF_SF_SF_bbb, .Lfunc_end74-_ZN9rocsparseL41csrgemm_numeric_fill_block_per_row_kernelILj1024ELj64ELj16384ELj137ELj32Eii21rocsparse_complex_numIdEEEvT5_PKS3_S5_NS_24const_host_device_scalarIT6_EEPKT4_S5_PKS7_SB_S5_SD_S8_SB_S5_SD_SB_S5_PS7_21rocsparse_index_base_SF_SF_SF_bbb
                                        ; -- End function
	.set _ZN9rocsparseL41csrgemm_numeric_fill_block_per_row_kernelILj1024ELj64ELj16384ELj137ELj32Eii21rocsparse_complex_numIdEEEvT5_PKS3_S5_NS_24const_host_device_scalarIT6_EEPKT4_S5_PKS7_SB_S5_SD_S8_SB_S5_SD_SB_S5_PS7_21rocsparse_index_base_SF_SF_SF_bbb.num_vgpr, 29
	.set _ZN9rocsparseL41csrgemm_numeric_fill_block_per_row_kernelILj1024ELj64ELj16384ELj137ELj32Eii21rocsparse_complex_numIdEEEvT5_PKS3_S5_NS_24const_host_device_scalarIT6_EEPKT4_S5_PKS7_SB_S5_SD_S8_SB_S5_SD_SB_S5_PS7_21rocsparse_index_base_SF_SF_SF_bbb.num_agpr, 0
	.set _ZN9rocsparseL41csrgemm_numeric_fill_block_per_row_kernelILj1024ELj64ELj16384ELj137ELj32Eii21rocsparse_complex_numIdEEEvT5_PKS3_S5_NS_24const_host_device_scalarIT6_EEPKT4_S5_PKS7_SB_S5_SD_S8_SB_S5_SD_SB_S5_PS7_21rocsparse_index_base_SF_SF_SF_bbb.numbered_sgpr, 100
	.set _ZN9rocsparseL41csrgemm_numeric_fill_block_per_row_kernelILj1024ELj64ELj16384ELj137ELj32Eii21rocsparse_complex_numIdEEEvT5_PKS3_S5_NS_24const_host_device_scalarIT6_EEPKT4_S5_PKS7_SB_S5_SD_S8_SB_S5_SD_SB_S5_PS7_21rocsparse_index_base_SF_SF_SF_bbb.num_named_barrier, 0
	.set _ZN9rocsparseL41csrgemm_numeric_fill_block_per_row_kernelILj1024ELj64ELj16384ELj137ELj32Eii21rocsparse_complex_numIdEEEvT5_PKS3_S5_NS_24const_host_device_scalarIT6_EEPKT4_S5_PKS7_SB_S5_SD_S8_SB_S5_SD_SB_S5_PS7_21rocsparse_index_base_SF_SF_SF_bbb.private_seg_size, 40
	.set _ZN9rocsparseL41csrgemm_numeric_fill_block_per_row_kernelILj1024ELj64ELj16384ELj137ELj32Eii21rocsparse_complex_numIdEEEvT5_PKS3_S5_NS_24const_host_device_scalarIT6_EEPKT4_S5_PKS7_SB_S5_SD_S8_SB_S5_SD_SB_S5_PS7_21rocsparse_index_base_SF_SF_SF_bbb.uses_vcc, 1
	.set _ZN9rocsparseL41csrgemm_numeric_fill_block_per_row_kernelILj1024ELj64ELj16384ELj137ELj32Eii21rocsparse_complex_numIdEEEvT5_PKS3_S5_NS_24const_host_device_scalarIT6_EEPKT4_S5_PKS7_SB_S5_SD_S8_SB_S5_SD_SB_S5_PS7_21rocsparse_index_base_SF_SF_SF_bbb.uses_flat_scratch, 0
	.set _ZN9rocsparseL41csrgemm_numeric_fill_block_per_row_kernelILj1024ELj64ELj16384ELj137ELj32Eii21rocsparse_complex_numIdEEEvT5_PKS3_S5_NS_24const_host_device_scalarIT6_EEPKT4_S5_PKS7_SB_S5_SD_S8_SB_S5_SD_SB_S5_PS7_21rocsparse_index_base_SF_SF_SF_bbb.has_dyn_sized_stack, 0
	.set _ZN9rocsparseL41csrgemm_numeric_fill_block_per_row_kernelILj1024ELj64ELj16384ELj137ELj32Eii21rocsparse_complex_numIdEEEvT5_PKS3_S5_NS_24const_host_device_scalarIT6_EEPKT4_S5_PKS7_SB_S5_SD_S8_SB_S5_SD_SB_S5_PS7_21rocsparse_index_base_SF_SF_SF_bbb.has_recursion, 0
	.set _ZN9rocsparseL41csrgemm_numeric_fill_block_per_row_kernelILj1024ELj64ELj16384ELj137ELj32Eii21rocsparse_complex_numIdEEEvT5_PKS3_S5_NS_24const_host_device_scalarIT6_EEPKT4_S5_PKS7_SB_S5_SD_S8_SB_S5_SD_SB_S5_PS7_21rocsparse_index_base_SF_SF_SF_bbb.has_indirect_call, 0
	.section	.AMDGPU.csdata,"",@progbits
; Kernel info:
; codeLenInByte = 5208
; TotalNumSgprs: 106
; NumVgprs: 29
; NumAgprs: 0
; TotalNumVgprs: 29
; ScratchSize: 40
; MemoryBound: 0
; FloatMode: 240
; IeeeMode: 1
; LDSByteSize: 0 bytes/workgroup (compile time only)
; SGPRBlocks: 13
; VGPRBlocks: 3
; NumSGPRsForWavesPerEU: 106
; NumVGPRsForWavesPerEU: 29
; AccumOffset: 32
; Occupancy: 7
; WaveLimiterHint : 1
; COMPUTE_PGM_RSRC2:SCRATCH_EN: 1
; COMPUTE_PGM_RSRC2:USER_SGPR: 2
; COMPUTE_PGM_RSRC2:TRAP_HANDLER: 0
; COMPUTE_PGM_RSRC2:TGID_X_EN: 1
; COMPUTE_PGM_RSRC2:TGID_Y_EN: 0
; COMPUTE_PGM_RSRC2:TGID_Z_EN: 0
; COMPUTE_PGM_RSRC2:TIDIG_COMP_CNT: 0
; COMPUTE_PGM_RSRC3_GFX90A:ACCUM_OFFSET: 7
; COMPUTE_PGM_RSRC3_GFX90A:TG_SPLIT: 0
	.section	.text._ZN9rocsparseL41csrgemm_numeric_fill_block_per_row_kernelILj1024ELj64ELj16384ELj137ELj64Eii21rocsparse_complex_numIdEEEvT5_PKS3_S5_NS_24const_host_device_scalarIT6_EEPKT4_S5_PKS7_SB_S5_SD_S8_SB_S5_SD_SB_S5_PS7_21rocsparse_index_base_SF_SF_SF_bbb,"axG",@progbits,_ZN9rocsparseL41csrgemm_numeric_fill_block_per_row_kernelILj1024ELj64ELj16384ELj137ELj64Eii21rocsparse_complex_numIdEEEvT5_PKS3_S5_NS_24const_host_device_scalarIT6_EEPKT4_S5_PKS7_SB_S5_SD_S8_SB_S5_SD_SB_S5_PS7_21rocsparse_index_base_SF_SF_SF_bbb,comdat
	.globl	_ZN9rocsparseL41csrgemm_numeric_fill_block_per_row_kernelILj1024ELj64ELj16384ELj137ELj64Eii21rocsparse_complex_numIdEEEvT5_PKS3_S5_NS_24const_host_device_scalarIT6_EEPKT4_S5_PKS7_SB_S5_SD_S8_SB_S5_SD_SB_S5_PS7_21rocsparse_index_base_SF_SF_SF_bbb ; -- Begin function _ZN9rocsparseL41csrgemm_numeric_fill_block_per_row_kernelILj1024ELj64ELj16384ELj137ELj64Eii21rocsparse_complex_numIdEEEvT5_PKS3_S5_NS_24const_host_device_scalarIT6_EEPKT4_S5_PKS7_SB_S5_SD_S8_SB_S5_SD_SB_S5_PS7_21rocsparse_index_base_SF_SF_SF_bbb
	.p2align	8
	.type	_ZN9rocsparseL41csrgemm_numeric_fill_block_per_row_kernelILj1024ELj64ELj16384ELj137ELj64Eii21rocsparse_complex_numIdEEEvT5_PKS3_S5_NS_24const_host_device_scalarIT6_EEPKT4_S5_PKS7_SB_S5_SD_S8_SB_S5_SD_SB_S5_PS7_21rocsparse_index_base_SF_SF_SF_bbb,@function
_ZN9rocsparseL41csrgemm_numeric_fill_block_per_row_kernelILj1024ELj64ELj16384ELj137ELj64Eii21rocsparse_complex_numIdEEEvT5_PKS3_S5_NS_24const_host_device_scalarIT6_EEPKT4_S5_PKS7_SB_S5_SD_S8_SB_S5_SD_SB_S5_PS7_21rocsparse_index_base_SF_SF_SF_bbb: ; @_ZN9rocsparseL41csrgemm_numeric_fill_block_per_row_kernelILj1024ELj64ELj16384ELj137ELj64Eii21rocsparse_complex_numIdEEEvT5_PKS3_S5_NS_24const_host_device_scalarIT6_EEPKT4_S5_PKS7_SB_S5_SD_S8_SB_S5_SD_SB_S5_PS7_21rocsparse_index_base_SF_SF_SF_bbb
; %bb.0:
	s_load_dword s3, s[0:1], 0xa8
	s_load_dwordx4 s[44:47], s[0:1], 0x98
	s_load_dwordx4 s[8:11], s[0:1], 0x18
	;; [unrolled: 1-line block ×3, first 2 shown]
	v_mov_b64_e32 v[6:7], 0
	s_waitcnt lgkmcnt(0)
	s_bitcmp1_b32 s3, 0
	s_cselect_b64 s[28:29], -1, 0
	s_bitcmp1_b32 s3, 16
	s_cselect_b64 s[30:31], -1, 0
	s_xor_b64 s[4:5], s[30:31], -1
	v_mov_b64_e32 v[2:3], s[8:9]
	v_cndmask_b32_e64 v1, 0, 1, s[4:5]
	scratch_store_dwordx2 off, v[2:3], off offset:16
	v_mov_b64_e32 v[2:3], s[24:25]
	s_bitcmp0_b32 s3, 0
	v_cmp_ne_u32_e64 s[4:5], 1, v1
	v_mov_b64_e32 v[10:11], 0
	v_mov_b64_e32 v[12:13], 0
	scratch_store_dwordx2 off, v[2:3], off offset:24
	s_cbranch_scc1 .LBB75_3
; %bb.1:
	s_mov_b64 s[6:7], src_private_base
	s_and_b64 s[12:13], s[30:31], exec
	s_cselect_b32 s6, s7, s9
	s_cselect_b32 s7, 16, s8
	v_mov_b32_e32 v2, s7
	v_mov_b32_e32 v3, s6
	flat_load_dwordx2 v[10:11], v[2:3]
	s_and_b64 vcc, exec, s[4:5]
	v_mov_b64_e32 v[12:13], s[10:11]
	s_cbranch_vccnz .LBB75_3
; %bb.2:
	v_mov_b64_e32 v[2:3], s[8:9]
	flat_load_dwordx2 v[12:13], v[2:3] offset:8
.LBB75_3:
	s_load_dwordx2 s[34:35], s[0:1], 0x90
	s_load_dwordx8 s[36:43], s[0:1], 0x68
	s_load_dwordx4 s[16:19], s[0:1], 0x48
	s_load_dwordx4 s[20:23], s[0:1], 0x8
	s_load_dwordx8 s[8:15], s[0:1], 0x28
	s_bitcmp1_b32 s3, 8
	s_cselect_b64 s[6:7], -1, 0
	s_bfe_u32 s3, s3, 0x10008
	s_cmp_eq_u32 s3, 0
	v_mov_b64_e32 v[8:9], 0
	s_cbranch_scc1 .LBB75_6
; %bb.4:
	s_mov_b64 s[48:49], src_private_base
	s_and_b64 s[30:31], s[30:31], exec
	s_cselect_b32 s3, s49, s25
	s_cselect_b32 s30, 24, s24
	v_mov_b32_e32 v2, s30
	v_mov_b32_e32 v3, s3
	flat_load_dwordx2 v[8:9], v[2:3]
	s_and_b64 vcc, exec, s[4:5]
	v_mov_b64_e32 v[6:7], s[26:27]
	s_cbranch_vccnz .LBB75_6
; %bb.5:
	v_mov_b64_e32 v[2:3], s[24:25]
	flat_load_dwordx2 v[6:7], v[2:3] offset:8
.LBB75_6:
	s_load_dword s33, s[0:1], 0x0
	v_lshlrev_b32_e32 v2, 4, v0
	s_mov_b32 s4, 0
	v_or_b32_e32 v1, 0xfffffc00, v0
	v_add_u32_e32 v23, 0, v2
	v_lshl_add_u32 v22, v0, 2, 0
	s_mov_b32 s5, s4
	s_mov_b32 s24, s4
	;; [unrolled: 1-line block ×3, first 2 shown]
	v_add_u32_e32 v14, 0x10008, v23
	s_mov_b64 s[0:1], 0
	s_waitcnt lgkmcnt(0)
	v_mov_b32_e32 v17, s33
	v_mov_b64_e32 v[2:3], s[4:5]
	v_mov_b64_e32 v[4:5], s[24:25]
	s_movk_i32 s3, 0x3bff
	v_mov_b32_e32 v15, v22
	v_mov_b32_e32 v16, v1
.LBB75_7:                               ; =>This Inner Loop Header: Depth=1
	v_add_u32_e32 v16, 0x400, v16
	v_cmp_lt_u32_e32 vcc, s3, v16
	ds_write_b32 v15, v17
	v_add_u32_e32 v18, -8, v14
	v_add_u32_e32 v14, 0x4000, v14
	v_add_u32_e32 v15, 0x1000, v15
	s_or_b64 s[0:1], vcc, s[0:1]
	ds_write2_b64 v18, v[2:3], v[4:5] offset1:1
	s_andn2_b64 exec, exec, s[0:1]
	s_cbranch_execnz .LBB75_7
; %bb.8:
	s_or_b64 exec, exec, s[0:1]
	s_waitcnt lgkmcnt(0)
	s_barrier
	s_load_dword s0, s[20:21], 0x0
	s_mov_b32 s1, 0
	v_lshrrev_b32_e32 v24, 6, v0
	s_waitcnt lgkmcnt(0)
	s_add_i32 s0, s0, s2
	s_lshl_b64 s[0:1], s[0:1], 2
	s_add_u32 s0, s22, s0
	s_addc_u32 s1, s23, s1
	s_load_dword s48, s[0:1], 0x0
	s_and_b64 vcc, exec, s[28:29]
	s_cbranch_vccz .LBB75_26
; %bb.9:
	s_waitcnt lgkmcnt(0)
	s_ashr_i32 s49, s48, 31
	s_lshl_b64 s[0:1], s[48:49], 2
	s_add_u32 s0, s8, s0
	s_addc_u32 s1, s9, s1
	s_load_dwordx2 s[2:3], s[0:1], 0x0
	v_subrev_u32_e32 v2, s44, v24
	s_waitcnt lgkmcnt(0)
	s_sub_i32 s30, s3, s44
	v_add_u32_e32 v14, s2, v2
	v_cmp_gt_i32_e32 vcc, s30, v14
	s_and_saveexec_b64 s[0:1], vcc
	s_cbranch_execz .LBB75_25
; %bb.10:
	v_and_b32_e32 v2, 63, v0
	v_subrev_u32_e32 v25, s45, v2
	s_mov_b64 s[2:3], 0
	s_movk_i32 s31, 0x89
	s_branch .LBB75_12
.LBB75_11:                              ;   in Loop: Header=BB75_12 Depth=1
	s_or_b64 exec, exec, s[4:5]
	v_add_u32_e32 v14, 16, v14
	v_cmp_le_i32_e32 vcc, s30, v14
	s_or_b64 s[2:3], vcc, s[2:3]
	s_andn2_b64 exec, exec, s[2:3]
	s_cbranch_execz .LBB75_25
.LBB75_12:                              ; =>This Loop Header: Depth=1
                                        ;     Child Loop BB75_16 Depth 2
                                        ;       Child Loop BB75_19 Depth 3
	v_ashrrev_i32_e32 v15, 31, v14
	v_lshl_add_u64 v[2:3], v[14:15], 2, s[10:11]
	global_load_dword v2, v[2:3], off
	s_waitcnt vmcnt(0)
	v_subrev_u32_e32 v2, s44, v2
	v_ashrrev_i32_e32 v3, 31, v2
	v_lshl_add_u64 v[2:3], v[2:3], 2, s[14:15]
	global_load_dwordx2 v[2:3], v[2:3], off
	s_waitcnt vmcnt(0)
	v_subrev_u32_e32 v26, s45, v3
	v_add_u32_e32 v16, v2, v25
	v_cmp_lt_i32_e32 vcc, v16, v26
	s_and_saveexec_b64 s[4:5], vcc
	s_cbranch_execz .LBB75_11
; %bb.13:                               ;   in Loop: Header=BB75_12 Depth=1
	v_lshl_add_u64 v[2:3], v[14:15], 4, s[12:13]
	global_load_dwordx4 v[2:5], v[2:3], off
	s_mov_b64 s[8:9], 0
	s_waitcnt vmcnt(0)
	v_mul_f64 v[18:19], v[4:5], -v[12:13]
	v_mul_f64 v[20:21], v[10:11], v[4:5]
	v_fmac_f64_e32 v[18:19], v[10:11], v[2:3]
	v_fmac_f64_e32 v[20:21], v[12:13], v[2:3]
	s_branch .LBB75_16
.LBB75_14:                              ;   in Loop: Header=BB75_16 Depth=2
	s_or_b64 exec, exec, s[22:23]
.LBB75_15:                              ;   in Loop: Header=BB75_16 Depth=2
	s_or_b64 exec, exec, s[20:21]
	s_waitcnt vmcnt(0)
	v_mul_f64 v[28:29], v[4:5], -v[20:21]
	v_mul_f64 v[4:5], v[18:19], v[4:5]
	v_fmac_f64_e32 v[28:29], v[18:19], v[2:3]
	v_fmac_f64_e32 v[4:5], v[20:21], v[2:3]
	v_lshl_add_u32 v2, v15, 4, 0
	v_add_u32_e32 v2, 0x10000, v2
	ds_add_f64 v2, v[28:29]
	ds_add_f64 v2, v[4:5] offset:8
	v_add_u32_e32 v16, 64, v16
	v_cmp_ge_i32_e32 vcc, v16, v26
	s_or_b64 s[8:9], vcc, s[8:9]
	s_andn2_b64 exec, exec, s[8:9]
	s_cbranch_execz .LBB75_11
.LBB75_16:                              ;   Parent Loop BB75_12 Depth=1
                                        ; =>  This Loop Header: Depth=2
                                        ;       Child Loop BB75_19 Depth 3
	v_ashrrev_i32_e32 v17, 31, v16
	v_lshl_add_u64 v[2:3], v[16:17], 2, s[16:17]
	global_load_dword v15, v[2:3], off
	v_lshl_add_u64 v[2:3], v[16:17], 4, s[18:19]
	global_load_dwordx4 v[2:5], v[2:3], off
	s_waitcnt vmcnt(1)
	v_subrev_u32_e32 v17, s45, v15
	v_mul_lo_u32 v15, v17, s31
	v_and_b32_e32 v15, 0x3fff, v15
	v_lshl_add_u32 v27, v15, 2, 0
	ds_read_b32 v28, v27
	s_waitcnt lgkmcnt(0)
	v_cmp_ne_u32_e32 vcc, v28, v17
	s_and_saveexec_b64 s[20:21], vcc
	s_cbranch_execz .LBB75_15
; %bb.17:                               ;   in Loop: Header=BB75_16 Depth=2
	s_mov_b64 s[22:23], 0
	s_branch .LBB75_19
.LBB75_18:                              ;   in Loop: Header=BB75_19 Depth=3
	s_or_b64 exec, exec, s[28:29]
	s_and_b64 s[24:25], exec, s[26:27]
	s_or_b64 s[22:23], s[24:25], s[22:23]
	s_andn2_b64 exec, exec, s[22:23]
	s_cbranch_execz .LBB75_14
.LBB75_19:                              ;   Parent Loop BB75_12 Depth=1
                                        ;     Parent Loop BB75_16 Depth=2
                                        ; =>    This Inner Loop Header: Depth=3
	v_cmp_ne_u32_e32 vcc, s33, v28
	s_mov_b64 s[24:25], 0
	s_and_saveexec_b64 s[26:27], vcc
	s_xor_b64 s[26:27], exec, s[26:27]
	s_cbranch_execz .LBB75_21
; %bb.20:                               ;   in Loop: Header=BB75_19 Depth=3
	v_add_u32_e32 v15, 1, v15
	s_mov_b64 s[24:25], exec
	v_and_b32_e32 v15, 0x3fff, v15
                                        ; implicit-def: $vgpr27
	s_andn2_saveexec_b64 s[26:27], s[26:27]
	s_cbranch_execz .LBB75_23
	s_branch .LBB75_22
.LBB75_21:                              ;   in Loop: Header=BB75_19 Depth=3
	s_andn2_saveexec_b64 s[26:27], s[26:27]
	s_cbranch_execz .LBB75_23
.LBB75_22:                              ;   in Loop: Header=BB75_19 Depth=3
	v_mov_b32_e32 v28, s33
	ds_cmpst_rtn_b32 v27, v27, v28, v17
	s_andn2_b64 s[24:25], s[24:25], exec
	s_waitcnt lgkmcnt(0)
	v_cmp_ne_u32_e32 vcc, s33, v27
	s_and_b64 s[28:29], vcc, exec
	s_or_b64 s[24:25], s[24:25], s[28:29]
.LBB75_23:                              ;   in Loop: Header=BB75_19 Depth=3
	s_or_b64 exec, exec, s[26:27]
	s_mov_b64 s[26:27], -1
                                        ; implicit-def: $vgpr27
                                        ; implicit-def: $vgpr28
	s_and_saveexec_b64 s[28:29], s[24:25]
	s_cbranch_execz .LBB75_18
; %bb.24:                               ;   in Loop: Header=BB75_19 Depth=3
	v_lshl_add_u32 v27, v15, 2, 0
	ds_read_b32 v28, v27
	s_waitcnt lgkmcnt(0)
	v_cmp_eq_u32_e32 vcc, v28, v17
	s_orn2_b64 s[26:27], vcc, exec
	s_branch .LBB75_18
.LBB75_25:
	s_or_b64 exec, exec, s[0:1]
.LBB75_26:
	s_andn2_b64 vcc, exec, s[6:7]
	s_cbranch_vccnz .LBB75_41
; %bb.27:
	s_waitcnt lgkmcnt(0)
	s_ashr_i32 s49, s48, 31
	s_lshl_b64 s[0:1], s[48:49], 2
	s_add_u32 s0, s36, s0
	s_addc_u32 s1, s37, s1
	s_load_dwordx2 s[2:3], s[0:1], 0x0
	v_subrev_u32_e32 v2, s47, v0
	s_waitcnt lgkmcnt(0)
	s_sub_i32 s14, s3, s47
	s_waitcnt vmcnt(0)
	v_add_u32_e32 v10, s2, v2
	v_cmp_gt_i32_e32 vcc, s14, v10
	s_and_saveexec_b64 s[0:1], vcc
	s_cbranch_execz .LBB75_40
; %bb.28:
	s_mov_b64 s[2:3], 0
	s_movk_i32 s15, 0x89
	s_branch .LBB75_31
.LBB75_29:                              ;   in Loop: Header=BB75_31 Depth=1
	s_or_b64 exec, exec, s[6:7]
.LBB75_30:                              ;   in Loop: Header=BB75_31 Depth=1
	s_or_b64 exec, exec, s[4:5]
	s_waitcnt vmcnt(0)
	v_mul_f64 v[12:13], v[4:5], -v[6:7]
	v_mul_f64 v[4:5], v[8:9], v[4:5]
	v_fmac_f64_e32 v[12:13], v[8:9], v[2:3]
	v_fmac_f64_e32 v[4:5], v[6:7], v[2:3]
	v_lshl_add_u32 v2, v11, 4, 0
	v_add_u32_e32 v2, 0x10000, v2
	ds_add_f64 v2, v[12:13]
	ds_add_f64 v2, v[4:5] offset:8
	v_add_u32_e32 v10, 0x400, v10
	v_cmp_le_i32_e32 vcc, s14, v10
	s_or_b64 s[2:3], vcc, s[2:3]
	s_andn2_b64 exec, exec, s[2:3]
	s_cbranch_execz .LBB75_40
.LBB75_31:                              ; =>This Loop Header: Depth=1
                                        ;     Child Loop BB75_34 Depth 2
	v_ashrrev_i32_e32 v11, 31, v10
	v_lshl_add_u64 v[2:3], v[10:11], 2, s[38:39]
	global_load_dword v12, v[2:3], off
	v_lshl_add_u64 v[2:3], v[10:11], 4, s[40:41]
	global_load_dwordx4 v[2:5], v[2:3], off
	s_waitcnt vmcnt(1)
	v_subrev_u32_e32 v12, s47, v12
	v_mul_lo_u32 v11, v12, s15
	v_and_b32_e32 v11, 0x3fff, v11
	v_lshl_add_u32 v13, v11, 2, 0
	ds_read_b32 v14, v13
	s_waitcnt lgkmcnt(0)
	v_cmp_ne_u32_e32 vcc, v14, v12
	s_and_saveexec_b64 s[4:5], vcc
	s_cbranch_execz .LBB75_30
; %bb.32:                               ;   in Loop: Header=BB75_31 Depth=1
	s_mov_b64 s[6:7], 0
	s_branch .LBB75_34
.LBB75_33:                              ;   in Loop: Header=BB75_34 Depth=2
	s_or_b64 exec, exec, s[12:13]
	s_and_b64 s[8:9], exec, s[10:11]
	s_or_b64 s[6:7], s[8:9], s[6:7]
	s_andn2_b64 exec, exec, s[6:7]
	s_cbranch_execz .LBB75_29
.LBB75_34:                              ;   Parent Loop BB75_31 Depth=1
                                        ; =>  This Inner Loop Header: Depth=2
	v_cmp_ne_u32_e32 vcc, s33, v14
	s_mov_b64 s[8:9], 0
	s_and_saveexec_b64 s[10:11], vcc
	s_xor_b64 s[10:11], exec, s[10:11]
	s_cbranch_execz .LBB75_36
; %bb.35:                               ;   in Loop: Header=BB75_34 Depth=2
	v_add_u32_e32 v11, 1, v11
	s_mov_b64 s[8:9], exec
	v_and_b32_e32 v11, 0x3fff, v11
                                        ; implicit-def: $vgpr13
	s_andn2_saveexec_b64 s[10:11], s[10:11]
	s_cbranch_execz .LBB75_38
	s_branch .LBB75_37
.LBB75_36:                              ;   in Loop: Header=BB75_34 Depth=2
	s_andn2_saveexec_b64 s[10:11], s[10:11]
	s_cbranch_execz .LBB75_38
.LBB75_37:                              ;   in Loop: Header=BB75_34 Depth=2
	v_mov_b32_e32 v14, s33
	ds_cmpst_rtn_b32 v13, v13, v14, v12
	s_andn2_b64 s[8:9], s[8:9], exec
	s_waitcnt lgkmcnt(0)
	v_cmp_ne_u32_e32 vcc, s33, v13
	s_and_b64 s[12:13], vcc, exec
	s_or_b64 s[8:9], s[8:9], s[12:13]
.LBB75_38:                              ;   in Loop: Header=BB75_34 Depth=2
	s_or_b64 exec, exec, s[10:11]
	s_mov_b64 s[10:11], -1
                                        ; implicit-def: $vgpr13
                                        ; implicit-def: $vgpr14
	s_and_saveexec_b64 s[12:13], s[8:9]
	s_cbranch_execz .LBB75_33
; %bb.39:                               ;   in Loop: Header=BB75_34 Depth=2
	v_lshl_add_u32 v13, v11, 2, 0
	ds_read_b32 v14, v13
	s_waitcnt lgkmcnt(0)
	v_cmp_eq_u32_e32 vcc, v14, v12
	s_orn2_b64 s[10:11], vcc, exec
	s_branch .LBB75_33
.LBB75_40:
	s_or_b64 exec, exec, s[0:1]
.LBB75_41:
	v_mbcnt_lo_u32_b32 v2, -1, 0
	v_mbcnt_hi_u32_b32 v2, -1, v2
	v_sub_u32_e32 v2, 63, v2
	s_add_i32 s40, 0, 0x50000
	s_movk_i32 s0, 0x3ff
	s_movk_i32 s2, 0x7f
	;; [unrolled: 1-line block ×15, first 2 shown]
	s_add_i32 s59, 0, 0x5003c
	v_lshrrev_b64 v[2:3], v2, -1
	v_lshl_add_u32 v4, v24, 2, s40
	v_cmp_eq_u32_e32 vcc, s0, v0
	v_cmp_lt_u32_e64 s[0:1], 63, v0
	v_cmp_lt_u32_e64 s[2:3], s2, v0
	v_cmp_lt_u32_e64 s[4:5], s4, v0
	v_cmp_lt_u32_e64 s[6:7], s6, v0
	v_cmp_lt_u32_e64 s[8:9], s8, v0
	v_cmp_lt_u32_e64 s[10:11], s10, v0
	v_cmp_lt_u32_e64 s[12:13], s12, v0
	v_cmp_lt_u32_e64 s[14:15], s14, v0
	v_cmp_lt_u32_e64 s[16:17], s16, v0
	v_cmp_lt_u32_e64 s[18:19], s18, v0
	v_cmp_lt_u32_e64 s[20:21], s20, v0
	v_cmp_lt_u32_e64 s[22:23], s22, v0
	v_cmp_lt_u32_e64 s[24:25], s24, v0
	v_cmp_lt_u32_e64 s[26:27], s26, v0
	v_cmp_lt_u32_e64 s[28:29], s28, v0
	v_add_u32_e32 v5, 0x10000, v23
	s_mov_b64 s[36:37], 0
	s_waitcnt vmcnt(0)
	v_mov_b32_e32 v6, 0
	s_add_i32 s41, 0, 0x50004
	s_add_i32 s44, 0, 0x50008
	;; [unrolled: 1-line block ×14, first 2 shown]
	v_mov_b32_e32 v7, s59
	s_movk_i32 s60, 0x3bff
	s_waitcnt lgkmcnt(0)
	s_barrier
	s_branch .LBB75_43
.LBB75_42:                              ;   in Loop: Header=BB75_43 Depth=1
	s_or_b64 exec, exec, s[30:31]
	s_waitcnt lgkmcnt(0)
	s_barrier
	ds_read_b32 v8, v7
	v_add_u32_e32 v1, 0x400, v1
	v_cmp_lt_u32_e64 s[30:31], s60, v1
	v_add_u32_e32 v5, 0x4000, v5
	s_or_b64 s[36:37], s[30:31], s[36:37]
	s_waitcnt lgkmcnt(0)
	v_add_u32_e32 v6, v8, v6
	v_add_u32_e32 v22, 0x1000, v22
	s_andn2_b64 exec, exec, s[36:37]
	s_cbranch_execz .LBB75_77
.LBB75_43:                              ; =>This Inner Loop Header: Depth=1
	ds_read2_b64 v[10:13], v5 offset1:1
	ds_read_b32 v9, v22
	s_waitcnt lgkmcnt(1)
	scratch_store_dwordx4 off, v[10:13], off
	s_waitcnt lgkmcnt(0)
	v_cmp_gt_i32_e64 s[30:31], s33, v9
	s_bcnt1_i32_b64 s38, s[30:31]
	s_nop 0
	v_and_b32_e32 v10, s30, v2
	v_and_b32_e32 v8, s31, v3
	v_bcnt_u32_b32 v10, v10, 0
	v_bcnt_u32_b32 v8, v8, v10
	v_mov_b32_e32 v10, s38
	s_barrier
	ds_write_b32 v4, v10
	s_waitcnt lgkmcnt(0)
	s_barrier
	s_and_saveexec_b64 s[38:39], s[0:1]
	s_cbranch_execz .LBB75_60
; %bb.44:                               ;   in Loop: Header=BB75_43 Depth=1
	v_mov_b32_e32 v10, s40
	ds_read_b32 v10, v10
	s_waitcnt lgkmcnt(0)
	v_add_u32_e32 v8, v10, v8
	s_or_b64 exec, exec, s[38:39]
	s_and_saveexec_b64 s[38:39], s[2:3]
	s_cbranch_execnz .LBB75_61
.LBB75_45:                              ;   in Loop: Header=BB75_43 Depth=1
	s_or_b64 exec, exec, s[38:39]
	s_and_saveexec_b64 s[38:39], s[4:5]
	s_cbranch_execz .LBB75_62
.LBB75_46:                              ;   in Loop: Header=BB75_43 Depth=1
	v_mov_b32_e32 v10, s44
	ds_read_b32 v10, v10
	s_waitcnt lgkmcnt(0)
	v_add_u32_e32 v8, v10, v8
	s_or_b64 exec, exec, s[38:39]
	s_and_saveexec_b64 s[38:39], s[6:7]
	s_cbranch_execnz .LBB75_63
.LBB75_47:                              ;   in Loop: Header=BB75_43 Depth=1
	s_or_b64 exec, exec, s[38:39]
	s_and_saveexec_b64 s[38:39], s[8:9]
	s_cbranch_execz .LBB75_64
.LBB75_48:                              ;   in Loop: Header=BB75_43 Depth=1
	v_mov_b32_e32 v10, s47
	ds_read_b32 v10, v10
	s_waitcnt lgkmcnt(0)
	v_add_u32_e32 v8, v10, v8
	s_or_b64 exec, exec, s[38:39]
	s_and_saveexec_b64 s[38:39], s[10:11]
	s_cbranch_execnz .LBB75_65
.LBB75_49:                              ;   in Loop: Header=BB75_43 Depth=1
	s_or_b64 exec, exec, s[38:39]
	s_and_saveexec_b64 s[38:39], s[12:13]
	s_cbranch_execz .LBB75_66
.LBB75_50:                              ;   in Loop: Header=BB75_43 Depth=1
	v_mov_b32_e32 v10, s50
	ds_read_b32 v10, v10
	s_waitcnt lgkmcnt(0)
	v_add_u32_e32 v8, v10, v8
	s_or_b64 exec, exec, s[38:39]
	s_and_saveexec_b64 s[38:39], s[14:15]
	s_cbranch_execnz .LBB75_67
.LBB75_51:                              ;   in Loop: Header=BB75_43 Depth=1
	s_or_b64 exec, exec, s[38:39]
	s_and_saveexec_b64 s[38:39], s[16:17]
	s_cbranch_execz .LBB75_68
.LBB75_52:                              ;   in Loop: Header=BB75_43 Depth=1
	v_mov_b32_e32 v10, s52
	ds_read_b32 v10, v10
	s_waitcnt lgkmcnt(0)
	v_add_u32_e32 v8, v10, v8
	s_or_b64 exec, exec, s[38:39]
	s_and_saveexec_b64 s[38:39], s[18:19]
	s_cbranch_execnz .LBB75_69
.LBB75_53:                              ;   in Loop: Header=BB75_43 Depth=1
	s_or_b64 exec, exec, s[38:39]
	s_and_saveexec_b64 s[38:39], s[20:21]
	s_cbranch_execz .LBB75_70
.LBB75_54:                              ;   in Loop: Header=BB75_43 Depth=1
	v_mov_b32_e32 v10, s54
	ds_read_b32 v10, v10
	s_waitcnt lgkmcnt(0)
	v_add_u32_e32 v8, v10, v8
	s_or_b64 exec, exec, s[38:39]
	s_and_saveexec_b64 s[38:39], s[22:23]
	s_cbranch_execnz .LBB75_71
.LBB75_55:                              ;   in Loop: Header=BB75_43 Depth=1
	s_or_b64 exec, exec, s[38:39]
	s_and_saveexec_b64 s[38:39], s[24:25]
	s_cbranch_execz .LBB75_72
.LBB75_56:                              ;   in Loop: Header=BB75_43 Depth=1
	v_mov_b32_e32 v10, s56
	ds_read_b32 v10, v10
	s_waitcnt lgkmcnt(0)
	v_add_u32_e32 v8, v10, v8
	s_or_b64 exec, exec, s[38:39]
	s_and_saveexec_b64 s[38:39], s[26:27]
	s_cbranch_execnz .LBB75_73
.LBB75_57:                              ;   in Loop: Header=BB75_43 Depth=1
	s_or_b64 exec, exec, s[38:39]
	s_and_saveexec_b64 s[38:39], s[28:29]
	s_cbranch_execz .LBB75_74
.LBB75_58:                              ;   in Loop: Header=BB75_43 Depth=1
	v_mov_b32_e32 v10, s58
	ds_read_b32 v10, v10
	s_waitcnt lgkmcnt(0)
	v_add_u32_e32 v8, v10, v8
	s_or_b64 exec, exec, s[38:39]
	s_and_saveexec_b64 s[38:39], s[30:31]
	s_cbranch_execnz .LBB75_75
.LBB75_59:                              ;   in Loop: Header=BB75_43 Depth=1
	s_or_b64 exec, exec, s[38:39]
	s_and_saveexec_b64 s[30:31], vcc
	s_cbranch_execz .LBB75_42
	s_branch .LBB75_76
.LBB75_60:                              ;   in Loop: Header=BB75_43 Depth=1
	s_or_b64 exec, exec, s[38:39]
	s_and_saveexec_b64 s[38:39], s[2:3]
	s_cbranch_execz .LBB75_45
.LBB75_61:                              ;   in Loop: Header=BB75_43 Depth=1
	v_mov_b32_e32 v10, s41
	ds_read_b32 v10, v10
	s_waitcnt lgkmcnt(0)
	v_add_u32_e32 v8, v10, v8
	s_or_b64 exec, exec, s[38:39]
	s_and_saveexec_b64 s[38:39], s[4:5]
	s_cbranch_execnz .LBB75_46
.LBB75_62:                              ;   in Loop: Header=BB75_43 Depth=1
	s_or_b64 exec, exec, s[38:39]
	s_and_saveexec_b64 s[38:39], s[6:7]
	s_cbranch_execz .LBB75_47
.LBB75_63:                              ;   in Loop: Header=BB75_43 Depth=1
	v_mov_b32_e32 v10, s45
	ds_read_b32 v10, v10
	s_waitcnt lgkmcnt(0)
	v_add_u32_e32 v8, v10, v8
	s_or_b64 exec, exec, s[38:39]
	s_and_saveexec_b64 s[38:39], s[8:9]
	s_cbranch_execnz .LBB75_48
.LBB75_64:                              ;   in Loop: Header=BB75_43 Depth=1
	s_or_b64 exec, exec, s[38:39]
	s_and_saveexec_b64 s[38:39], s[10:11]
	s_cbranch_execz .LBB75_49
.LBB75_65:                              ;   in Loop: Header=BB75_43 Depth=1
	v_mov_b32_e32 v10, s49
	ds_read_b32 v10, v10
	s_waitcnt lgkmcnt(0)
	v_add_u32_e32 v8, v10, v8
	s_or_b64 exec, exec, s[38:39]
	s_and_saveexec_b64 s[38:39], s[12:13]
	s_cbranch_execnz .LBB75_50
.LBB75_66:                              ;   in Loop: Header=BB75_43 Depth=1
	s_or_b64 exec, exec, s[38:39]
	s_and_saveexec_b64 s[38:39], s[14:15]
	s_cbranch_execz .LBB75_51
.LBB75_67:                              ;   in Loop: Header=BB75_43 Depth=1
	v_mov_b32_e32 v10, s51
	ds_read_b32 v10, v10
	s_waitcnt lgkmcnt(0)
	v_add_u32_e32 v8, v10, v8
	s_or_b64 exec, exec, s[38:39]
	s_and_saveexec_b64 s[38:39], s[16:17]
	s_cbranch_execnz .LBB75_52
.LBB75_68:                              ;   in Loop: Header=BB75_43 Depth=1
	s_or_b64 exec, exec, s[38:39]
	s_and_saveexec_b64 s[38:39], s[18:19]
	s_cbranch_execz .LBB75_53
.LBB75_69:                              ;   in Loop: Header=BB75_43 Depth=1
	v_mov_b32_e32 v10, s53
	ds_read_b32 v10, v10
	s_waitcnt lgkmcnt(0)
	v_add_u32_e32 v8, v10, v8
	s_or_b64 exec, exec, s[38:39]
	s_and_saveexec_b64 s[38:39], s[20:21]
	s_cbranch_execnz .LBB75_54
.LBB75_70:                              ;   in Loop: Header=BB75_43 Depth=1
	s_or_b64 exec, exec, s[38:39]
	s_and_saveexec_b64 s[38:39], s[22:23]
	s_cbranch_execz .LBB75_55
.LBB75_71:                              ;   in Loop: Header=BB75_43 Depth=1
	v_mov_b32_e32 v10, s55
	ds_read_b32 v10, v10
	s_waitcnt lgkmcnt(0)
	v_add_u32_e32 v8, v10, v8
	s_or_b64 exec, exec, s[38:39]
	s_and_saveexec_b64 s[38:39], s[24:25]
	s_cbranch_execnz .LBB75_56
.LBB75_72:                              ;   in Loop: Header=BB75_43 Depth=1
	s_or_b64 exec, exec, s[38:39]
	s_and_saveexec_b64 s[38:39], s[26:27]
	s_cbranch_execz .LBB75_57
.LBB75_73:                              ;   in Loop: Header=BB75_43 Depth=1
	v_mov_b32_e32 v10, s57
	ds_read_b32 v10, v10
	s_waitcnt lgkmcnt(0)
	v_add_u32_e32 v8, v10, v8
	s_or_b64 exec, exec, s[38:39]
	s_and_saveexec_b64 s[38:39], s[28:29]
	s_cbranch_execnz .LBB75_58
.LBB75_74:                              ;   in Loop: Header=BB75_43 Depth=1
	s_or_b64 exec, exec, s[38:39]
	s_and_saveexec_b64 s[38:39], s[30:31]
	s_cbranch_execz .LBB75_59
.LBB75_75:                              ;   in Loop: Header=BB75_43 Depth=1
	scratch_load_dwordx4 v[10:13], off, off
	v_add3_u32 v14, v6, -1, v8
	v_add_u32_e32 v15, v6, v8
	v_lshl_add_u32 v14, v14, 2, 0
	v_lshl_add_u32 v15, v15, 4, 0
	v_add_u32_e32 v15, 0xfff0, v15
	ds_write_b32 v14, v9
	s_waitcnt vmcnt(0)
	ds_write2_b64 v15, v[10:11], v[12:13] offset1:1
	s_or_b64 exec, exec, s[38:39]
	s_and_saveexec_b64 s[30:31], vcc
	s_cbranch_execz .LBB75_42
.LBB75_76:                              ;   in Loop: Header=BB75_43 Depth=1
	v_mov_b32_e32 v9, s59
	ds_write_b32 v9, v8
	s_branch .LBB75_42
.LBB75_77:
	s_or_b64 exec, exec, s[36:37]
	s_ashr_i32 s49, s48, 31
	s_lshl_b64 s[0:1], s[48:49], 2
	s_add_u32 s2, s42, s0
	s_addc_u32 s3, s43, s1
	s_load_dwordx2 s[0:1], s[2:3], 0x0
	s_waitcnt lgkmcnt(0)
	s_sub_i32 s14, s1, s0
	v_cmp_gt_i32_e32 vcc, s14, v0
	s_and_saveexec_b64 s[2:3], vcc
	s_cbranch_execz .LBB75_91
; %bb.78:
	s_sub_i32 s8, s0, s46
	v_sub_co_u32_e64 v1, s[0:1], s14, 2
	s_nop 0
	v_readfirstlane_b32 s2, v1
	s_lshr_b32 s2, s2, 1
	s_add_i32 s2, s2, 1
	s_xor_b64 s[0:1], s[0:1], -1
	s_and_b32 s15, s14, -2
	s_and_b32 s3, s2, 7
	s_and_b32 s16, s2, -8
	s_cmp_lg_u32 s3, 0
	v_cmp_lt_u32_e32 vcc, 13, v1
	s_cselect_b64 s[4:5], -1, 0
	s_cmp_lg_u32 s14, s15
	v_cndmask_b32_e64 v1, 0, 1, vcc
	s_cselect_b64 s[10:11], -1, 0
	s_lshl_b32 s17, s3, 3
	v_cndmask_b32_e64 v2, 0, 1, s[0:1]
	v_cmp_ne_u32_e64 s[2:3], 1, v1
	v_cndmask_b32_e64 v1, 0, 1, s[4:5]
	s_mov_b32 s9, 0
	s_mov_b64 s[12:13], 0
	v_cmp_ne_u32_e64 s[0:1], 1, v2
	v_cmp_ne_u32_e64 s[4:5], 1, v1
	s_branch .LBB75_80
.LBB75_79:                              ;   in Loop: Header=BB75_80 Depth=1
	s_waitcnt lgkmcnt(0)
	v_lshl_add_u32 v1, v0, 4, 0
	v_add_u32_e32 v1, 0x10000, v1
	ds_read2_b64 v[4:7], v1 offset1:1
	v_add_u32_e32 v0, 0x400, v0
	v_ashrrev_i32_e32 v3, 31, v2
	v_cmp_le_i32_e32 vcc, s14, v0
	v_lshl_add_u64 v[2:3], v[2:3], 4, s[34:35]
	s_or_b64 s[12:13], vcc, s[12:13]
	s_waitcnt lgkmcnt(0)
	global_store_dwordx4 v[2:3], v[4:7], off
	s_andn2_b64 exec, exec, s[12:13]
	s_cbranch_execz .LBB75_91
.LBB75_80:                              ; =>This Loop Header: Depth=1
                                        ;     Child Loop BB75_83 Depth 2
                                        ;     Child Loop BB75_86 Depth 2
	;; [unrolled: 1-line block ×3, first 2 shown]
	v_lshl_add_u32 v1, v0, 2, 0
	ds_read_b32 v1, v1
	s_and_b64 vcc, exec, s[0:1]
	v_mov_b32_e32 v2, s8
	s_mov_b32 s18, 0
	s_mov_b64 s[6:7], -1
	s_cbranch_vccnz .LBB75_88
; %bb.81:                               ;   in Loop: Header=BB75_80 Depth=1
	s_and_b64 vcc, exec, s[2:3]
	v_mov_b64_e32 v[2:3], s[8:9]
	s_cbranch_vccnz .LBB75_84
; %bb.82:                               ;   in Loop: Header=BB75_80 Depth=1
	s_mov_b32 s19, 0
	v_mov_b32_e32 v2, s8
	v_mov_b32_e32 v3, 0
	s_mov_b32 s20, s16
.LBB75_83:                              ;   Parent Loop BB75_80 Depth=1
                                        ; =>  This Inner Loop Header: Depth=2
	v_mov_b32_e32 v18, s19
	ds_read2_b32 v[4:5], v18 offset1:1
	ds_read2_b32 v[6:7], v18 offset0:2 offset1:3
	ds_read2_b32 v[8:9], v18 offset0:4 offset1:5
	ds_read2_b32 v[10:11], v18 offset0:6 offset1:7
	ds_read2_b32 v[12:13], v18 offset0:8 offset1:9
	ds_read2_b32 v[14:15], v18 offset0:10 offset1:11
	ds_read2_b32 v[16:17], v18 offset0:12 offset1:13
	ds_read2_b32 v[18:19], v18 offset0:14 offset1:15
	s_waitcnt lgkmcnt(7)
	v_cmp_gt_i32_e32 vcc, v1, v5
	s_waitcnt lgkmcnt(5)
	v_cmp_gt_i32_e64 s[6:7], v1, v8
	s_add_i32 s18, s18, 16
	v_cndmask_b32_e64 v5, 0, 1, vcc
	v_cmp_gt_i32_e32 vcc, v1, v4
	s_add_i32 s19, s19, 64
	s_add_i32 s20, s20, -8
	v_cndmask_b32_e64 v4, 0, 1, vcc
	v_cmp_gt_i32_e32 vcc, v1, v7
	v_cndmask_b32_e64 v7, 0, 1, s[6:7]
	v_cmp_gt_i32_e64 s[6:7], v1, v9
	v_addc_co_u32_e32 v3, vcc, v3, v5, vcc
	s_nop 0
	v_cndmask_b32_e64 v8, 0, 1, s[6:7]
	s_waitcnt lgkmcnt(3)
	v_cmp_gt_i32_e64 s[6:7], v1, v13
	v_cmp_gt_i32_e32 vcc, v1, v10
	s_cmp_lg_u32 s20, 0
	v_cndmask_b32_e64 v9, 0, 1, s[6:7]
	v_cmp_gt_i32_e64 s[6:7], v1, v12
	s_nop 1
	v_cndmask_b32_e64 v12, 0, 1, s[6:7]
	s_waitcnt lgkmcnt(1)
	v_cmp_gt_i32_e64 s[6:7], v1, v16
	s_nop 1
	v_cndmask_b32_e64 v13, 0, 1, s[6:7]
	v_cmp_gt_i32_e64 s[6:7], v1, v17
	s_nop 1
	v_cndmask_b32_e64 v16, 0, 1, s[6:7]
	v_cmp_gt_i32_e64 s[6:7], v1, v6
	s_nop 1
	v_addc_co_u32_e64 v2, s[6:7], v2, v4, s[6:7]
	v_cmp_gt_i32_e64 s[6:7], v1, v11
	v_addc_co_u32_e32 v2, vcc, v2, v7, vcc
	s_nop 0
	v_addc_co_u32_e64 v3, s[6:7], v3, v8, s[6:7]
	v_cmp_gt_i32_e32 vcc, v1, v15
	v_cmp_gt_i32_e64 s[6:7], v1, v14
	s_nop 0
	v_addc_co_u32_e32 v3, vcc, v3, v9, vcc
	v_addc_co_u32_e64 v2, s[6:7], v2, v12, s[6:7]
	s_waitcnt lgkmcnt(0)
	v_cmp_gt_i32_e32 vcc, v1, v18
	v_cmp_gt_i32_e64 s[6:7], v1, v19
	s_nop 0
	v_addc_co_u32_e32 v2, vcc, v2, v13, vcc
	v_addc_co_u32_e64 v3, s[6:7], v3, v16, s[6:7]
	s_cbranch_scc1 .LBB75_83
.LBB75_84:                              ;   in Loop: Header=BB75_80 Depth=1
	s_and_b64 vcc, exec, s[4:5]
	s_cbranch_vccnz .LBB75_87
; %bb.85:                               ;   in Loop: Header=BB75_80 Depth=1
	s_lshl_b32 s6, s18, 2
	s_add_i32 s6, s6, 0
	s_mov_b32 s7, s17
.LBB75_86:                              ;   Parent Loop BB75_80 Depth=1
                                        ; =>  This Inner Loop Header: Depth=2
	v_mov_b32_e32 v4, s6
	ds_read2_b32 v[4:5], v4 offset1:1
	s_add_i32 s6, s6, 8
	s_add_i32 s7, s7, -8
	s_cmp_lg_u32 s7, 0
	s_waitcnt lgkmcnt(0)
	v_cmp_gt_i32_e32 vcc, v1, v5
	s_nop 1
	v_addc_co_u32_e32 v3, vcc, 0, v3, vcc
	v_cmp_gt_i32_e32 vcc, v1, v4
	s_nop 1
	v_addc_co_u32_e32 v2, vcc, 0, v2, vcc
	s_cbranch_scc1 .LBB75_86
.LBB75_87:                              ;   in Loop: Header=BB75_80 Depth=1
	v_add_u32_e32 v2, v2, v3
	s_mov_b32 s18, s15
	s_mov_b64 s[6:7], s[10:11]
.LBB75_88:                              ;   in Loop: Header=BB75_80 Depth=1
	s_and_b64 vcc, exec, s[6:7]
	s_cbranch_vccz .LBB75_79
; %bb.89:                               ;   in Loop: Header=BB75_80 Depth=1
	s_lshl_b32 s6, s18, 2
	s_add_i32 s6, s6, 0
.LBB75_90:                              ;   Parent Loop BB75_80 Depth=1
                                        ; =>  This Inner Loop Header: Depth=2
	v_mov_b32_e32 v3, s6
	ds_read_b32 v3, v3
	s_add_i32 s18, s18, 1
	s_add_i32 s6, s6, 4
	s_cmp_ge_i32 s18, s14
	s_waitcnt lgkmcnt(0)
	v_cmp_gt_i32_e32 vcc, v1, v3
	s_nop 1
	v_addc_co_u32_e32 v2, vcc, 0, v2, vcc
	s_cbranch_scc0 .LBB75_90
	s_branch .LBB75_79
.LBB75_91:
	s_endpgm
	.section	.rodata,"a",@progbits
	.p2align	6, 0x0
	.amdhsa_kernel _ZN9rocsparseL41csrgemm_numeric_fill_block_per_row_kernelILj1024ELj64ELj16384ELj137ELj64Eii21rocsparse_complex_numIdEEEvT5_PKS3_S5_NS_24const_host_device_scalarIT6_EEPKT4_S5_PKS7_SB_S5_SD_S8_SB_S5_SD_SB_S5_PS7_21rocsparse_index_base_SF_SF_SF_bbb
		.amdhsa_group_segment_fixed_size 0
		.amdhsa_private_segment_fixed_size 40
		.amdhsa_kernarg_size 172
		.amdhsa_user_sgpr_count 2
		.amdhsa_user_sgpr_dispatch_ptr 0
		.amdhsa_user_sgpr_queue_ptr 0
		.amdhsa_user_sgpr_kernarg_segment_ptr 1
		.amdhsa_user_sgpr_dispatch_id 0
		.amdhsa_user_sgpr_kernarg_preload_length 0
		.amdhsa_user_sgpr_kernarg_preload_offset 0
		.amdhsa_user_sgpr_private_segment_size 0
		.amdhsa_uses_dynamic_stack 0
		.amdhsa_enable_private_segment 1
		.amdhsa_system_sgpr_workgroup_id_x 1
		.amdhsa_system_sgpr_workgroup_id_y 0
		.amdhsa_system_sgpr_workgroup_id_z 0
		.amdhsa_system_sgpr_workgroup_info 0
		.amdhsa_system_vgpr_workitem_id 0
		.amdhsa_next_free_vgpr 30
		.amdhsa_next_free_sgpr 61
		.amdhsa_accum_offset 32
		.amdhsa_reserve_vcc 1
		.amdhsa_float_round_mode_32 0
		.amdhsa_float_round_mode_16_64 0
		.amdhsa_float_denorm_mode_32 3
		.amdhsa_float_denorm_mode_16_64 3
		.amdhsa_dx10_clamp 1
		.amdhsa_ieee_mode 1
		.amdhsa_fp16_overflow 0
		.amdhsa_tg_split 0
		.amdhsa_exception_fp_ieee_invalid_op 0
		.amdhsa_exception_fp_denorm_src 0
		.amdhsa_exception_fp_ieee_div_zero 0
		.amdhsa_exception_fp_ieee_overflow 0
		.amdhsa_exception_fp_ieee_underflow 0
		.amdhsa_exception_fp_ieee_inexact 0
		.amdhsa_exception_int_div_zero 0
	.end_amdhsa_kernel
	.section	.text._ZN9rocsparseL41csrgemm_numeric_fill_block_per_row_kernelILj1024ELj64ELj16384ELj137ELj64Eii21rocsparse_complex_numIdEEEvT5_PKS3_S5_NS_24const_host_device_scalarIT6_EEPKT4_S5_PKS7_SB_S5_SD_S8_SB_S5_SD_SB_S5_PS7_21rocsparse_index_base_SF_SF_SF_bbb,"axG",@progbits,_ZN9rocsparseL41csrgemm_numeric_fill_block_per_row_kernelILj1024ELj64ELj16384ELj137ELj64Eii21rocsparse_complex_numIdEEEvT5_PKS3_S5_NS_24const_host_device_scalarIT6_EEPKT4_S5_PKS7_SB_S5_SD_S8_SB_S5_SD_SB_S5_PS7_21rocsparse_index_base_SF_SF_SF_bbb,comdat
.Lfunc_end75:
	.size	_ZN9rocsparseL41csrgemm_numeric_fill_block_per_row_kernelILj1024ELj64ELj16384ELj137ELj64Eii21rocsparse_complex_numIdEEEvT5_PKS3_S5_NS_24const_host_device_scalarIT6_EEPKT4_S5_PKS7_SB_S5_SD_S8_SB_S5_SD_SB_S5_PS7_21rocsparse_index_base_SF_SF_SF_bbb, .Lfunc_end75-_ZN9rocsparseL41csrgemm_numeric_fill_block_per_row_kernelILj1024ELj64ELj16384ELj137ELj64Eii21rocsparse_complex_numIdEEEvT5_PKS3_S5_NS_24const_host_device_scalarIT6_EEPKT4_S5_PKS7_SB_S5_SD_S8_SB_S5_SD_SB_S5_PS7_21rocsparse_index_base_SF_SF_SF_bbb
                                        ; -- End function
	.set _ZN9rocsparseL41csrgemm_numeric_fill_block_per_row_kernelILj1024ELj64ELj16384ELj137ELj64Eii21rocsparse_complex_numIdEEEvT5_PKS3_S5_NS_24const_host_device_scalarIT6_EEPKT4_S5_PKS7_SB_S5_SD_S8_SB_S5_SD_SB_S5_PS7_21rocsparse_index_base_SF_SF_SF_bbb.num_vgpr, 30
	.set _ZN9rocsparseL41csrgemm_numeric_fill_block_per_row_kernelILj1024ELj64ELj16384ELj137ELj64Eii21rocsparse_complex_numIdEEEvT5_PKS3_S5_NS_24const_host_device_scalarIT6_EEPKT4_S5_PKS7_SB_S5_SD_S8_SB_S5_SD_SB_S5_PS7_21rocsparse_index_base_SF_SF_SF_bbb.num_agpr, 0
	.set _ZN9rocsparseL41csrgemm_numeric_fill_block_per_row_kernelILj1024ELj64ELj16384ELj137ELj64Eii21rocsparse_complex_numIdEEEvT5_PKS3_S5_NS_24const_host_device_scalarIT6_EEPKT4_S5_PKS7_SB_S5_SD_S8_SB_S5_SD_SB_S5_PS7_21rocsparse_index_base_SF_SF_SF_bbb.numbered_sgpr, 61
	.set _ZN9rocsparseL41csrgemm_numeric_fill_block_per_row_kernelILj1024ELj64ELj16384ELj137ELj64Eii21rocsparse_complex_numIdEEEvT5_PKS3_S5_NS_24const_host_device_scalarIT6_EEPKT4_S5_PKS7_SB_S5_SD_S8_SB_S5_SD_SB_S5_PS7_21rocsparse_index_base_SF_SF_SF_bbb.num_named_barrier, 0
	.set _ZN9rocsparseL41csrgemm_numeric_fill_block_per_row_kernelILj1024ELj64ELj16384ELj137ELj64Eii21rocsparse_complex_numIdEEEvT5_PKS3_S5_NS_24const_host_device_scalarIT6_EEPKT4_S5_PKS7_SB_S5_SD_S8_SB_S5_SD_SB_S5_PS7_21rocsparse_index_base_SF_SF_SF_bbb.private_seg_size, 40
	.set _ZN9rocsparseL41csrgemm_numeric_fill_block_per_row_kernelILj1024ELj64ELj16384ELj137ELj64Eii21rocsparse_complex_numIdEEEvT5_PKS3_S5_NS_24const_host_device_scalarIT6_EEPKT4_S5_PKS7_SB_S5_SD_S8_SB_S5_SD_SB_S5_PS7_21rocsparse_index_base_SF_SF_SF_bbb.uses_vcc, 1
	.set _ZN9rocsparseL41csrgemm_numeric_fill_block_per_row_kernelILj1024ELj64ELj16384ELj137ELj64Eii21rocsparse_complex_numIdEEEvT5_PKS3_S5_NS_24const_host_device_scalarIT6_EEPKT4_S5_PKS7_SB_S5_SD_S8_SB_S5_SD_SB_S5_PS7_21rocsparse_index_base_SF_SF_SF_bbb.uses_flat_scratch, 0
	.set _ZN9rocsparseL41csrgemm_numeric_fill_block_per_row_kernelILj1024ELj64ELj16384ELj137ELj64Eii21rocsparse_complex_numIdEEEvT5_PKS3_S5_NS_24const_host_device_scalarIT6_EEPKT4_S5_PKS7_SB_S5_SD_S8_SB_S5_SD_SB_S5_PS7_21rocsparse_index_base_SF_SF_SF_bbb.has_dyn_sized_stack, 0
	.set _ZN9rocsparseL41csrgemm_numeric_fill_block_per_row_kernelILj1024ELj64ELj16384ELj137ELj64Eii21rocsparse_complex_numIdEEEvT5_PKS3_S5_NS_24const_host_device_scalarIT6_EEPKT4_S5_PKS7_SB_S5_SD_S8_SB_S5_SD_SB_S5_PS7_21rocsparse_index_base_SF_SF_SF_bbb.has_recursion, 0
	.set _ZN9rocsparseL41csrgemm_numeric_fill_block_per_row_kernelILj1024ELj64ELj16384ELj137ELj64Eii21rocsparse_complex_numIdEEEvT5_PKS3_S5_NS_24const_host_device_scalarIT6_EEPKT4_S5_PKS7_SB_S5_SD_S8_SB_S5_SD_SB_S5_PS7_21rocsparse_index_base_SF_SF_SF_bbb.has_indirect_call, 0
	.section	.AMDGPU.csdata,"",@progbits
; Kernel info:
; codeLenInByte = 3672
; TotalNumSgprs: 67
; NumVgprs: 30
; NumAgprs: 0
; TotalNumVgprs: 30
; ScratchSize: 40
; MemoryBound: 0
; FloatMode: 240
; IeeeMode: 1
; LDSByteSize: 0 bytes/workgroup (compile time only)
; SGPRBlocks: 8
; VGPRBlocks: 3
; NumSGPRsForWavesPerEU: 67
; NumVGPRsForWavesPerEU: 30
; AccumOffset: 32
; Occupancy: 8
; WaveLimiterHint : 1
; COMPUTE_PGM_RSRC2:SCRATCH_EN: 1
; COMPUTE_PGM_RSRC2:USER_SGPR: 2
; COMPUTE_PGM_RSRC2:TRAP_HANDLER: 0
; COMPUTE_PGM_RSRC2:TGID_X_EN: 1
; COMPUTE_PGM_RSRC2:TGID_Y_EN: 0
; COMPUTE_PGM_RSRC2:TGID_Z_EN: 0
; COMPUTE_PGM_RSRC2:TIDIG_COMP_CNT: 0
; COMPUTE_PGM_RSRC3_GFX90A:ACCUM_OFFSET: 7
; COMPUTE_PGM_RSRC3_GFX90A:TG_SPLIT: 0
	.section	.text._ZN9rocsparseL41csrgemm_numeric_fill_block_per_row_kernelILj1024ELj64ELj32768ELj137ELj32Eii21rocsparse_complex_numIdEEEvT5_PKS3_S5_NS_24const_host_device_scalarIT6_EEPKT4_S5_PKS7_SB_S5_SD_S8_SB_S5_SD_SB_S5_PS7_21rocsparse_index_base_SF_SF_SF_bbb,"axG",@progbits,_ZN9rocsparseL41csrgemm_numeric_fill_block_per_row_kernelILj1024ELj64ELj32768ELj137ELj32Eii21rocsparse_complex_numIdEEEvT5_PKS3_S5_NS_24const_host_device_scalarIT6_EEPKT4_S5_PKS7_SB_S5_SD_S8_SB_S5_SD_SB_S5_PS7_21rocsparse_index_base_SF_SF_SF_bbb,comdat
	.globl	_ZN9rocsparseL41csrgemm_numeric_fill_block_per_row_kernelILj1024ELj64ELj32768ELj137ELj32Eii21rocsparse_complex_numIdEEEvT5_PKS3_S5_NS_24const_host_device_scalarIT6_EEPKT4_S5_PKS7_SB_S5_SD_S8_SB_S5_SD_SB_S5_PS7_21rocsparse_index_base_SF_SF_SF_bbb ; -- Begin function _ZN9rocsparseL41csrgemm_numeric_fill_block_per_row_kernelILj1024ELj64ELj32768ELj137ELj32Eii21rocsparse_complex_numIdEEEvT5_PKS3_S5_NS_24const_host_device_scalarIT6_EEPKT4_S5_PKS7_SB_S5_SD_S8_SB_S5_SD_SB_S5_PS7_21rocsparse_index_base_SF_SF_SF_bbb
	.p2align	8
	.type	_ZN9rocsparseL41csrgemm_numeric_fill_block_per_row_kernelILj1024ELj64ELj32768ELj137ELj32Eii21rocsparse_complex_numIdEEEvT5_PKS3_S5_NS_24const_host_device_scalarIT6_EEPKT4_S5_PKS7_SB_S5_SD_S8_SB_S5_SD_SB_S5_PS7_21rocsparse_index_base_SF_SF_SF_bbb,@function
_ZN9rocsparseL41csrgemm_numeric_fill_block_per_row_kernelILj1024ELj64ELj32768ELj137ELj32Eii21rocsparse_complex_numIdEEEvT5_PKS3_S5_NS_24const_host_device_scalarIT6_EEPKT4_S5_PKS7_SB_S5_SD_S8_SB_S5_SD_SB_S5_PS7_21rocsparse_index_base_SF_SF_SF_bbb: ; @_ZN9rocsparseL41csrgemm_numeric_fill_block_per_row_kernelILj1024ELj64ELj32768ELj137ELj32Eii21rocsparse_complex_numIdEEEvT5_PKS3_S5_NS_24const_host_device_scalarIT6_EEPKT4_S5_PKS7_SB_S5_SD_S8_SB_S5_SD_SB_S5_PS7_21rocsparse_index_base_SF_SF_SF_bbb
; %bb.0:
	s_load_dword s3, s[0:1], 0xa8
	s_load_dwordx4 s[68:71], s[0:1], 0x98
	s_load_dwordx4 s[8:11], s[0:1], 0x18
	s_load_dwordx4 s[24:27], s[0:1], 0x58
	v_mov_b64_e32 v[6:7], 0
	s_waitcnt lgkmcnt(0)
	s_bitcmp1_b32 s3, 0
	s_cselect_b64 s[28:29], -1, 0
	s_bitcmp1_b32 s3, 16
	s_cselect_b64 s[30:31], -1, 0
	s_xor_b64 s[4:5], s[30:31], -1
	v_mov_b64_e32 v[2:3], s[8:9]
	v_cndmask_b32_e64 v1, 0, 1, s[4:5]
	scratch_store_dwordx2 off, v[2:3], off offset:16
	v_mov_b64_e32 v[2:3], s[24:25]
	s_bitcmp0_b32 s3, 0
	v_cmp_ne_u32_e64 s[4:5], 1, v1
	v_mov_b64_e32 v[10:11], 0
	v_mov_b64_e32 v[12:13], 0
	scratch_store_dwordx2 off, v[2:3], off offset:24
	s_cbranch_scc1 .LBB76_3
; %bb.1:
	s_mov_b64 s[6:7], src_private_base
	s_and_b64 s[12:13], s[30:31], exec
	s_cselect_b32 s6, s7, s9
	s_cselect_b32 s7, 16, s8
	v_mov_b32_e32 v2, s7
	v_mov_b32_e32 v3, s6
	flat_load_dwordx2 v[10:11], v[2:3]
	s_and_b64 vcc, exec, s[4:5]
	v_mov_b64_e32 v[12:13], s[10:11]
	s_cbranch_vccnz .LBB76_3
; %bb.2:
	v_mov_b64_e32 v[2:3], s[8:9]
	flat_load_dwordx2 v[12:13], v[2:3] offset:8
.LBB76_3:
	s_load_dwordx2 s[6:7], s[0:1], 0x90
	s_load_dwordx8 s[8:15], s[0:1], 0x68
                                        ; implicit-def: $vgpr28 : SGPR spill to VGPR lane
	s_bitcmp1_b32 s3, 8
	v_mov_b64_e32 v[8:9], 0
	s_waitcnt lgkmcnt(0)
	v_writelane_b32 v28, s6, 0
	s_nop 1
	v_writelane_b32 v28, s7, 1
	v_writelane_b32 v28, s8, 2
	s_cselect_b64 s[6:7], -1, 0
	s_bfe_u32 s3, s3, 0x10008
	v_writelane_b32 v28, s9, 3
	v_writelane_b32 v28, s10, 4
	;; [unrolled: 1-line block ×7, first 2 shown]
	s_load_dwordx4 s[16:19], s[0:1], 0x48
	s_load_dwordx4 s[20:23], s[0:1], 0x8
	s_load_dwordx8 s[8:15], s[0:1], 0x28
	s_cmp_eq_u32 s3, 0
	s_cbranch_scc1 .LBB76_6
; %bb.4:
	s_mov_b64 s[34:35], src_private_base
	s_and_b64 s[30:31], s[30:31], exec
	s_cselect_b32 s3, s35, s25
	s_cselect_b32 s30, 24, s24
	v_mov_b32_e32 v2, s30
	v_mov_b32_e32 v3, s3
	flat_load_dwordx2 v[8:9], v[2:3]
	s_and_b64 vcc, exec, s[4:5]
	v_mov_b64_e32 v[6:7], s[26:27]
	s_cbranch_vccnz .LBB76_6
; %bb.5:
	v_mov_b64_e32 v[2:3], s[24:25]
	flat_load_dwordx2 v[6:7], v[2:3] offset:8
.LBB76_6:
	s_load_dword s33, s[0:1], 0x0
	v_lshlrev_b32_e32 v2, 4, v0
	s_mov_b32 s4, 0
	v_or_b32_e32 v1, 0xfffffc00, v0
	v_add_u32_e32 v23, 0, v2
	v_lshl_add_u32 v22, v0, 2, 0
	s_mov_b32 s5, s4
	s_mov_b32 s24, s4
	;; [unrolled: 1-line block ×3, first 2 shown]
	v_add_u32_e32 v14, 0x20008, v23
	s_mov_b64 s[0:1], 0
	s_waitcnt lgkmcnt(0)
	v_mov_b32_e32 v17, s33
	v_mov_b64_e32 v[2:3], s[4:5]
	v_mov_b64_e32 v[4:5], s[24:25]
	s_movk_i32 s3, 0x7bff
	v_mov_b32_e32 v15, v22
	v_mov_b32_e32 v16, v1
.LBB76_7:                               ; =>This Inner Loop Header: Depth=1
	v_add_u32_e32 v16, 0x400, v16
	v_cmp_lt_u32_e32 vcc, s3, v16
	ds_write_b32 v15, v17
	v_add_u32_e32 v18, -8, v14
	v_add_u32_e32 v14, 0x4000, v14
	v_add_u32_e32 v15, 0x1000, v15
	s_or_b64 s[0:1], vcc, s[0:1]
	ds_write2_b64 v18, v[2:3], v[4:5] offset1:1
	s_andn2_b64 exec, exec, s[0:1]
	s_cbranch_execnz .LBB76_7
; %bb.8:
	s_or_b64 exec, exec, s[0:1]
	s_waitcnt lgkmcnt(0)
	s_barrier
	s_load_dword s0, s[20:21], 0x0
	s_mov_b32 s1, 0
	s_waitcnt lgkmcnt(0)
	s_add_i32 s0, s0, s2
	s_lshl_b64 s[0:1], s[0:1], 2
	s_add_u32 s0, s22, s0
	s_addc_u32 s1, s23, s1
	s_load_dword s0, s[0:1], 0x0
	s_and_b64 vcc, exec, s[28:29]
	s_waitcnt lgkmcnt(0)
	v_writelane_b32 v28, s0, 10
	s_nop 1
	v_writelane_b32 v28, s1, 11
	s_cbranch_vccz .LBB76_26
; %bb.9:
	v_readlane_b32 s0, v28, 10
	v_readlane_b32 s1, v28, 11
	s_mov_b32 s2, s0
	s_ashr_i32 s3, s0, 31
	v_writelane_b32 v28, s0, 10
	v_lshrrev_b32_e32 v2, 6, v0
	v_subrev_u32_e32 v2, s68, v2
	v_writelane_b32 v28, s1, 11
	s_lshl_b64 s[0:1], s[2:3], 2
	s_add_u32 s0, s8, s0
	s_addc_u32 s1, s9, s1
	s_load_dwordx2 s[2:3], s[0:1], 0x0
	s_waitcnt lgkmcnt(0)
	s_sub_i32 s30, s3, s68
	v_add_u32_e32 v14, s2, v2
	v_cmp_gt_i32_e32 vcc, s30, v14
	s_and_saveexec_b64 s[0:1], vcc
	s_cbranch_execz .LBB76_25
; %bb.10:
	v_and_b32_e32 v2, 63, v0
	v_subrev_u32_e32 v24, s69, v2
	s_mov_b64 s[2:3], 0
	s_movk_i32 s31, 0x89
	s_branch .LBB76_12
.LBB76_11:                              ;   in Loop: Header=BB76_12 Depth=1
	s_or_b64 exec, exec, s[4:5]
	v_add_u32_e32 v14, 16, v14
	v_cmp_le_i32_e32 vcc, s30, v14
	s_or_b64 s[2:3], vcc, s[2:3]
	s_andn2_b64 exec, exec, s[2:3]
	s_cbranch_execz .LBB76_25
.LBB76_12:                              ; =>This Loop Header: Depth=1
                                        ;     Child Loop BB76_16 Depth 2
                                        ;       Child Loop BB76_19 Depth 3
	v_ashrrev_i32_e32 v15, 31, v14
	v_lshl_add_u64 v[2:3], v[14:15], 2, s[10:11]
	global_load_dword v2, v[2:3], off
	s_waitcnt vmcnt(0)
	v_subrev_u32_e32 v2, s68, v2
	v_ashrrev_i32_e32 v3, 31, v2
	v_lshl_add_u64 v[2:3], v[2:3], 2, s[14:15]
	global_load_dwordx2 v[2:3], v[2:3], off
	s_waitcnt vmcnt(0)
	v_subrev_u32_e32 v25, s69, v3
	v_add_u32_e32 v16, v2, v24
	v_cmp_lt_i32_e32 vcc, v16, v25
	s_and_saveexec_b64 s[4:5], vcc
	s_cbranch_execz .LBB76_11
; %bb.13:                               ;   in Loop: Header=BB76_12 Depth=1
	v_lshl_add_u64 v[2:3], v[14:15], 4, s[12:13]
	global_load_dwordx4 v[2:5], v[2:3], off
	s_mov_b64 s[8:9], 0
	s_waitcnt vmcnt(0)
	v_mul_f64 v[18:19], v[4:5], -v[12:13]
	v_mul_f64 v[20:21], v[10:11], v[4:5]
	v_fmac_f64_e32 v[18:19], v[10:11], v[2:3]
	v_fmac_f64_e32 v[20:21], v[12:13], v[2:3]
	s_branch .LBB76_16
.LBB76_14:                              ;   in Loop: Header=BB76_16 Depth=2
	s_or_b64 exec, exec, s[22:23]
.LBB76_15:                              ;   in Loop: Header=BB76_16 Depth=2
	s_or_b64 exec, exec, s[20:21]
	s_waitcnt vmcnt(0)
	v_mul_f64 v[26:27], v[4:5], -v[20:21]
	v_mul_f64 v[4:5], v[18:19], v[4:5]
	v_fmac_f64_e32 v[26:27], v[18:19], v[2:3]
	v_fmac_f64_e32 v[4:5], v[20:21], v[2:3]
	v_lshl_add_u32 v2, v15, 4, 0
	v_add_u32_e32 v2, 0x20000, v2
	ds_add_f64 v2, v[26:27]
	ds_add_f64 v2, v[4:5] offset:8
	v_add_u32_e32 v16, 64, v16
	v_cmp_ge_i32_e32 vcc, v16, v25
	s_or_b64 s[8:9], vcc, s[8:9]
	s_andn2_b64 exec, exec, s[8:9]
	s_cbranch_execz .LBB76_11
.LBB76_16:                              ;   Parent Loop BB76_12 Depth=1
                                        ; =>  This Loop Header: Depth=2
                                        ;       Child Loop BB76_19 Depth 3
	v_ashrrev_i32_e32 v17, 31, v16
	v_lshl_add_u64 v[2:3], v[16:17], 2, s[16:17]
	global_load_dword v15, v[2:3], off
	v_lshl_add_u64 v[2:3], v[16:17], 4, s[18:19]
	global_load_dwordx4 v[2:5], v[2:3], off
	s_waitcnt vmcnt(1)
	v_subrev_u32_e32 v17, s69, v15
	v_mul_lo_u32 v15, v17, s31
	v_and_b32_e32 v15, 0x7fff, v15
	v_lshl_add_u32 v26, v15, 2, 0
	ds_read_b32 v27, v26
	s_waitcnt lgkmcnt(0)
	v_cmp_ne_u32_e32 vcc, v27, v17
	s_and_saveexec_b64 s[20:21], vcc
	s_cbranch_execz .LBB76_15
; %bb.17:                               ;   in Loop: Header=BB76_16 Depth=2
	s_mov_b64 s[22:23], 0
	s_branch .LBB76_19
.LBB76_18:                              ;   in Loop: Header=BB76_19 Depth=3
	s_or_b64 exec, exec, s[28:29]
	s_and_b64 s[24:25], exec, s[26:27]
	s_or_b64 s[22:23], s[24:25], s[22:23]
	s_andn2_b64 exec, exec, s[22:23]
	s_cbranch_execz .LBB76_14
.LBB76_19:                              ;   Parent Loop BB76_12 Depth=1
                                        ;     Parent Loop BB76_16 Depth=2
                                        ; =>    This Inner Loop Header: Depth=3
	v_cmp_ne_u32_e32 vcc, s33, v27
	s_mov_b64 s[24:25], 0
	s_and_saveexec_b64 s[26:27], vcc
	s_xor_b64 s[26:27], exec, s[26:27]
	s_cbranch_execz .LBB76_21
; %bb.20:                               ;   in Loop: Header=BB76_19 Depth=3
	v_add_u32_e32 v15, 1, v15
	s_mov_b64 s[24:25], exec
	v_and_b32_e32 v15, 0x7fff, v15
                                        ; implicit-def: $vgpr26
	s_andn2_saveexec_b64 s[26:27], s[26:27]
	s_cbranch_execz .LBB76_23
	s_branch .LBB76_22
.LBB76_21:                              ;   in Loop: Header=BB76_19 Depth=3
	s_andn2_saveexec_b64 s[26:27], s[26:27]
	s_cbranch_execz .LBB76_23
.LBB76_22:                              ;   in Loop: Header=BB76_19 Depth=3
	v_mov_b32_e32 v27, s33
	ds_cmpst_rtn_b32 v26, v26, v27, v17
	s_andn2_b64 s[24:25], s[24:25], exec
	s_waitcnt lgkmcnt(0)
	v_cmp_ne_u32_e32 vcc, s33, v26
	s_and_b64 s[28:29], vcc, exec
	s_or_b64 s[24:25], s[24:25], s[28:29]
.LBB76_23:                              ;   in Loop: Header=BB76_19 Depth=3
	s_or_b64 exec, exec, s[26:27]
	s_mov_b64 s[26:27], -1
                                        ; implicit-def: $vgpr26
                                        ; implicit-def: $vgpr27
	s_and_saveexec_b64 s[28:29], s[24:25]
	s_cbranch_execz .LBB76_18
; %bb.24:                               ;   in Loop: Header=BB76_19 Depth=3
	v_lshl_add_u32 v26, v15, 2, 0
	ds_read_b32 v27, v26
	s_waitcnt lgkmcnt(0)
	v_cmp_eq_u32_e32 vcc, v27, v17
	s_orn2_b64 s[26:27], vcc, exec
	s_branch .LBB76_18
.LBB76_25:
	s_or_b64 exec, exec, s[0:1]
.LBB76_26:
	s_andn2_b64 vcc, exec, s[6:7]
	s_cbranch_vccnz .LBB76_41
; %bb.27:
	v_readlane_b32 s0, v28, 10
	v_readlane_b32 s1, v28, 11
	s_mov_b32 s2, s0
	s_ashr_i32 s3, s0, 31
	v_writelane_b32 v28, s0, 10
	v_subrev_u32_e32 v2, s71, v0
	s_nop 0
	v_writelane_b32 v28, s1, 11
	s_lshl_b64 s[0:1], s[2:3], 2
	v_readlane_b32 s4, v28, 2
	v_readlane_b32 s5, v28, 3
	s_add_u32 s0, s4, s0
	s_addc_u32 s1, s5, s1
	s_load_dwordx2 s[2:3], s[0:1], 0x0
	v_readlane_b32 s6, v28, 4
	v_readlane_b32 s7, v28, 5
	;; [unrolled: 1-line block ×4, first 2 shown]
	s_waitcnt lgkmcnt(0)
	s_sub_i32 s14, s3, s71
	s_waitcnt vmcnt(0)
	v_add_u32_e32 v10, s2, v2
	v_cmp_gt_i32_e32 vcc, s14, v10
	v_readlane_b32 s10, v28, 8
	v_readlane_b32 s11, v28, 9
	s_and_saveexec_b64 s[0:1], vcc
	s_cbranch_execz .LBB76_40
; %bb.28:
	s_mov_b64 s[2:3], 0
	s_movk_i32 s15, 0x89
	s_branch .LBB76_31
.LBB76_29:                              ;   in Loop: Header=BB76_31 Depth=1
	s_or_b64 exec, exec, s[6:7]
.LBB76_30:                              ;   in Loop: Header=BB76_31 Depth=1
	s_or_b64 exec, exec, s[4:5]
	s_waitcnt vmcnt(0)
	v_mul_f64 v[12:13], v[4:5], -v[6:7]
	v_mul_f64 v[4:5], v[8:9], v[4:5]
	v_fmac_f64_e32 v[12:13], v[8:9], v[2:3]
	v_fmac_f64_e32 v[4:5], v[6:7], v[2:3]
	v_lshl_add_u32 v2, v11, 4, 0
	v_add_u32_e32 v2, 0x20000, v2
	ds_add_f64 v2, v[12:13]
	ds_add_f64 v2, v[4:5] offset:8
	v_add_u32_e32 v10, 0x400, v10
	v_cmp_le_i32_e32 vcc, s14, v10
	s_or_b64 s[2:3], vcc, s[2:3]
	s_andn2_b64 exec, exec, s[2:3]
	s_cbranch_execz .LBB76_40
.LBB76_31:                              ; =>This Loop Header: Depth=1
                                        ;     Child Loop BB76_34 Depth 2
	v_readlane_b32 s4, v28, 2
	v_ashrrev_i32_e32 v11, 31, v10
	v_readlane_b32 s6, v28, 4
	v_readlane_b32 s7, v28, 5
	;; [unrolled: 1-line block ×4, first 2 shown]
	v_lshl_add_u64 v[2:3], v[10:11], 2, s[6:7]
	global_load_dword v12, v[2:3], off
	v_lshl_add_u64 v[2:3], v[10:11], 4, s[8:9]
	global_load_dwordx4 v[2:5], v[2:3], off
	v_readlane_b32 s5, v28, 3
	v_readlane_b32 s10, v28, 8
	;; [unrolled: 1-line block ×3, first 2 shown]
	s_waitcnt vmcnt(1)
	v_subrev_u32_e32 v12, s71, v12
	v_mul_lo_u32 v11, v12, s15
	v_and_b32_e32 v11, 0x7fff, v11
	v_lshl_add_u32 v13, v11, 2, 0
	ds_read_b32 v14, v13
	s_waitcnt lgkmcnt(0)
	v_cmp_ne_u32_e32 vcc, v14, v12
	s_and_saveexec_b64 s[4:5], vcc
	s_cbranch_execz .LBB76_30
; %bb.32:                               ;   in Loop: Header=BB76_31 Depth=1
	s_mov_b64 s[6:7], 0
	s_branch .LBB76_34
.LBB76_33:                              ;   in Loop: Header=BB76_34 Depth=2
	s_or_b64 exec, exec, s[12:13]
	s_and_b64 s[8:9], exec, s[10:11]
	s_or_b64 s[6:7], s[8:9], s[6:7]
	s_andn2_b64 exec, exec, s[6:7]
	s_cbranch_execz .LBB76_29
.LBB76_34:                              ;   Parent Loop BB76_31 Depth=1
                                        ; =>  This Inner Loop Header: Depth=2
	v_cmp_ne_u32_e32 vcc, s33, v14
	s_mov_b64 s[8:9], 0
	s_and_saveexec_b64 s[10:11], vcc
	s_xor_b64 s[10:11], exec, s[10:11]
	s_cbranch_execz .LBB76_36
; %bb.35:                               ;   in Loop: Header=BB76_34 Depth=2
	v_add_u32_e32 v11, 1, v11
	s_mov_b64 s[8:9], exec
	v_and_b32_e32 v11, 0x7fff, v11
                                        ; implicit-def: $vgpr13
	s_andn2_saveexec_b64 s[10:11], s[10:11]
	s_cbranch_execz .LBB76_38
	s_branch .LBB76_37
.LBB76_36:                              ;   in Loop: Header=BB76_34 Depth=2
	s_andn2_saveexec_b64 s[10:11], s[10:11]
	s_cbranch_execz .LBB76_38
.LBB76_37:                              ;   in Loop: Header=BB76_34 Depth=2
	v_mov_b32_e32 v14, s33
	ds_cmpst_rtn_b32 v13, v13, v14, v12
	s_andn2_b64 s[8:9], s[8:9], exec
	s_waitcnt lgkmcnt(0)
	v_cmp_ne_u32_e32 vcc, s33, v13
	s_and_b64 s[12:13], vcc, exec
	s_or_b64 s[8:9], s[8:9], s[12:13]
.LBB76_38:                              ;   in Loop: Header=BB76_34 Depth=2
	s_or_b64 exec, exec, s[10:11]
	s_mov_b64 s[10:11], -1
                                        ; implicit-def: $vgpr13
                                        ; implicit-def: $vgpr14
	s_and_saveexec_b64 s[12:13], s[8:9]
	s_cbranch_execz .LBB76_33
; %bb.39:                               ;   in Loop: Header=BB76_34 Depth=2
	v_lshl_add_u32 v13, v11, 2, 0
	ds_read_b32 v14, v13
	s_waitcnt lgkmcnt(0)
	v_cmp_eq_u32_e32 vcc, v14, v12
	s_orn2_b64 s[10:11], vcc, exec
	s_branch .LBB76_33
.LBB76_40:
	s_or_b64 exec, exec, s[0:1]
.LBB76_41:
	s_add_i32 s0, 0, 0xa0000
	v_lshrrev_b32_e32 v4, 3, v0
	v_writelane_b32 v28, s0, 12
	s_add_i32 s60, 0, 0xa0004
	v_mbcnt_lo_u32_b32 v2, -1, 0
	v_and_b32_e32 v4, 0x7c, v4
	v_writelane_b32 v28, s60, 13
	s_add_i32 s60, 0, 0xa0008
	v_mbcnt_hi_u32_b32 v2, -1, v2
	v_add_u32_e32 v4, s0, v4
	s_movk_i32 s0, 0x3ff
	v_writelane_b32 v28, s60, 14
	s_add_i32 s60, 0, 0xa000c
	v_sub_u32_e32 v2, 63, v2
	v_cmp_eq_u32_e32 vcc, s0, v0
	s_movk_i32 s0, 0x5f
	s_movk_i32 s2, 0x7f
	s_movk_i32 s4, 0x9f
	s_movk_i32 s6, 0xbf
	s_movk_i32 s8, 0xdf
	s_movk_i32 s10, 0xff
	s_movk_i32 s12, 0x11f
	s_movk_i32 s14, 0x13f
	s_movk_i32 s16, 0x15f
	s_movk_i32 s18, 0x17f
	s_movk_i32 s20, 0x19f
	s_movk_i32 s22, 0x1bf
	s_movk_i32 s24, 0x1df
	s_movk_i32 s26, 0x1ff
	s_movk_i32 s28, 0x21f
	s_movk_i32 s30, 0x23f
	s_movk_i32 s34, 0x25f
	s_movk_i32 s36, 0x27f
	s_movk_i32 s38, 0x29f
	s_movk_i32 s40, 0x2bf
	s_movk_i32 s42, 0x2df
	s_movk_i32 s44, 0x2ff
	s_movk_i32 s46, 0x31f
	s_movk_i32 s48, 0x33f
	s_movk_i32 s50, 0x35f
	s_movk_i32 s52, 0x37f
	s_movk_i32 s54, 0x39f
	s_movk_i32 s56, 0x3bf
	s_movk_i32 s58, 0x3df
	v_writelane_b32 v28, s60, 15
	s_add_i32 s60, 0, 0xa0014
	v_lshrrev_b64 v[2:3], v2, -1
	v_cmp_lt_u32_e64 s[0:1], s0, v0
	v_cmp_lt_u32_e64 s[2:3], s2, v0
	;; [unrolled: 1-line block ×29, first 2 shown]
	v_add_u32_e32 v5, 0x20000, v23
	s_waitcnt vmcnt(0)
	v_mov_b32_e32 v6, 0
	s_add_i32 s79, 0, 0xa0010
	v_writelane_b32 v28, s60, 16
	s_add_i32 s82, 0, 0xa0018
	s_add_i32 s83, 0, 0xa001c
	;; [unrolled: 1-line block ×26, first 2 shown]
	v_cmp_lt_u32_e64 s[60:61], 31, v0
	v_cmp_lt_u32_e64 s[62:63], 63, v0
	s_mov_b64 s[68:69], 0
	s_waitcnt lgkmcnt(0)
	s_barrier
	s_branch .LBB76_43
.LBB76_42:                              ;   in Loop: Header=BB76_43 Depth=1
	s_or_b64 exec, exec, s[64:65]
	v_mov_b32_e32 v7, s78
	s_waitcnt lgkmcnt(0)
	s_barrier
	ds_read_b32 v7, v7
	v_add_u32_e32 v1, 0x400, v1
	s_movk_i32 s64, 0x7bff
	v_cmp_lt_u32_e64 s[64:65], s64, v1
	v_add_u32_e32 v5, 0x4000, v5
	s_waitcnt lgkmcnt(0)
	v_add_u32_e32 v6, v7, v6
	s_or_b64 s[68:69], s[64:65], s[68:69]
	v_add_u32_e32 v22, 0x1000, v22
	s_andn2_b64 exec, exec, s[68:69]
	s_cbranch_execz .LBB76_109
.LBB76_43:                              ; =>This Inner Loop Header: Depth=1
	ds_read2_b64 v[10:13], v5 offset1:1
	ds_read_b32 v8, v22
	s_waitcnt lgkmcnt(1)
	scratch_store_dwordx4 off, v[10:13], off
	s_waitcnt lgkmcnt(0)
	v_cmp_gt_i32_e64 s[64:65], s33, v8
	s_bcnt1_i32_b64 s76, s[64:65]
	s_nop 0
	v_and_b32_e32 v9, s64, v2
	v_and_b32_e32 v7, s65, v3
	v_bcnt_u32_b32 v9, v9, 0
	v_bcnt_u32_b32 v7, v7, v9
	v_mov_b32_e32 v9, s76
	s_barrier
	ds_write_b32 v4, v9
	s_waitcnt lgkmcnt(0)
	s_barrier
	s_and_saveexec_b64 s[76:77], s[60:61]
	s_cbranch_execz .LBB76_76
; %bb.44:                               ;   in Loop: Header=BB76_43 Depth=1
	v_readlane_b32 s80, v28, 12
	s_nop 1
	v_mov_b32_e32 v9, s80
	ds_read_b32 v9, v9
	s_waitcnt lgkmcnt(0)
	v_add_u32_e32 v7, v9, v7
	s_or_b64 exec, exec, s[76:77]
	s_and_saveexec_b64 s[76:77], s[62:63]
	s_cbranch_execnz .LBB76_77
.LBB76_45:                              ;   in Loop: Header=BB76_43 Depth=1
	s_or_b64 exec, exec, s[76:77]
	s_and_saveexec_b64 s[76:77], s[0:1]
	s_cbranch_execz .LBB76_78
.LBB76_46:                              ;   in Loop: Header=BB76_43 Depth=1
	v_readlane_b32 s80, v28, 14
	s_nop 1
	v_mov_b32_e32 v9, s80
	ds_read_b32 v9, v9
	s_waitcnt lgkmcnt(0)
	v_add_u32_e32 v7, v9, v7
	s_or_b64 exec, exec, s[76:77]
	s_and_saveexec_b64 s[76:77], s[2:3]
	s_cbranch_execnz .LBB76_79
.LBB76_47:                              ;   in Loop: Header=BB76_43 Depth=1
	s_or_b64 exec, exec, s[76:77]
	s_and_saveexec_b64 s[76:77], s[4:5]
	s_cbranch_execz .LBB76_80
.LBB76_48:                              ;   in Loop: Header=BB76_43 Depth=1
	v_mov_b32_e32 v9, s79
	ds_read_b32 v9, v9
	s_waitcnt lgkmcnt(0)
	v_add_u32_e32 v7, v9, v7
	s_or_b64 exec, exec, s[76:77]
	s_and_saveexec_b64 s[76:77], s[6:7]
	s_cbranch_execnz .LBB76_81
.LBB76_49:                              ;   in Loop: Header=BB76_43 Depth=1
	s_or_b64 exec, exec, s[76:77]
	s_and_saveexec_b64 s[76:77], s[8:9]
	s_cbranch_execz .LBB76_82
.LBB76_50:                              ;   in Loop: Header=BB76_43 Depth=1
	v_mov_b32_e32 v9, s82
	ds_read_b32 v9, v9
	s_waitcnt lgkmcnt(0)
	v_add_u32_e32 v7, v9, v7
	s_or_b64 exec, exec, s[76:77]
	s_and_saveexec_b64 s[76:77], s[10:11]
	s_cbranch_execnz .LBB76_83
.LBB76_51:                              ;   in Loop: Header=BB76_43 Depth=1
	s_or_b64 exec, exec, s[76:77]
	s_and_saveexec_b64 s[76:77], s[12:13]
	s_cbranch_execz .LBB76_84
.LBB76_52:                              ;   in Loop: Header=BB76_43 Depth=1
	v_mov_b32_e32 v9, s84
	ds_read_b32 v9, v9
	s_waitcnt lgkmcnt(0)
	v_add_u32_e32 v7, v9, v7
	s_or_b64 exec, exec, s[76:77]
	s_and_saveexec_b64 s[76:77], s[14:15]
	s_cbranch_execnz .LBB76_85
.LBB76_53:                              ;   in Loop: Header=BB76_43 Depth=1
	s_or_b64 exec, exec, s[76:77]
	s_and_saveexec_b64 s[76:77], s[16:17]
	s_cbranch_execz .LBB76_86
.LBB76_54:                              ;   in Loop: Header=BB76_43 Depth=1
	v_mov_b32_e32 v9, s86
	ds_read_b32 v9, v9
	s_waitcnt lgkmcnt(0)
	v_add_u32_e32 v7, v9, v7
	s_or_b64 exec, exec, s[76:77]
	s_and_saveexec_b64 s[76:77], s[18:19]
	s_cbranch_execnz .LBB76_87
.LBB76_55:                              ;   in Loop: Header=BB76_43 Depth=1
	s_or_b64 exec, exec, s[76:77]
	s_and_saveexec_b64 s[76:77], s[20:21]
	s_cbranch_execz .LBB76_88
.LBB76_56:                              ;   in Loop: Header=BB76_43 Depth=1
	v_mov_b32_e32 v9, s88
	ds_read_b32 v9, v9
	s_waitcnt lgkmcnt(0)
	v_add_u32_e32 v7, v9, v7
	s_or_b64 exec, exec, s[76:77]
	s_and_saveexec_b64 s[76:77], s[22:23]
	s_cbranch_execnz .LBB76_89
.LBB76_57:                              ;   in Loop: Header=BB76_43 Depth=1
	s_or_b64 exec, exec, s[76:77]
	s_and_saveexec_b64 s[76:77], s[24:25]
	s_cbranch_execz .LBB76_90
.LBB76_58:                              ;   in Loop: Header=BB76_43 Depth=1
	v_mov_b32_e32 v9, s90
	ds_read_b32 v9, v9
	s_waitcnt lgkmcnt(0)
	v_add_u32_e32 v7, v9, v7
	s_or_b64 exec, exec, s[76:77]
	s_and_saveexec_b64 s[76:77], s[26:27]
	s_cbranch_execnz .LBB76_91
.LBB76_59:                              ;   in Loop: Header=BB76_43 Depth=1
	s_or_b64 exec, exec, s[76:77]
	s_and_saveexec_b64 s[76:77], s[28:29]
	s_cbranch_execz .LBB76_92
.LBB76_60:                              ;   in Loop: Header=BB76_43 Depth=1
	v_mov_b32_e32 v9, s92
	ds_read_b32 v9, v9
	s_waitcnt lgkmcnt(0)
	v_add_u32_e32 v7, v9, v7
	s_or_b64 exec, exec, s[76:77]
	s_and_saveexec_b64 s[76:77], s[30:31]
	s_cbranch_execnz .LBB76_93
.LBB76_61:                              ;   in Loop: Header=BB76_43 Depth=1
	s_or_b64 exec, exec, s[76:77]
	s_and_saveexec_b64 s[76:77], s[34:35]
	s_cbranch_execz .LBB76_94
.LBB76_62:                              ;   in Loop: Header=BB76_43 Depth=1
	v_mov_b32_e32 v9, s94
	ds_read_b32 v9, v9
	s_waitcnt lgkmcnt(0)
	v_add_u32_e32 v7, v9, v7
	s_or_b64 exec, exec, s[76:77]
	s_and_saveexec_b64 s[76:77], s[36:37]
	s_cbranch_execnz .LBB76_95
.LBB76_63:                              ;   in Loop: Header=BB76_43 Depth=1
	s_or_b64 exec, exec, s[76:77]
	s_and_saveexec_b64 s[76:77], s[38:39]
	s_cbranch_execz .LBB76_96
.LBB76_64:                              ;   in Loop: Header=BB76_43 Depth=1
	v_mov_b32_e32 v9, s96
	ds_read_b32 v9, v9
	s_waitcnt lgkmcnt(0)
	v_add_u32_e32 v7, v9, v7
	s_or_b64 exec, exec, s[76:77]
	s_and_saveexec_b64 s[76:77], s[40:41]
	s_cbranch_execnz .LBB76_97
.LBB76_65:                              ;   in Loop: Header=BB76_43 Depth=1
	s_or_b64 exec, exec, s[76:77]
	s_and_saveexec_b64 s[76:77], s[42:43]
	s_cbranch_execz .LBB76_98
.LBB76_66:                              ;   in Loop: Header=BB76_43 Depth=1
	v_mov_b32_e32 v9, s98
	ds_read_b32 v9, v9
	s_waitcnt lgkmcnt(0)
	v_add_u32_e32 v7, v9, v7
	s_or_b64 exec, exec, s[76:77]
	s_and_saveexec_b64 s[76:77], s[44:45]
	s_cbranch_execnz .LBB76_99
.LBB76_67:                              ;   in Loop: Header=BB76_43 Depth=1
	s_or_b64 exec, exec, s[76:77]
	s_and_saveexec_b64 s[76:77], s[46:47]
	s_cbranch_execz .LBB76_100
.LBB76_68:                              ;   in Loop: Header=BB76_43 Depth=1
	v_mov_b32_e32 v9, s74
	ds_read_b32 v9, v9
	s_waitcnt lgkmcnt(0)
	v_add_u32_e32 v7, v9, v7
	s_or_b64 exec, exec, s[76:77]
	s_and_saveexec_b64 s[76:77], s[48:49]
	s_cbranch_execnz .LBB76_101
.LBB76_69:                              ;   in Loop: Header=BB76_43 Depth=1
	s_or_b64 exec, exec, s[76:77]
	s_and_saveexec_b64 s[76:77], s[50:51]
	s_cbranch_execz .LBB76_102
.LBB76_70:                              ;   in Loop: Header=BB76_43 Depth=1
	v_mov_b32_e32 v9, s73
	ds_read_b32 v9, v9
	s_waitcnt lgkmcnt(0)
	v_add_u32_e32 v7, v9, v7
	s_or_b64 exec, exec, s[76:77]
	s_and_saveexec_b64 s[76:77], s[52:53]
	s_cbranch_execnz .LBB76_103
.LBB76_71:                              ;   in Loop: Header=BB76_43 Depth=1
	s_or_b64 exec, exec, s[76:77]
	s_and_saveexec_b64 s[76:77], s[54:55]
	s_cbranch_execz .LBB76_104
.LBB76_72:                              ;   in Loop: Header=BB76_43 Depth=1
	v_mov_b32_e32 v9, s67
	ds_read_b32 v9, v9
	s_waitcnt lgkmcnt(0)
	v_add_u32_e32 v7, v9, v7
	s_or_b64 exec, exec, s[76:77]
	s_and_saveexec_b64 s[76:77], s[56:57]
	s_cbranch_execnz .LBB76_105
.LBB76_73:                              ;   in Loop: Header=BB76_43 Depth=1
	s_or_b64 exec, exec, s[76:77]
	s_and_saveexec_b64 s[76:77], s[58:59]
	s_cbranch_execz .LBB76_106
.LBB76_74:                              ;   in Loop: Header=BB76_43 Depth=1
	v_mov_b32_e32 v9, s75
	ds_read_b32 v9, v9
	s_waitcnt lgkmcnt(0)
	v_add_u32_e32 v7, v9, v7
	s_or_b64 exec, exec, s[76:77]
	s_and_saveexec_b64 s[76:77], s[64:65]
	s_cbranch_execnz .LBB76_107
.LBB76_75:                              ;   in Loop: Header=BB76_43 Depth=1
	s_or_b64 exec, exec, s[76:77]
	s_and_saveexec_b64 s[64:65], vcc
	s_cbranch_execz .LBB76_42
	s_branch .LBB76_108
.LBB76_76:                              ;   in Loop: Header=BB76_43 Depth=1
	s_or_b64 exec, exec, s[76:77]
	s_and_saveexec_b64 s[76:77], s[62:63]
	s_cbranch_execz .LBB76_45
.LBB76_77:                              ;   in Loop: Header=BB76_43 Depth=1
	v_readlane_b32 s80, v28, 13
	s_nop 1
	v_mov_b32_e32 v9, s80
	ds_read_b32 v9, v9
	s_waitcnt lgkmcnt(0)
	v_add_u32_e32 v7, v9, v7
	s_or_b64 exec, exec, s[76:77]
	s_and_saveexec_b64 s[76:77], s[0:1]
	s_cbranch_execnz .LBB76_46
.LBB76_78:                              ;   in Loop: Header=BB76_43 Depth=1
	s_or_b64 exec, exec, s[76:77]
	s_and_saveexec_b64 s[76:77], s[2:3]
	s_cbranch_execz .LBB76_47
.LBB76_79:                              ;   in Loop: Header=BB76_43 Depth=1
	v_readlane_b32 s80, v28, 15
	s_nop 1
	v_mov_b32_e32 v9, s80
	ds_read_b32 v9, v9
	s_waitcnt lgkmcnt(0)
	v_add_u32_e32 v7, v9, v7
	s_or_b64 exec, exec, s[76:77]
	s_and_saveexec_b64 s[76:77], s[4:5]
	s_cbranch_execnz .LBB76_48
.LBB76_80:                              ;   in Loop: Header=BB76_43 Depth=1
	s_or_b64 exec, exec, s[76:77]
	s_and_saveexec_b64 s[76:77], s[6:7]
	s_cbranch_execz .LBB76_49
.LBB76_81:                              ;   in Loop: Header=BB76_43 Depth=1
	v_readlane_b32 s80, v28, 16
	s_nop 1
	v_mov_b32_e32 v9, s80
	ds_read_b32 v9, v9
	s_waitcnt lgkmcnt(0)
	v_add_u32_e32 v7, v9, v7
	s_or_b64 exec, exec, s[76:77]
	s_and_saveexec_b64 s[76:77], s[8:9]
	s_cbranch_execnz .LBB76_50
.LBB76_82:                              ;   in Loop: Header=BB76_43 Depth=1
	s_or_b64 exec, exec, s[76:77]
	s_and_saveexec_b64 s[76:77], s[10:11]
	s_cbranch_execz .LBB76_51
.LBB76_83:                              ;   in Loop: Header=BB76_43 Depth=1
	v_mov_b32_e32 v9, s83
	ds_read_b32 v9, v9
	s_waitcnt lgkmcnt(0)
	v_add_u32_e32 v7, v9, v7
	s_or_b64 exec, exec, s[76:77]
	s_and_saveexec_b64 s[76:77], s[12:13]
	s_cbranch_execnz .LBB76_52
.LBB76_84:                              ;   in Loop: Header=BB76_43 Depth=1
	s_or_b64 exec, exec, s[76:77]
	s_and_saveexec_b64 s[76:77], s[14:15]
	s_cbranch_execz .LBB76_53
.LBB76_85:                              ;   in Loop: Header=BB76_43 Depth=1
	v_mov_b32_e32 v9, s85
	ds_read_b32 v9, v9
	s_waitcnt lgkmcnt(0)
	v_add_u32_e32 v7, v9, v7
	s_or_b64 exec, exec, s[76:77]
	s_and_saveexec_b64 s[76:77], s[16:17]
	s_cbranch_execnz .LBB76_54
.LBB76_86:                              ;   in Loop: Header=BB76_43 Depth=1
	s_or_b64 exec, exec, s[76:77]
	s_and_saveexec_b64 s[76:77], s[18:19]
	s_cbranch_execz .LBB76_55
.LBB76_87:                              ;   in Loop: Header=BB76_43 Depth=1
	v_mov_b32_e32 v9, s87
	ds_read_b32 v9, v9
	s_waitcnt lgkmcnt(0)
	v_add_u32_e32 v7, v9, v7
	s_or_b64 exec, exec, s[76:77]
	s_and_saveexec_b64 s[76:77], s[20:21]
	s_cbranch_execnz .LBB76_56
.LBB76_88:                              ;   in Loop: Header=BB76_43 Depth=1
	s_or_b64 exec, exec, s[76:77]
	s_and_saveexec_b64 s[76:77], s[22:23]
	s_cbranch_execz .LBB76_57
.LBB76_89:                              ;   in Loop: Header=BB76_43 Depth=1
	v_mov_b32_e32 v9, s89
	ds_read_b32 v9, v9
	s_waitcnt lgkmcnt(0)
	v_add_u32_e32 v7, v9, v7
	s_or_b64 exec, exec, s[76:77]
	s_and_saveexec_b64 s[76:77], s[24:25]
	s_cbranch_execnz .LBB76_58
.LBB76_90:                              ;   in Loop: Header=BB76_43 Depth=1
	s_or_b64 exec, exec, s[76:77]
	s_and_saveexec_b64 s[76:77], s[26:27]
	s_cbranch_execz .LBB76_59
.LBB76_91:                              ;   in Loop: Header=BB76_43 Depth=1
	v_mov_b32_e32 v9, s91
	ds_read_b32 v9, v9
	s_waitcnt lgkmcnt(0)
	v_add_u32_e32 v7, v9, v7
	s_or_b64 exec, exec, s[76:77]
	s_and_saveexec_b64 s[76:77], s[28:29]
	s_cbranch_execnz .LBB76_60
.LBB76_92:                              ;   in Loop: Header=BB76_43 Depth=1
	s_or_b64 exec, exec, s[76:77]
	s_and_saveexec_b64 s[76:77], s[30:31]
	s_cbranch_execz .LBB76_61
.LBB76_93:                              ;   in Loop: Header=BB76_43 Depth=1
	v_mov_b32_e32 v9, s93
	ds_read_b32 v9, v9
	s_waitcnt lgkmcnt(0)
	v_add_u32_e32 v7, v9, v7
	s_or_b64 exec, exec, s[76:77]
	s_and_saveexec_b64 s[76:77], s[34:35]
	s_cbranch_execnz .LBB76_62
.LBB76_94:                              ;   in Loop: Header=BB76_43 Depth=1
	s_or_b64 exec, exec, s[76:77]
	s_and_saveexec_b64 s[76:77], s[36:37]
	s_cbranch_execz .LBB76_63
.LBB76_95:                              ;   in Loop: Header=BB76_43 Depth=1
	v_mov_b32_e32 v9, s95
	ds_read_b32 v9, v9
	s_waitcnt lgkmcnt(0)
	v_add_u32_e32 v7, v9, v7
	s_or_b64 exec, exec, s[76:77]
	s_and_saveexec_b64 s[76:77], s[38:39]
	s_cbranch_execnz .LBB76_64
.LBB76_96:                              ;   in Loop: Header=BB76_43 Depth=1
	s_or_b64 exec, exec, s[76:77]
	s_and_saveexec_b64 s[76:77], s[40:41]
	s_cbranch_execz .LBB76_65
.LBB76_97:                              ;   in Loop: Header=BB76_43 Depth=1
	v_mov_b32_e32 v9, s97
	ds_read_b32 v9, v9
	s_waitcnt lgkmcnt(0)
	v_add_u32_e32 v7, v9, v7
	s_or_b64 exec, exec, s[76:77]
	s_and_saveexec_b64 s[76:77], s[42:43]
	s_cbranch_execnz .LBB76_66
.LBB76_98:                              ;   in Loop: Header=BB76_43 Depth=1
	s_or_b64 exec, exec, s[76:77]
	s_and_saveexec_b64 s[76:77], s[44:45]
	s_cbranch_execz .LBB76_67
.LBB76_99:                              ;   in Loop: Header=BB76_43 Depth=1
	v_mov_b32_e32 v9, s99
	ds_read_b32 v9, v9
	s_waitcnt lgkmcnt(0)
	v_add_u32_e32 v7, v9, v7
	s_or_b64 exec, exec, s[76:77]
	s_and_saveexec_b64 s[76:77], s[46:47]
	s_cbranch_execnz .LBB76_68
.LBB76_100:                             ;   in Loop: Header=BB76_43 Depth=1
	s_or_b64 exec, exec, s[76:77]
	s_and_saveexec_b64 s[76:77], s[48:49]
	s_cbranch_execz .LBB76_69
.LBB76_101:                             ;   in Loop: Header=BB76_43 Depth=1
	v_mov_b32_e32 v9, s72
	ds_read_b32 v9, v9
	s_waitcnt lgkmcnt(0)
	v_add_u32_e32 v7, v9, v7
	s_or_b64 exec, exec, s[76:77]
	s_and_saveexec_b64 s[76:77], s[50:51]
	s_cbranch_execnz .LBB76_70
.LBB76_102:                             ;   in Loop: Header=BB76_43 Depth=1
	s_or_b64 exec, exec, s[76:77]
	s_and_saveexec_b64 s[76:77], s[52:53]
	s_cbranch_execz .LBB76_71
.LBB76_103:                             ;   in Loop: Header=BB76_43 Depth=1
	v_mov_b32_e32 v9, s66
	ds_read_b32 v9, v9
	s_waitcnt lgkmcnt(0)
	v_add_u32_e32 v7, v9, v7
	s_or_b64 exec, exec, s[76:77]
	s_and_saveexec_b64 s[76:77], s[54:55]
	s_cbranch_execnz .LBB76_72
.LBB76_104:                             ;   in Loop: Header=BB76_43 Depth=1
	s_or_b64 exec, exec, s[76:77]
	s_and_saveexec_b64 s[76:77], s[56:57]
	s_cbranch_execz .LBB76_73
.LBB76_105:                             ;   in Loop: Header=BB76_43 Depth=1
	v_mov_b32_e32 v9, s71
	ds_read_b32 v9, v9
	s_waitcnt lgkmcnt(0)
	v_add_u32_e32 v7, v9, v7
	s_or_b64 exec, exec, s[76:77]
	s_and_saveexec_b64 s[76:77], s[58:59]
	s_cbranch_execnz .LBB76_74
.LBB76_106:                             ;   in Loop: Header=BB76_43 Depth=1
	s_or_b64 exec, exec, s[76:77]
	s_and_saveexec_b64 s[76:77], s[64:65]
	s_cbranch_execz .LBB76_75
.LBB76_107:                             ;   in Loop: Header=BB76_43 Depth=1
	scratch_load_dwordx4 v[10:13], off, off
	v_add3_u32 v9, v6, -1, v7
	v_lshl_add_u32 v14, v9, 2, 0
	v_lshl_add_u32 v9, v9, 4, 0
	v_add_u32_e32 v9, 0x20000, v9
	ds_write_b32 v14, v8
	s_waitcnt vmcnt(0)
	ds_write2_b64 v9, v[10:11], v[12:13] offset1:1
	s_or_b64 exec, exec, s[76:77]
	s_and_saveexec_b64 s[64:65], vcc
	s_cbranch_execz .LBB76_42
.LBB76_108:                             ;   in Loop: Header=BB76_43 Depth=1
	v_mov_b32_e32 v8, s78
	ds_write_b32 v8, v7
	s_branch .LBB76_42
.LBB76_109:
	s_or_b64 exec, exec, s[68:69]
	v_readlane_b32 s0, v28, 10
	v_readlane_b32 s1, v28, 11
	;; [unrolled: 1-line block ×3, first 2 shown]
	s_ashr_i32 s1, s0, 31
	v_readlane_b32 s6, v28, 4
	v_readlane_b32 s7, v28, 5
	;; [unrolled: 1-line block ×4, first 2 shown]
	s_lshl_b64 s[0:1], s[0:1], 2
	s_mov_b64 s[6:7], s[10:11]
	s_add_u32 s2, s6, s0
	s_addc_u32 s3, s7, s1
	s_load_dwordx2 s[0:1], s[2:3], 0x0
	v_readlane_b32 s5, v28, 3
	v_readlane_b32 s8, v28, 6
	;; [unrolled: 1-line block ×3, first 2 shown]
	s_waitcnt lgkmcnt(0)
	s_sub_i32 s14, s1, s0
	v_cmp_gt_i32_e32 vcc, s14, v0
	s_and_saveexec_b64 s[2:3], vcc
	s_cbranch_execz .LBB76_123
; %bb.110:
	s_sub_i32 s8, s0, s70
	v_sub_co_u32_e64 v1, s[0:1], s14, 2
	s_nop 0
	v_readfirstlane_b32 s2, v1
	s_lshr_b32 s2, s2, 1
	s_add_i32 s2, s2, 1
	s_xor_b64 s[0:1], s[0:1], -1
	s_and_b32 s15, s14, -2
	s_and_b32 s3, s2, 7
	s_and_b32 s16, s2, -8
	s_cmp_lg_u32 s3, 0
	v_cmp_lt_u32_e32 vcc, 13, v1
	s_cselect_b64 s[4:5], -1, 0
	s_cmp_lg_u32 s14, s15
	v_cndmask_b32_e64 v1, 0, 1, vcc
	s_cselect_b64 s[10:11], -1, 0
	s_lshl_b32 s17, s3, 3
	v_cndmask_b32_e64 v2, 0, 1, s[0:1]
	v_cmp_ne_u32_e64 s[2:3], 1, v1
	v_cndmask_b32_e64 v1, 0, 1, s[4:5]
	s_mov_b32 s9, 0
	s_mov_b64 s[12:13], 0
	v_cmp_ne_u32_e64 s[0:1], 1, v2
	v_cmp_ne_u32_e64 s[4:5], 1, v1
	s_branch .LBB76_112
.LBB76_111:                             ;   in Loop: Header=BB76_112 Depth=1
	s_waitcnt lgkmcnt(0)
	v_lshl_add_u32 v1, v0, 4, 0
	v_add_u32_e32 v1, 0x20000, v1
	ds_read2_b64 v[4:7], v1 offset1:1
	v_readlane_b32 s6, v28, 0
	v_add_u32_e32 v0, 0x400, v0
	v_ashrrev_i32_e32 v3, 31, v2
	v_readlane_b32 s7, v28, 1
	v_cmp_le_i32_e32 vcc, s14, v0
	s_or_b64 s[12:13], vcc, s[12:13]
	v_lshl_add_u64 v[2:3], v[2:3], 4, s[6:7]
	s_waitcnt lgkmcnt(0)
	global_store_dwordx4 v[2:3], v[4:7], off
	s_andn2_b64 exec, exec, s[12:13]
	s_cbranch_execz .LBB76_123
.LBB76_112:                             ; =>This Loop Header: Depth=1
                                        ;     Child Loop BB76_115 Depth 2
                                        ;     Child Loop BB76_118 Depth 2
	;; [unrolled: 1-line block ×3, first 2 shown]
	v_lshl_add_u32 v1, v0, 2, 0
	ds_read_b32 v1, v1
	s_and_b64 vcc, exec, s[0:1]
	v_mov_b32_e32 v2, s8
	s_mov_b32 s18, 0
	s_mov_b64 s[6:7], -1
	s_cbranch_vccnz .LBB76_120
; %bb.113:                              ;   in Loop: Header=BB76_112 Depth=1
	s_and_b64 vcc, exec, s[2:3]
	v_mov_b64_e32 v[2:3], s[8:9]
	s_cbranch_vccnz .LBB76_116
; %bb.114:                              ;   in Loop: Header=BB76_112 Depth=1
	s_mov_b32 s19, 0
	v_mov_b32_e32 v2, s8
	v_mov_b32_e32 v3, 0
	s_mov_b32 s20, s16
.LBB76_115:                             ;   Parent Loop BB76_112 Depth=1
                                        ; =>  This Inner Loop Header: Depth=2
	v_mov_b32_e32 v18, s19
	ds_read2_b32 v[4:5], v18 offset1:1
	ds_read2_b32 v[6:7], v18 offset0:2 offset1:3
	ds_read2_b32 v[8:9], v18 offset0:4 offset1:5
	ds_read2_b32 v[10:11], v18 offset0:6 offset1:7
	ds_read2_b32 v[12:13], v18 offset0:8 offset1:9
	ds_read2_b32 v[14:15], v18 offset0:10 offset1:11
	ds_read2_b32 v[16:17], v18 offset0:12 offset1:13
	ds_read2_b32 v[18:19], v18 offset0:14 offset1:15
	s_waitcnt lgkmcnt(7)
	v_cmp_gt_i32_e32 vcc, v1, v5
	s_waitcnt lgkmcnt(5)
	v_cmp_gt_i32_e64 s[6:7], v1, v8
	s_add_i32 s18, s18, 16
	v_cndmask_b32_e64 v5, 0, 1, vcc
	v_cmp_gt_i32_e32 vcc, v1, v4
	s_add_i32 s19, s19, 64
	s_add_i32 s20, s20, -8
	v_cndmask_b32_e64 v4, 0, 1, vcc
	v_cmp_gt_i32_e32 vcc, v1, v7
	v_cndmask_b32_e64 v7, 0, 1, s[6:7]
	v_cmp_gt_i32_e64 s[6:7], v1, v9
	v_addc_co_u32_e32 v3, vcc, v3, v5, vcc
	s_nop 0
	v_cndmask_b32_e64 v8, 0, 1, s[6:7]
	s_waitcnt lgkmcnt(3)
	v_cmp_gt_i32_e64 s[6:7], v1, v13
	v_cmp_gt_i32_e32 vcc, v1, v10
	s_cmp_lg_u32 s20, 0
	v_cndmask_b32_e64 v9, 0, 1, s[6:7]
	v_cmp_gt_i32_e64 s[6:7], v1, v12
	s_nop 1
	v_cndmask_b32_e64 v12, 0, 1, s[6:7]
	s_waitcnt lgkmcnt(1)
	v_cmp_gt_i32_e64 s[6:7], v1, v16
	s_nop 1
	v_cndmask_b32_e64 v13, 0, 1, s[6:7]
	v_cmp_gt_i32_e64 s[6:7], v1, v17
	s_nop 1
	v_cndmask_b32_e64 v16, 0, 1, s[6:7]
	v_cmp_gt_i32_e64 s[6:7], v1, v6
	s_nop 1
	v_addc_co_u32_e64 v2, s[6:7], v2, v4, s[6:7]
	v_cmp_gt_i32_e64 s[6:7], v1, v11
	v_addc_co_u32_e32 v2, vcc, v2, v7, vcc
	s_nop 0
	v_addc_co_u32_e64 v3, s[6:7], v3, v8, s[6:7]
	v_cmp_gt_i32_e32 vcc, v1, v15
	v_cmp_gt_i32_e64 s[6:7], v1, v14
	s_nop 0
	v_addc_co_u32_e32 v3, vcc, v3, v9, vcc
	v_addc_co_u32_e64 v2, s[6:7], v2, v12, s[6:7]
	s_waitcnt lgkmcnt(0)
	v_cmp_gt_i32_e32 vcc, v1, v18
	v_cmp_gt_i32_e64 s[6:7], v1, v19
	s_nop 0
	v_addc_co_u32_e32 v2, vcc, v2, v13, vcc
	v_addc_co_u32_e64 v3, s[6:7], v3, v16, s[6:7]
	s_cbranch_scc1 .LBB76_115
.LBB76_116:                             ;   in Loop: Header=BB76_112 Depth=1
	s_and_b64 vcc, exec, s[4:5]
	s_cbranch_vccnz .LBB76_119
; %bb.117:                              ;   in Loop: Header=BB76_112 Depth=1
	s_lshl_b32 s6, s18, 2
	s_add_i32 s6, s6, 0
	s_mov_b32 s7, s17
.LBB76_118:                             ;   Parent Loop BB76_112 Depth=1
                                        ; =>  This Inner Loop Header: Depth=2
	v_mov_b32_e32 v4, s6
	ds_read2_b32 v[4:5], v4 offset1:1
	s_add_i32 s6, s6, 8
	s_add_i32 s7, s7, -8
	s_cmp_lg_u32 s7, 0
	s_waitcnt lgkmcnt(0)
	v_cmp_gt_i32_e32 vcc, v1, v5
	s_nop 1
	v_addc_co_u32_e32 v3, vcc, 0, v3, vcc
	v_cmp_gt_i32_e32 vcc, v1, v4
	s_nop 1
	v_addc_co_u32_e32 v2, vcc, 0, v2, vcc
	s_cbranch_scc1 .LBB76_118
.LBB76_119:                             ;   in Loop: Header=BB76_112 Depth=1
	v_add_u32_e32 v2, v2, v3
	s_mov_b32 s18, s15
	s_mov_b64 s[6:7], s[10:11]
.LBB76_120:                             ;   in Loop: Header=BB76_112 Depth=1
	s_and_b64 vcc, exec, s[6:7]
	s_cbranch_vccz .LBB76_111
; %bb.121:                              ;   in Loop: Header=BB76_112 Depth=1
	s_lshl_b32 s6, s18, 2
	s_add_i32 s6, s6, 0
.LBB76_122:                             ;   Parent Loop BB76_112 Depth=1
                                        ; =>  This Inner Loop Header: Depth=2
	v_mov_b32_e32 v3, s6
	ds_read_b32 v3, v3
	s_add_i32 s18, s18, 1
	s_add_i32 s6, s6, 4
	s_cmp_ge_i32 s18, s14
	s_waitcnt lgkmcnt(0)
	v_cmp_gt_i32_e32 vcc, v1, v3
	s_nop 1
	v_addc_co_u32_e32 v2, vcc, 0, v2, vcc
	s_cbranch_scc0 .LBB76_122
	s_branch .LBB76_111
.LBB76_123:
	s_endpgm
	.section	.rodata,"a",@progbits
	.p2align	6, 0x0
	.amdhsa_kernel _ZN9rocsparseL41csrgemm_numeric_fill_block_per_row_kernelILj1024ELj64ELj32768ELj137ELj32Eii21rocsparse_complex_numIdEEEvT5_PKS3_S5_NS_24const_host_device_scalarIT6_EEPKT4_S5_PKS7_SB_S5_SD_S8_SB_S5_SD_SB_S5_PS7_21rocsparse_index_base_SF_SF_SF_bbb
		.amdhsa_group_segment_fixed_size 0
		.amdhsa_private_segment_fixed_size 40
		.amdhsa_kernarg_size 172
		.amdhsa_user_sgpr_count 2
		.amdhsa_user_sgpr_dispatch_ptr 0
		.amdhsa_user_sgpr_queue_ptr 0
		.amdhsa_user_sgpr_kernarg_segment_ptr 1
		.amdhsa_user_sgpr_dispatch_id 0
		.amdhsa_user_sgpr_kernarg_preload_length 0
		.amdhsa_user_sgpr_kernarg_preload_offset 0
		.amdhsa_user_sgpr_private_segment_size 0
		.amdhsa_uses_dynamic_stack 0
		.amdhsa_enable_private_segment 1
		.amdhsa_system_sgpr_workgroup_id_x 1
		.amdhsa_system_sgpr_workgroup_id_y 0
		.amdhsa_system_sgpr_workgroup_id_z 0
		.amdhsa_system_sgpr_workgroup_info 0
		.amdhsa_system_vgpr_workitem_id 0
		.amdhsa_next_free_vgpr 29
		.amdhsa_next_free_sgpr 100
		.amdhsa_accum_offset 32
		.amdhsa_reserve_vcc 1
		.amdhsa_float_round_mode_32 0
		.amdhsa_float_round_mode_16_64 0
		.amdhsa_float_denorm_mode_32 3
		.amdhsa_float_denorm_mode_16_64 3
		.amdhsa_dx10_clamp 1
		.amdhsa_ieee_mode 1
		.amdhsa_fp16_overflow 0
		.amdhsa_tg_split 0
		.amdhsa_exception_fp_ieee_invalid_op 0
		.amdhsa_exception_fp_denorm_src 0
		.amdhsa_exception_fp_ieee_div_zero 0
		.amdhsa_exception_fp_ieee_overflow 0
		.amdhsa_exception_fp_ieee_underflow 0
		.amdhsa_exception_fp_ieee_inexact 0
		.amdhsa_exception_int_div_zero 0
	.end_amdhsa_kernel
	.section	.text._ZN9rocsparseL41csrgemm_numeric_fill_block_per_row_kernelILj1024ELj64ELj32768ELj137ELj32Eii21rocsparse_complex_numIdEEEvT5_PKS3_S5_NS_24const_host_device_scalarIT6_EEPKT4_S5_PKS7_SB_S5_SD_S8_SB_S5_SD_SB_S5_PS7_21rocsparse_index_base_SF_SF_SF_bbb,"axG",@progbits,_ZN9rocsparseL41csrgemm_numeric_fill_block_per_row_kernelILj1024ELj64ELj32768ELj137ELj32Eii21rocsparse_complex_numIdEEEvT5_PKS3_S5_NS_24const_host_device_scalarIT6_EEPKT4_S5_PKS7_SB_S5_SD_S8_SB_S5_SD_SB_S5_PS7_21rocsparse_index_base_SF_SF_SF_bbb,comdat
.Lfunc_end76:
	.size	_ZN9rocsparseL41csrgemm_numeric_fill_block_per_row_kernelILj1024ELj64ELj32768ELj137ELj32Eii21rocsparse_complex_numIdEEEvT5_PKS3_S5_NS_24const_host_device_scalarIT6_EEPKT4_S5_PKS7_SB_S5_SD_S8_SB_S5_SD_SB_S5_PS7_21rocsparse_index_base_SF_SF_SF_bbb, .Lfunc_end76-_ZN9rocsparseL41csrgemm_numeric_fill_block_per_row_kernelILj1024ELj64ELj32768ELj137ELj32Eii21rocsparse_complex_numIdEEEvT5_PKS3_S5_NS_24const_host_device_scalarIT6_EEPKT4_S5_PKS7_SB_S5_SD_S8_SB_S5_SD_SB_S5_PS7_21rocsparse_index_base_SF_SF_SF_bbb
                                        ; -- End function
	.set _ZN9rocsparseL41csrgemm_numeric_fill_block_per_row_kernelILj1024ELj64ELj32768ELj137ELj32Eii21rocsparse_complex_numIdEEEvT5_PKS3_S5_NS_24const_host_device_scalarIT6_EEPKT4_S5_PKS7_SB_S5_SD_S8_SB_S5_SD_SB_S5_PS7_21rocsparse_index_base_SF_SF_SF_bbb.num_vgpr, 29
	.set _ZN9rocsparseL41csrgemm_numeric_fill_block_per_row_kernelILj1024ELj64ELj32768ELj137ELj32Eii21rocsparse_complex_numIdEEEvT5_PKS3_S5_NS_24const_host_device_scalarIT6_EEPKT4_S5_PKS7_SB_S5_SD_S8_SB_S5_SD_SB_S5_PS7_21rocsparse_index_base_SF_SF_SF_bbb.num_agpr, 0
	.set _ZN9rocsparseL41csrgemm_numeric_fill_block_per_row_kernelILj1024ELj64ELj32768ELj137ELj32Eii21rocsparse_complex_numIdEEEvT5_PKS3_S5_NS_24const_host_device_scalarIT6_EEPKT4_S5_PKS7_SB_S5_SD_S8_SB_S5_SD_SB_S5_PS7_21rocsparse_index_base_SF_SF_SF_bbb.numbered_sgpr, 100
	.set _ZN9rocsparseL41csrgemm_numeric_fill_block_per_row_kernelILj1024ELj64ELj32768ELj137ELj32Eii21rocsparse_complex_numIdEEEvT5_PKS3_S5_NS_24const_host_device_scalarIT6_EEPKT4_S5_PKS7_SB_S5_SD_S8_SB_S5_SD_SB_S5_PS7_21rocsparse_index_base_SF_SF_SF_bbb.num_named_barrier, 0
	.set _ZN9rocsparseL41csrgemm_numeric_fill_block_per_row_kernelILj1024ELj64ELj32768ELj137ELj32Eii21rocsparse_complex_numIdEEEvT5_PKS3_S5_NS_24const_host_device_scalarIT6_EEPKT4_S5_PKS7_SB_S5_SD_S8_SB_S5_SD_SB_S5_PS7_21rocsparse_index_base_SF_SF_SF_bbb.private_seg_size, 40
	.set _ZN9rocsparseL41csrgemm_numeric_fill_block_per_row_kernelILj1024ELj64ELj32768ELj137ELj32Eii21rocsparse_complex_numIdEEEvT5_PKS3_S5_NS_24const_host_device_scalarIT6_EEPKT4_S5_PKS7_SB_S5_SD_S8_SB_S5_SD_SB_S5_PS7_21rocsparse_index_base_SF_SF_SF_bbb.uses_vcc, 1
	.set _ZN9rocsparseL41csrgemm_numeric_fill_block_per_row_kernelILj1024ELj64ELj32768ELj137ELj32Eii21rocsparse_complex_numIdEEEvT5_PKS3_S5_NS_24const_host_device_scalarIT6_EEPKT4_S5_PKS7_SB_S5_SD_S8_SB_S5_SD_SB_S5_PS7_21rocsparse_index_base_SF_SF_SF_bbb.uses_flat_scratch, 0
	.set _ZN9rocsparseL41csrgemm_numeric_fill_block_per_row_kernelILj1024ELj64ELj32768ELj137ELj32Eii21rocsparse_complex_numIdEEEvT5_PKS3_S5_NS_24const_host_device_scalarIT6_EEPKT4_S5_PKS7_SB_S5_SD_S8_SB_S5_SD_SB_S5_PS7_21rocsparse_index_base_SF_SF_SF_bbb.has_dyn_sized_stack, 0
	.set _ZN9rocsparseL41csrgemm_numeric_fill_block_per_row_kernelILj1024ELj64ELj32768ELj137ELj32Eii21rocsparse_complex_numIdEEEvT5_PKS3_S5_NS_24const_host_device_scalarIT6_EEPKT4_S5_PKS7_SB_S5_SD_S8_SB_S5_SD_SB_S5_PS7_21rocsparse_index_base_SF_SF_SF_bbb.has_recursion, 0
	.set _ZN9rocsparseL41csrgemm_numeric_fill_block_per_row_kernelILj1024ELj64ELj32768ELj137ELj32Eii21rocsparse_complex_numIdEEEvT5_PKS3_S5_NS_24const_host_device_scalarIT6_EEPKT4_S5_PKS7_SB_S5_SD_S8_SB_S5_SD_SB_S5_PS7_21rocsparse_index_base_SF_SF_SF_bbb.has_indirect_call, 0
	.section	.AMDGPU.csdata,"",@progbits
; Kernel info:
; codeLenInByte = 5204
; TotalNumSgprs: 106
; NumVgprs: 29
; NumAgprs: 0
; TotalNumVgprs: 29
; ScratchSize: 40
; MemoryBound: 0
; FloatMode: 240
; IeeeMode: 1
; LDSByteSize: 0 bytes/workgroup (compile time only)
; SGPRBlocks: 13
; VGPRBlocks: 3
; NumSGPRsForWavesPerEU: 106
; NumVGPRsForWavesPerEU: 29
; AccumOffset: 32
; Occupancy: 7
; WaveLimiterHint : 1
; COMPUTE_PGM_RSRC2:SCRATCH_EN: 1
; COMPUTE_PGM_RSRC2:USER_SGPR: 2
; COMPUTE_PGM_RSRC2:TRAP_HANDLER: 0
; COMPUTE_PGM_RSRC2:TGID_X_EN: 1
; COMPUTE_PGM_RSRC2:TGID_Y_EN: 0
; COMPUTE_PGM_RSRC2:TGID_Z_EN: 0
; COMPUTE_PGM_RSRC2:TIDIG_COMP_CNT: 0
; COMPUTE_PGM_RSRC3_GFX90A:ACCUM_OFFSET: 7
; COMPUTE_PGM_RSRC3_GFX90A:TG_SPLIT: 0
	.section	.text._ZN9rocsparseL41csrgemm_numeric_fill_block_per_row_kernelILj1024ELj64ELj32768ELj137ELj64Eii21rocsparse_complex_numIdEEEvT5_PKS3_S5_NS_24const_host_device_scalarIT6_EEPKT4_S5_PKS7_SB_S5_SD_S8_SB_S5_SD_SB_S5_PS7_21rocsparse_index_base_SF_SF_SF_bbb,"axG",@progbits,_ZN9rocsparseL41csrgemm_numeric_fill_block_per_row_kernelILj1024ELj64ELj32768ELj137ELj64Eii21rocsparse_complex_numIdEEEvT5_PKS3_S5_NS_24const_host_device_scalarIT6_EEPKT4_S5_PKS7_SB_S5_SD_S8_SB_S5_SD_SB_S5_PS7_21rocsparse_index_base_SF_SF_SF_bbb,comdat
	.globl	_ZN9rocsparseL41csrgemm_numeric_fill_block_per_row_kernelILj1024ELj64ELj32768ELj137ELj64Eii21rocsparse_complex_numIdEEEvT5_PKS3_S5_NS_24const_host_device_scalarIT6_EEPKT4_S5_PKS7_SB_S5_SD_S8_SB_S5_SD_SB_S5_PS7_21rocsparse_index_base_SF_SF_SF_bbb ; -- Begin function _ZN9rocsparseL41csrgemm_numeric_fill_block_per_row_kernelILj1024ELj64ELj32768ELj137ELj64Eii21rocsparse_complex_numIdEEEvT5_PKS3_S5_NS_24const_host_device_scalarIT6_EEPKT4_S5_PKS7_SB_S5_SD_S8_SB_S5_SD_SB_S5_PS7_21rocsparse_index_base_SF_SF_SF_bbb
	.p2align	8
	.type	_ZN9rocsparseL41csrgemm_numeric_fill_block_per_row_kernelILj1024ELj64ELj32768ELj137ELj64Eii21rocsparse_complex_numIdEEEvT5_PKS3_S5_NS_24const_host_device_scalarIT6_EEPKT4_S5_PKS7_SB_S5_SD_S8_SB_S5_SD_SB_S5_PS7_21rocsparse_index_base_SF_SF_SF_bbb,@function
_ZN9rocsparseL41csrgemm_numeric_fill_block_per_row_kernelILj1024ELj64ELj32768ELj137ELj64Eii21rocsparse_complex_numIdEEEvT5_PKS3_S5_NS_24const_host_device_scalarIT6_EEPKT4_S5_PKS7_SB_S5_SD_S8_SB_S5_SD_SB_S5_PS7_21rocsparse_index_base_SF_SF_SF_bbb: ; @_ZN9rocsparseL41csrgemm_numeric_fill_block_per_row_kernelILj1024ELj64ELj32768ELj137ELj64Eii21rocsparse_complex_numIdEEEvT5_PKS3_S5_NS_24const_host_device_scalarIT6_EEPKT4_S5_PKS7_SB_S5_SD_S8_SB_S5_SD_SB_S5_PS7_21rocsparse_index_base_SF_SF_SF_bbb
; %bb.0:
	s_load_dword s3, s[0:1], 0xa8
	s_load_dwordx4 s[44:47], s[0:1], 0x98
	s_load_dwordx4 s[8:11], s[0:1], 0x18
	;; [unrolled: 1-line block ×3, first 2 shown]
	v_mov_b64_e32 v[6:7], 0
	s_waitcnt lgkmcnt(0)
	s_bitcmp1_b32 s3, 0
	s_cselect_b64 s[28:29], -1, 0
	s_bitcmp1_b32 s3, 16
	s_cselect_b64 s[30:31], -1, 0
	s_xor_b64 s[4:5], s[30:31], -1
	v_mov_b64_e32 v[2:3], s[8:9]
	v_cndmask_b32_e64 v1, 0, 1, s[4:5]
	scratch_store_dwordx2 off, v[2:3], off offset:16
	v_mov_b64_e32 v[2:3], s[24:25]
	s_bitcmp0_b32 s3, 0
	v_cmp_ne_u32_e64 s[4:5], 1, v1
	v_mov_b64_e32 v[10:11], 0
	v_mov_b64_e32 v[12:13], 0
	scratch_store_dwordx2 off, v[2:3], off offset:24
	s_cbranch_scc1 .LBB77_3
; %bb.1:
	s_mov_b64 s[6:7], src_private_base
	s_and_b64 s[12:13], s[30:31], exec
	s_cselect_b32 s6, s7, s9
	s_cselect_b32 s7, 16, s8
	v_mov_b32_e32 v2, s7
	v_mov_b32_e32 v3, s6
	flat_load_dwordx2 v[10:11], v[2:3]
	s_and_b64 vcc, exec, s[4:5]
	v_mov_b64_e32 v[12:13], s[10:11]
	s_cbranch_vccnz .LBB77_3
; %bb.2:
	v_mov_b64_e32 v[2:3], s[8:9]
	flat_load_dwordx2 v[12:13], v[2:3] offset:8
.LBB77_3:
	s_load_dwordx2 s[34:35], s[0:1], 0x90
	s_load_dwordx8 s[36:43], s[0:1], 0x68
	s_load_dwordx4 s[16:19], s[0:1], 0x48
	s_load_dwordx4 s[20:23], s[0:1], 0x8
	s_load_dwordx8 s[8:15], s[0:1], 0x28
	s_bitcmp1_b32 s3, 8
	s_cselect_b64 s[6:7], -1, 0
	s_bfe_u32 s3, s3, 0x10008
	s_cmp_eq_u32 s3, 0
	v_mov_b64_e32 v[8:9], 0
	s_cbranch_scc1 .LBB77_6
; %bb.4:
	s_mov_b64 s[48:49], src_private_base
	s_and_b64 s[30:31], s[30:31], exec
	s_cselect_b32 s3, s49, s25
	s_cselect_b32 s30, 24, s24
	v_mov_b32_e32 v2, s30
	v_mov_b32_e32 v3, s3
	flat_load_dwordx2 v[8:9], v[2:3]
	s_and_b64 vcc, exec, s[4:5]
	v_mov_b64_e32 v[6:7], s[26:27]
	s_cbranch_vccnz .LBB77_6
; %bb.5:
	v_mov_b64_e32 v[2:3], s[24:25]
	flat_load_dwordx2 v[6:7], v[2:3] offset:8
.LBB77_6:
	s_load_dword s33, s[0:1], 0x0
	v_lshlrev_b32_e32 v2, 4, v0
	s_mov_b32 s4, 0
	v_or_b32_e32 v1, 0xfffffc00, v0
	v_add_u32_e32 v23, 0, v2
	v_lshl_add_u32 v22, v0, 2, 0
	s_mov_b32 s5, s4
	s_mov_b32 s24, s4
	;; [unrolled: 1-line block ×3, first 2 shown]
	v_add_u32_e32 v14, 0x20008, v23
	s_mov_b64 s[0:1], 0
	s_waitcnt lgkmcnt(0)
	v_mov_b32_e32 v17, s33
	v_mov_b64_e32 v[2:3], s[4:5]
	v_mov_b64_e32 v[4:5], s[24:25]
	s_movk_i32 s3, 0x7bff
	v_mov_b32_e32 v15, v22
	v_mov_b32_e32 v16, v1
.LBB77_7:                               ; =>This Inner Loop Header: Depth=1
	v_add_u32_e32 v16, 0x400, v16
	v_cmp_lt_u32_e32 vcc, s3, v16
	ds_write_b32 v15, v17
	v_add_u32_e32 v18, -8, v14
	v_add_u32_e32 v14, 0x4000, v14
	v_add_u32_e32 v15, 0x1000, v15
	s_or_b64 s[0:1], vcc, s[0:1]
	ds_write2_b64 v18, v[2:3], v[4:5] offset1:1
	s_andn2_b64 exec, exec, s[0:1]
	s_cbranch_execnz .LBB77_7
; %bb.8:
	s_or_b64 exec, exec, s[0:1]
	s_waitcnt lgkmcnt(0)
	s_barrier
	s_load_dword s0, s[20:21], 0x0
	s_mov_b32 s1, 0
	v_lshrrev_b32_e32 v24, 6, v0
	s_waitcnt lgkmcnt(0)
	s_add_i32 s0, s0, s2
	s_lshl_b64 s[0:1], s[0:1], 2
	s_add_u32 s0, s22, s0
	s_addc_u32 s1, s23, s1
	s_load_dword s48, s[0:1], 0x0
	s_and_b64 vcc, exec, s[28:29]
	s_cbranch_vccz .LBB77_26
; %bb.9:
	s_waitcnt lgkmcnt(0)
	s_ashr_i32 s49, s48, 31
	s_lshl_b64 s[0:1], s[48:49], 2
	s_add_u32 s0, s8, s0
	s_addc_u32 s1, s9, s1
	s_load_dwordx2 s[2:3], s[0:1], 0x0
	v_subrev_u32_e32 v2, s44, v24
	s_waitcnt lgkmcnt(0)
	s_sub_i32 s30, s3, s44
	v_add_u32_e32 v14, s2, v2
	v_cmp_gt_i32_e32 vcc, s30, v14
	s_and_saveexec_b64 s[0:1], vcc
	s_cbranch_execz .LBB77_25
; %bb.10:
	v_and_b32_e32 v2, 63, v0
	v_subrev_u32_e32 v25, s45, v2
	s_mov_b64 s[2:3], 0
	s_movk_i32 s31, 0x89
	s_branch .LBB77_12
.LBB77_11:                              ;   in Loop: Header=BB77_12 Depth=1
	s_or_b64 exec, exec, s[4:5]
	v_add_u32_e32 v14, 16, v14
	v_cmp_le_i32_e32 vcc, s30, v14
	s_or_b64 s[2:3], vcc, s[2:3]
	s_andn2_b64 exec, exec, s[2:3]
	s_cbranch_execz .LBB77_25
.LBB77_12:                              ; =>This Loop Header: Depth=1
                                        ;     Child Loop BB77_16 Depth 2
                                        ;       Child Loop BB77_19 Depth 3
	v_ashrrev_i32_e32 v15, 31, v14
	v_lshl_add_u64 v[2:3], v[14:15], 2, s[10:11]
	global_load_dword v2, v[2:3], off
	s_waitcnt vmcnt(0)
	v_subrev_u32_e32 v2, s44, v2
	v_ashrrev_i32_e32 v3, 31, v2
	v_lshl_add_u64 v[2:3], v[2:3], 2, s[14:15]
	global_load_dwordx2 v[2:3], v[2:3], off
	s_waitcnt vmcnt(0)
	v_subrev_u32_e32 v26, s45, v3
	v_add_u32_e32 v16, v2, v25
	v_cmp_lt_i32_e32 vcc, v16, v26
	s_and_saveexec_b64 s[4:5], vcc
	s_cbranch_execz .LBB77_11
; %bb.13:                               ;   in Loop: Header=BB77_12 Depth=1
	v_lshl_add_u64 v[2:3], v[14:15], 4, s[12:13]
	global_load_dwordx4 v[2:5], v[2:3], off
	s_mov_b64 s[8:9], 0
	s_waitcnt vmcnt(0)
	v_mul_f64 v[18:19], v[4:5], -v[12:13]
	v_mul_f64 v[20:21], v[10:11], v[4:5]
	v_fmac_f64_e32 v[18:19], v[10:11], v[2:3]
	v_fmac_f64_e32 v[20:21], v[12:13], v[2:3]
	s_branch .LBB77_16
.LBB77_14:                              ;   in Loop: Header=BB77_16 Depth=2
	s_or_b64 exec, exec, s[22:23]
.LBB77_15:                              ;   in Loop: Header=BB77_16 Depth=2
	s_or_b64 exec, exec, s[20:21]
	s_waitcnt vmcnt(0)
	v_mul_f64 v[28:29], v[4:5], -v[20:21]
	v_mul_f64 v[4:5], v[18:19], v[4:5]
	v_fmac_f64_e32 v[28:29], v[18:19], v[2:3]
	v_fmac_f64_e32 v[4:5], v[20:21], v[2:3]
	v_lshl_add_u32 v2, v15, 4, 0
	v_add_u32_e32 v2, 0x20000, v2
	ds_add_f64 v2, v[28:29]
	ds_add_f64 v2, v[4:5] offset:8
	v_add_u32_e32 v16, 64, v16
	v_cmp_ge_i32_e32 vcc, v16, v26
	s_or_b64 s[8:9], vcc, s[8:9]
	s_andn2_b64 exec, exec, s[8:9]
	s_cbranch_execz .LBB77_11
.LBB77_16:                              ;   Parent Loop BB77_12 Depth=1
                                        ; =>  This Loop Header: Depth=2
                                        ;       Child Loop BB77_19 Depth 3
	v_ashrrev_i32_e32 v17, 31, v16
	v_lshl_add_u64 v[2:3], v[16:17], 2, s[16:17]
	global_load_dword v15, v[2:3], off
	v_lshl_add_u64 v[2:3], v[16:17], 4, s[18:19]
	global_load_dwordx4 v[2:5], v[2:3], off
	s_waitcnt vmcnt(1)
	v_subrev_u32_e32 v17, s45, v15
	v_mul_lo_u32 v15, v17, s31
	v_and_b32_e32 v15, 0x7fff, v15
	v_lshl_add_u32 v27, v15, 2, 0
	ds_read_b32 v28, v27
	s_waitcnt lgkmcnt(0)
	v_cmp_ne_u32_e32 vcc, v28, v17
	s_and_saveexec_b64 s[20:21], vcc
	s_cbranch_execz .LBB77_15
; %bb.17:                               ;   in Loop: Header=BB77_16 Depth=2
	s_mov_b64 s[22:23], 0
	s_branch .LBB77_19
.LBB77_18:                              ;   in Loop: Header=BB77_19 Depth=3
	s_or_b64 exec, exec, s[28:29]
	s_and_b64 s[24:25], exec, s[26:27]
	s_or_b64 s[22:23], s[24:25], s[22:23]
	s_andn2_b64 exec, exec, s[22:23]
	s_cbranch_execz .LBB77_14
.LBB77_19:                              ;   Parent Loop BB77_12 Depth=1
                                        ;     Parent Loop BB77_16 Depth=2
                                        ; =>    This Inner Loop Header: Depth=3
	v_cmp_ne_u32_e32 vcc, s33, v28
	s_mov_b64 s[24:25], 0
	s_and_saveexec_b64 s[26:27], vcc
	s_xor_b64 s[26:27], exec, s[26:27]
	s_cbranch_execz .LBB77_21
; %bb.20:                               ;   in Loop: Header=BB77_19 Depth=3
	v_add_u32_e32 v15, 1, v15
	s_mov_b64 s[24:25], exec
	v_and_b32_e32 v15, 0x7fff, v15
                                        ; implicit-def: $vgpr27
	s_andn2_saveexec_b64 s[26:27], s[26:27]
	s_cbranch_execz .LBB77_23
	s_branch .LBB77_22
.LBB77_21:                              ;   in Loop: Header=BB77_19 Depth=3
	s_andn2_saveexec_b64 s[26:27], s[26:27]
	s_cbranch_execz .LBB77_23
.LBB77_22:                              ;   in Loop: Header=BB77_19 Depth=3
	v_mov_b32_e32 v28, s33
	ds_cmpst_rtn_b32 v27, v27, v28, v17
	s_andn2_b64 s[24:25], s[24:25], exec
	s_waitcnt lgkmcnt(0)
	v_cmp_ne_u32_e32 vcc, s33, v27
	s_and_b64 s[28:29], vcc, exec
	s_or_b64 s[24:25], s[24:25], s[28:29]
.LBB77_23:                              ;   in Loop: Header=BB77_19 Depth=3
	s_or_b64 exec, exec, s[26:27]
	s_mov_b64 s[26:27], -1
                                        ; implicit-def: $vgpr27
                                        ; implicit-def: $vgpr28
	s_and_saveexec_b64 s[28:29], s[24:25]
	s_cbranch_execz .LBB77_18
; %bb.24:                               ;   in Loop: Header=BB77_19 Depth=3
	v_lshl_add_u32 v27, v15, 2, 0
	ds_read_b32 v28, v27
	s_waitcnt lgkmcnt(0)
	v_cmp_eq_u32_e32 vcc, v28, v17
	s_orn2_b64 s[26:27], vcc, exec
	s_branch .LBB77_18
.LBB77_25:
	s_or_b64 exec, exec, s[0:1]
.LBB77_26:
	s_andn2_b64 vcc, exec, s[6:7]
	s_cbranch_vccnz .LBB77_41
; %bb.27:
	s_waitcnt lgkmcnt(0)
	s_ashr_i32 s49, s48, 31
	s_lshl_b64 s[0:1], s[48:49], 2
	s_add_u32 s0, s36, s0
	s_addc_u32 s1, s37, s1
	s_load_dwordx2 s[2:3], s[0:1], 0x0
	v_subrev_u32_e32 v2, s47, v0
	s_waitcnt lgkmcnt(0)
	s_sub_i32 s14, s3, s47
	s_waitcnt vmcnt(0)
	v_add_u32_e32 v10, s2, v2
	v_cmp_gt_i32_e32 vcc, s14, v10
	s_and_saveexec_b64 s[0:1], vcc
	s_cbranch_execz .LBB77_40
; %bb.28:
	s_mov_b64 s[2:3], 0
	s_movk_i32 s15, 0x89
	s_branch .LBB77_31
.LBB77_29:                              ;   in Loop: Header=BB77_31 Depth=1
	s_or_b64 exec, exec, s[6:7]
.LBB77_30:                              ;   in Loop: Header=BB77_31 Depth=1
	s_or_b64 exec, exec, s[4:5]
	s_waitcnt vmcnt(0)
	v_mul_f64 v[12:13], v[4:5], -v[6:7]
	v_mul_f64 v[4:5], v[8:9], v[4:5]
	v_fmac_f64_e32 v[12:13], v[8:9], v[2:3]
	v_fmac_f64_e32 v[4:5], v[6:7], v[2:3]
	v_lshl_add_u32 v2, v11, 4, 0
	v_add_u32_e32 v2, 0x20000, v2
	ds_add_f64 v2, v[12:13]
	ds_add_f64 v2, v[4:5] offset:8
	v_add_u32_e32 v10, 0x400, v10
	v_cmp_le_i32_e32 vcc, s14, v10
	s_or_b64 s[2:3], vcc, s[2:3]
	s_andn2_b64 exec, exec, s[2:3]
	s_cbranch_execz .LBB77_40
.LBB77_31:                              ; =>This Loop Header: Depth=1
                                        ;     Child Loop BB77_34 Depth 2
	v_ashrrev_i32_e32 v11, 31, v10
	v_lshl_add_u64 v[2:3], v[10:11], 2, s[38:39]
	global_load_dword v12, v[2:3], off
	v_lshl_add_u64 v[2:3], v[10:11], 4, s[40:41]
	global_load_dwordx4 v[2:5], v[2:3], off
	s_waitcnt vmcnt(1)
	v_subrev_u32_e32 v12, s47, v12
	v_mul_lo_u32 v11, v12, s15
	v_and_b32_e32 v11, 0x7fff, v11
	v_lshl_add_u32 v13, v11, 2, 0
	ds_read_b32 v14, v13
	s_waitcnt lgkmcnt(0)
	v_cmp_ne_u32_e32 vcc, v14, v12
	s_and_saveexec_b64 s[4:5], vcc
	s_cbranch_execz .LBB77_30
; %bb.32:                               ;   in Loop: Header=BB77_31 Depth=1
	s_mov_b64 s[6:7], 0
	s_branch .LBB77_34
.LBB77_33:                              ;   in Loop: Header=BB77_34 Depth=2
	s_or_b64 exec, exec, s[12:13]
	s_and_b64 s[8:9], exec, s[10:11]
	s_or_b64 s[6:7], s[8:9], s[6:7]
	s_andn2_b64 exec, exec, s[6:7]
	s_cbranch_execz .LBB77_29
.LBB77_34:                              ;   Parent Loop BB77_31 Depth=1
                                        ; =>  This Inner Loop Header: Depth=2
	v_cmp_ne_u32_e32 vcc, s33, v14
	s_mov_b64 s[8:9], 0
	s_and_saveexec_b64 s[10:11], vcc
	s_xor_b64 s[10:11], exec, s[10:11]
	s_cbranch_execz .LBB77_36
; %bb.35:                               ;   in Loop: Header=BB77_34 Depth=2
	v_add_u32_e32 v11, 1, v11
	s_mov_b64 s[8:9], exec
	v_and_b32_e32 v11, 0x7fff, v11
                                        ; implicit-def: $vgpr13
	s_andn2_saveexec_b64 s[10:11], s[10:11]
	s_cbranch_execz .LBB77_38
	s_branch .LBB77_37
.LBB77_36:                              ;   in Loop: Header=BB77_34 Depth=2
	s_andn2_saveexec_b64 s[10:11], s[10:11]
	s_cbranch_execz .LBB77_38
.LBB77_37:                              ;   in Loop: Header=BB77_34 Depth=2
	v_mov_b32_e32 v14, s33
	ds_cmpst_rtn_b32 v13, v13, v14, v12
	s_andn2_b64 s[8:9], s[8:9], exec
	s_waitcnt lgkmcnt(0)
	v_cmp_ne_u32_e32 vcc, s33, v13
	s_and_b64 s[12:13], vcc, exec
	s_or_b64 s[8:9], s[8:9], s[12:13]
.LBB77_38:                              ;   in Loop: Header=BB77_34 Depth=2
	s_or_b64 exec, exec, s[10:11]
	s_mov_b64 s[10:11], -1
                                        ; implicit-def: $vgpr13
                                        ; implicit-def: $vgpr14
	s_and_saveexec_b64 s[12:13], s[8:9]
	s_cbranch_execz .LBB77_33
; %bb.39:                               ;   in Loop: Header=BB77_34 Depth=2
	v_lshl_add_u32 v13, v11, 2, 0
	ds_read_b32 v14, v13
	s_waitcnt lgkmcnt(0)
	v_cmp_eq_u32_e32 vcc, v14, v12
	s_orn2_b64 s[10:11], vcc, exec
	s_branch .LBB77_33
.LBB77_40:
	s_or_b64 exec, exec, s[0:1]
.LBB77_41:
	v_mbcnt_lo_u32_b32 v2, -1, 0
	v_mbcnt_hi_u32_b32 v2, -1, v2
	v_sub_u32_e32 v2, 63, v2
	s_add_i32 s40, 0, 0xa0000
	s_movk_i32 s0, 0x3ff
	s_movk_i32 s2, 0x7f
	;; [unrolled: 1-line block ×15, first 2 shown]
	s_add_i32 s59, 0, 0xa003c
	v_lshrrev_b64 v[2:3], v2, -1
	v_lshl_add_u32 v4, v24, 2, s40
	v_cmp_eq_u32_e32 vcc, s0, v0
	v_cmp_lt_u32_e64 s[0:1], 63, v0
	v_cmp_lt_u32_e64 s[2:3], s2, v0
	;; [unrolled: 1-line block ×15, first 2 shown]
	v_add_u32_e32 v5, 0x20000, v23
	s_mov_b64 s[36:37], 0
	s_waitcnt vmcnt(0)
	v_mov_b32_e32 v6, 0
	s_add_i32 s41, 0, 0xa0004
	s_add_i32 s44, 0, 0xa0008
	;; [unrolled: 1-line block ×14, first 2 shown]
	v_mov_b32_e32 v7, s59
	s_movk_i32 s60, 0x7bff
	s_waitcnt lgkmcnt(0)
	s_barrier
	s_branch .LBB77_43
.LBB77_42:                              ;   in Loop: Header=BB77_43 Depth=1
	s_or_b64 exec, exec, s[30:31]
	s_waitcnt lgkmcnt(0)
	s_barrier
	ds_read_b32 v8, v7
	v_add_u32_e32 v1, 0x400, v1
	v_cmp_lt_u32_e64 s[30:31], s60, v1
	v_add_u32_e32 v5, 0x4000, v5
	s_or_b64 s[36:37], s[30:31], s[36:37]
	s_waitcnt lgkmcnt(0)
	v_add_u32_e32 v6, v8, v6
	v_add_u32_e32 v22, 0x1000, v22
	s_andn2_b64 exec, exec, s[36:37]
	s_cbranch_execz .LBB77_77
.LBB77_43:                              ; =>This Inner Loop Header: Depth=1
	ds_read2_b64 v[10:13], v5 offset1:1
	ds_read_b32 v9, v22
	s_waitcnt lgkmcnt(1)
	scratch_store_dwordx4 off, v[10:13], off
	s_waitcnt lgkmcnt(0)
	v_cmp_gt_i32_e64 s[30:31], s33, v9
	s_bcnt1_i32_b64 s38, s[30:31]
	s_nop 0
	v_and_b32_e32 v10, s30, v2
	v_and_b32_e32 v8, s31, v3
	v_bcnt_u32_b32 v10, v10, 0
	v_bcnt_u32_b32 v8, v8, v10
	v_mov_b32_e32 v10, s38
	s_barrier
	ds_write_b32 v4, v10
	s_waitcnt lgkmcnt(0)
	s_barrier
	s_and_saveexec_b64 s[38:39], s[0:1]
	s_cbranch_execz .LBB77_60
; %bb.44:                               ;   in Loop: Header=BB77_43 Depth=1
	v_mov_b32_e32 v10, s40
	ds_read_b32 v10, v10
	s_waitcnt lgkmcnt(0)
	v_add_u32_e32 v8, v10, v8
	s_or_b64 exec, exec, s[38:39]
	s_and_saveexec_b64 s[38:39], s[2:3]
	s_cbranch_execnz .LBB77_61
.LBB77_45:                              ;   in Loop: Header=BB77_43 Depth=1
	s_or_b64 exec, exec, s[38:39]
	s_and_saveexec_b64 s[38:39], s[4:5]
	s_cbranch_execz .LBB77_62
.LBB77_46:                              ;   in Loop: Header=BB77_43 Depth=1
	v_mov_b32_e32 v10, s44
	ds_read_b32 v10, v10
	s_waitcnt lgkmcnt(0)
	v_add_u32_e32 v8, v10, v8
	s_or_b64 exec, exec, s[38:39]
	s_and_saveexec_b64 s[38:39], s[6:7]
	s_cbranch_execnz .LBB77_63
.LBB77_47:                              ;   in Loop: Header=BB77_43 Depth=1
	s_or_b64 exec, exec, s[38:39]
	s_and_saveexec_b64 s[38:39], s[8:9]
	s_cbranch_execz .LBB77_64
.LBB77_48:                              ;   in Loop: Header=BB77_43 Depth=1
	v_mov_b32_e32 v10, s47
	ds_read_b32 v10, v10
	s_waitcnt lgkmcnt(0)
	v_add_u32_e32 v8, v10, v8
	s_or_b64 exec, exec, s[38:39]
	s_and_saveexec_b64 s[38:39], s[10:11]
	s_cbranch_execnz .LBB77_65
.LBB77_49:                              ;   in Loop: Header=BB77_43 Depth=1
	s_or_b64 exec, exec, s[38:39]
	s_and_saveexec_b64 s[38:39], s[12:13]
	s_cbranch_execz .LBB77_66
.LBB77_50:                              ;   in Loop: Header=BB77_43 Depth=1
	v_mov_b32_e32 v10, s50
	ds_read_b32 v10, v10
	s_waitcnt lgkmcnt(0)
	v_add_u32_e32 v8, v10, v8
	s_or_b64 exec, exec, s[38:39]
	s_and_saveexec_b64 s[38:39], s[14:15]
	s_cbranch_execnz .LBB77_67
.LBB77_51:                              ;   in Loop: Header=BB77_43 Depth=1
	s_or_b64 exec, exec, s[38:39]
	s_and_saveexec_b64 s[38:39], s[16:17]
	s_cbranch_execz .LBB77_68
.LBB77_52:                              ;   in Loop: Header=BB77_43 Depth=1
	v_mov_b32_e32 v10, s52
	ds_read_b32 v10, v10
	s_waitcnt lgkmcnt(0)
	v_add_u32_e32 v8, v10, v8
	s_or_b64 exec, exec, s[38:39]
	s_and_saveexec_b64 s[38:39], s[18:19]
	s_cbranch_execnz .LBB77_69
.LBB77_53:                              ;   in Loop: Header=BB77_43 Depth=1
	s_or_b64 exec, exec, s[38:39]
	s_and_saveexec_b64 s[38:39], s[20:21]
	s_cbranch_execz .LBB77_70
.LBB77_54:                              ;   in Loop: Header=BB77_43 Depth=1
	v_mov_b32_e32 v10, s54
	ds_read_b32 v10, v10
	s_waitcnt lgkmcnt(0)
	v_add_u32_e32 v8, v10, v8
	s_or_b64 exec, exec, s[38:39]
	s_and_saveexec_b64 s[38:39], s[22:23]
	s_cbranch_execnz .LBB77_71
.LBB77_55:                              ;   in Loop: Header=BB77_43 Depth=1
	s_or_b64 exec, exec, s[38:39]
	s_and_saveexec_b64 s[38:39], s[24:25]
	s_cbranch_execz .LBB77_72
.LBB77_56:                              ;   in Loop: Header=BB77_43 Depth=1
	v_mov_b32_e32 v10, s56
	ds_read_b32 v10, v10
	s_waitcnt lgkmcnt(0)
	v_add_u32_e32 v8, v10, v8
	s_or_b64 exec, exec, s[38:39]
	s_and_saveexec_b64 s[38:39], s[26:27]
	s_cbranch_execnz .LBB77_73
.LBB77_57:                              ;   in Loop: Header=BB77_43 Depth=1
	s_or_b64 exec, exec, s[38:39]
	s_and_saveexec_b64 s[38:39], s[28:29]
	s_cbranch_execz .LBB77_74
.LBB77_58:                              ;   in Loop: Header=BB77_43 Depth=1
	v_mov_b32_e32 v10, s58
	ds_read_b32 v10, v10
	s_waitcnt lgkmcnt(0)
	v_add_u32_e32 v8, v10, v8
	s_or_b64 exec, exec, s[38:39]
	s_and_saveexec_b64 s[38:39], s[30:31]
	s_cbranch_execnz .LBB77_75
.LBB77_59:                              ;   in Loop: Header=BB77_43 Depth=1
	s_or_b64 exec, exec, s[38:39]
	s_and_saveexec_b64 s[30:31], vcc
	s_cbranch_execz .LBB77_42
	s_branch .LBB77_76
.LBB77_60:                              ;   in Loop: Header=BB77_43 Depth=1
	s_or_b64 exec, exec, s[38:39]
	s_and_saveexec_b64 s[38:39], s[2:3]
	s_cbranch_execz .LBB77_45
.LBB77_61:                              ;   in Loop: Header=BB77_43 Depth=1
	v_mov_b32_e32 v10, s41
	ds_read_b32 v10, v10
	s_waitcnt lgkmcnt(0)
	v_add_u32_e32 v8, v10, v8
	s_or_b64 exec, exec, s[38:39]
	s_and_saveexec_b64 s[38:39], s[4:5]
	s_cbranch_execnz .LBB77_46
.LBB77_62:                              ;   in Loop: Header=BB77_43 Depth=1
	s_or_b64 exec, exec, s[38:39]
	s_and_saveexec_b64 s[38:39], s[6:7]
	s_cbranch_execz .LBB77_47
.LBB77_63:                              ;   in Loop: Header=BB77_43 Depth=1
	v_mov_b32_e32 v10, s45
	ds_read_b32 v10, v10
	s_waitcnt lgkmcnt(0)
	v_add_u32_e32 v8, v10, v8
	s_or_b64 exec, exec, s[38:39]
	s_and_saveexec_b64 s[38:39], s[8:9]
	s_cbranch_execnz .LBB77_48
.LBB77_64:                              ;   in Loop: Header=BB77_43 Depth=1
	s_or_b64 exec, exec, s[38:39]
	s_and_saveexec_b64 s[38:39], s[10:11]
	s_cbranch_execz .LBB77_49
.LBB77_65:                              ;   in Loop: Header=BB77_43 Depth=1
	v_mov_b32_e32 v10, s49
	ds_read_b32 v10, v10
	s_waitcnt lgkmcnt(0)
	v_add_u32_e32 v8, v10, v8
	s_or_b64 exec, exec, s[38:39]
	s_and_saveexec_b64 s[38:39], s[12:13]
	s_cbranch_execnz .LBB77_50
.LBB77_66:                              ;   in Loop: Header=BB77_43 Depth=1
	s_or_b64 exec, exec, s[38:39]
	s_and_saveexec_b64 s[38:39], s[14:15]
	s_cbranch_execz .LBB77_51
.LBB77_67:                              ;   in Loop: Header=BB77_43 Depth=1
	v_mov_b32_e32 v10, s51
	ds_read_b32 v10, v10
	s_waitcnt lgkmcnt(0)
	v_add_u32_e32 v8, v10, v8
	s_or_b64 exec, exec, s[38:39]
	s_and_saveexec_b64 s[38:39], s[16:17]
	s_cbranch_execnz .LBB77_52
.LBB77_68:                              ;   in Loop: Header=BB77_43 Depth=1
	s_or_b64 exec, exec, s[38:39]
	s_and_saveexec_b64 s[38:39], s[18:19]
	s_cbranch_execz .LBB77_53
.LBB77_69:                              ;   in Loop: Header=BB77_43 Depth=1
	v_mov_b32_e32 v10, s53
	ds_read_b32 v10, v10
	s_waitcnt lgkmcnt(0)
	v_add_u32_e32 v8, v10, v8
	s_or_b64 exec, exec, s[38:39]
	s_and_saveexec_b64 s[38:39], s[20:21]
	s_cbranch_execnz .LBB77_54
.LBB77_70:                              ;   in Loop: Header=BB77_43 Depth=1
	s_or_b64 exec, exec, s[38:39]
	s_and_saveexec_b64 s[38:39], s[22:23]
	s_cbranch_execz .LBB77_55
.LBB77_71:                              ;   in Loop: Header=BB77_43 Depth=1
	v_mov_b32_e32 v10, s55
	ds_read_b32 v10, v10
	s_waitcnt lgkmcnt(0)
	v_add_u32_e32 v8, v10, v8
	s_or_b64 exec, exec, s[38:39]
	s_and_saveexec_b64 s[38:39], s[24:25]
	s_cbranch_execnz .LBB77_56
.LBB77_72:                              ;   in Loop: Header=BB77_43 Depth=1
	s_or_b64 exec, exec, s[38:39]
	s_and_saveexec_b64 s[38:39], s[26:27]
	s_cbranch_execz .LBB77_57
.LBB77_73:                              ;   in Loop: Header=BB77_43 Depth=1
	v_mov_b32_e32 v10, s57
	ds_read_b32 v10, v10
	s_waitcnt lgkmcnt(0)
	v_add_u32_e32 v8, v10, v8
	s_or_b64 exec, exec, s[38:39]
	s_and_saveexec_b64 s[38:39], s[28:29]
	s_cbranch_execnz .LBB77_58
.LBB77_74:                              ;   in Loop: Header=BB77_43 Depth=1
	s_or_b64 exec, exec, s[38:39]
	s_and_saveexec_b64 s[38:39], s[30:31]
	s_cbranch_execz .LBB77_59
.LBB77_75:                              ;   in Loop: Header=BB77_43 Depth=1
	scratch_load_dwordx4 v[10:13], off, off
	v_add3_u32 v14, v6, -1, v8
	v_lshl_add_u32 v15, v14, 2, 0
	v_lshl_add_u32 v14, v14, 4, 0
	v_add_u32_e32 v14, 0x20000, v14
	ds_write_b32 v15, v9
	s_waitcnt vmcnt(0)
	ds_write2_b64 v14, v[10:11], v[12:13] offset1:1
	s_or_b64 exec, exec, s[38:39]
	s_and_saveexec_b64 s[30:31], vcc
	s_cbranch_execz .LBB77_42
.LBB77_76:                              ;   in Loop: Header=BB77_43 Depth=1
	v_mov_b32_e32 v9, s59
	ds_write_b32 v9, v8
	s_branch .LBB77_42
.LBB77_77:
	s_or_b64 exec, exec, s[36:37]
	s_ashr_i32 s49, s48, 31
	s_lshl_b64 s[0:1], s[48:49], 2
	s_add_u32 s2, s42, s0
	s_addc_u32 s3, s43, s1
	s_load_dwordx2 s[0:1], s[2:3], 0x0
	s_waitcnt lgkmcnt(0)
	s_sub_i32 s14, s1, s0
	v_cmp_gt_i32_e32 vcc, s14, v0
	s_and_saveexec_b64 s[2:3], vcc
	s_cbranch_execz .LBB77_91
; %bb.78:
	s_sub_i32 s8, s0, s46
	v_sub_co_u32_e64 v1, s[0:1], s14, 2
	s_nop 0
	v_readfirstlane_b32 s2, v1
	s_lshr_b32 s2, s2, 1
	s_add_i32 s2, s2, 1
	s_xor_b64 s[0:1], s[0:1], -1
	s_and_b32 s15, s14, -2
	s_and_b32 s3, s2, 7
	s_and_b32 s16, s2, -8
	s_cmp_lg_u32 s3, 0
	v_cmp_lt_u32_e32 vcc, 13, v1
	s_cselect_b64 s[4:5], -1, 0
	s_cmp_lg_u32 s14, s15
	v_cndmask_b32_e64 v1, 0, 1, vcc
	s_cselect_b64 s[10:11], -1, 0
	s_lshl_b32 s17, s3, 3
	v_cndmask_b32_e64 v2, 0, 1, s[0:1]
	v_cmp_ne_u32_e64 s[2:3], 1, v1
	v_cndmask_b32_e64 v1, 0, 1, s[4:5]
	s_mov_b32 s9, 0
	s_mov_b64 s[12:13], 0
	v_cmp_ne_u32_e64 s[0:1], 1, v2
	v_cmp_ne_u32_e64 s[4:5], 1, v1
	s_branch .LBB77_80
.LBB77_79:                              ;   in Loop: Header=BB77_80 Depth=1
	s_waitcnt lgkmcnt(0)
	v_lshl_add_u32 v1, v0, 4, 0
	v_add_u32_e32 v1, 0x20000, v1
	ds_read2_b64 v[4:7], v1 offset1:1
	v_add_u32_e32 v0, 0x400, v0
	v_ashrrev_i32_e32 v3, 31, v2
	v_cmp_le_i32_e32 vcc, s14, v0
	v_lshl_add_u64 v[2:3], v[2:3], 4, s[34:35]
	s_or_b64 s[12:13], vcc, s[12:13]
	s_waitcnt lgkmcnt(0)
	global_store_dwordx4 v[2:3], v[4:7], off
	s_andn2_b64 exec, exec, s[12:13]
	s_cbranch_execz .LBB77_91
.LBB77_80:                              ; =>This Loop Header: Depth=1
                                        ;     Child Loop BB77_83 Depth 2
                                        ;     Child Loop BB77_86 Depth 2
	;; [unrolled: 1-line block ×3, first 2 shown]
	v_lshl_add_u32 v1, v0, 2, 0
	ds_read_b32 v1, v1
	s_and_b64 vcc, exec, s[0:1]
	v_mov_b32_e32 v2, s8
	s_mov_b32 s18, 0
	s_mov_b64 s[6:7], -1
	s_cbranch_vccnz .LBB77_88
; %bb.81:                               ;   in Loop: Header=BB77_80 Depth=1
	s_and_b64 vcc, exec, s[2:3]
	v_mov_b64_e32 v[2:3], s[8:9]
	s_cbranch_vccnz .LBB77_84
; %bb.82:                               ;   in Loop: Header=BB77_80 Depth=1
	s_mov_b32 s19, 0
	v_mov_b32_e32 v2, s8
	v_mov_b32_e32 v3, 0
	s_mov_b32 s20, s16
.LBB77_83:                              ;   Parent Loop BB77_80 Depth=1
                                        ; =>  This Inner Loop Header: Depth=2
	v_mov_b32_e32 v18, s19
	ds_read2_b32 v[4:5], v18 offset1:1
	ds_read2_b32 v[6:7], v18 offset0:2 offset1:3
	ds_read2_b32 v[8:9], v18 offset0:4 offset1:5
	;; [unrolled: 1-line block ×7, first 2 shown]
	s_waitcnt lgkmcnt(7)
	v_cmp_gt_i32_e32 vcc, v1, v5
	s_waitcnt lgkmcnt(5)
	v_cmp_gt_i32_e64 s[6:7], v1, v8
	s_add_i32 s18, s18, 16
	v_cndmask_b32_e64 v5, 0, 1, vcc
	v_cmp_gt_i32_e32 vcc, v1, v4
	s_add_i32 s19, s19, 64
	s_add_i32 s20, s20, -8
	v_cndmask_b32_e64 v4, 0, 1, vcc
	v_cmp_gt_i32_e32 vcc, v1, v7
	v_cndmask_b32_e64 v7, 0, 1, s[6:7]
	v_cmp_gt_i32_e64 s[6:7], v1, v9
	v_addc_co_u32_e32 v3, vcc, v3, v5, vcc
	s_nop 0
	v_cndmask_b32_e64 v8, 0, 1, s[6:7]
	s_waitcnt lgkmcnt(3)
	v_cmp_gt_i32_e64 s[6:7], v1, v13
	v_cmp_gt_i32_e32 vcc, v1, v10
	s_cmp_lg_u32 s20, 0
	v_cndmask_b32_e64 v9, 0, 1, s[6:7]
	v_cmp_gt_i32_e64 s[6:7], v1, v12
	s_nop 1
	v_cndmask_b32_e64 v12, 0, 1, s[6:7]
	s_waitcnt lgkmcnt(1)
	v_cmp_gt_i32_e64 s[6:7], v1, v16
	s_nop 1
	v_cndmask_b32_e64 v13, 0, 1, s[6:7]
	v_cmp_gt_i32_e64 s[6:7], v1, v17
	s_nop 1
	v_cndmask_b32_e64 v16, 0, 1, s[6:7]
	v_cmp_gt_i32_e64 s[6:7], v1, v6
	s_nop 1
	v_addc_co_u32_e64 v2, s[6:7], v2, v4, s[6:7]
	v_cmp_gt_i32_e64 s[6:7], v1, v11
	v_addc_co_u32_e32 v2, vcc, v2, v7, vcc
	s_nop 0
	v_addc_co_u32_e64 v3, s[6:7], v3, v8, s[6:7]
	v_cmp_gt_i32_e32 vcc, v1, v15
	v_cmp_gt_i32_e64 s[6:7], v1, v14
	s_nop 0
	v_addc_co_u32_e32 v3, vcc, v3, v9, vcc
	v_addc_co_u32_e64 v2, s[6:7], v2, v12, s[6:7]
	s_waitcnt lgkmcnt(0)
	v_cmp_gt_i32_e32 vcc, v1, v18
	v_cmp_gt_i32_e64 s[6:7], v1, v19
	s_nop 0
	v_addc_co_u32_e32 v2, vcc, v2, v13, vcc
	v_addc_co_u32_e64 v3, s[6:7], v3, v16, s[6:7]
	s_cbranch_scc1 .LBB77_83
.LBB77_84:                              ;   in Loop: Header=BB77_80 Depth=1
	s_and_b64 vcc, exec, s[4:5]
	s_cbranch_vccnz .LBB77_87
; %bb.85:                               ;   in Loop: Header=BB77_80 Depth=1
	s_lshl_b32 s6, s18, 2
	s_add_i32 s6, s6, 0
	s_mov_b32 s7, s17
.LBB77_86:                              ;   Parent Loop BB77_80 Depth=1
                                        ; =>  This Inner Loop Header: Depth=2
	v_mov_b32_e32 v4, s6
	ds_read2_b32 v[4:5], v4 offset1:1
	s_add_i32 s6, s6, 8
	s_add_i32 s7, s7, -8
	s_cmp_lg_u32 s7, 0
	s_waitcnt lgkmcnt(0)
	v_cmp_gt_i32_e32 vcc, v1, v5
	s_nop 1
	v_addc_co_u32_e32 v3, vcc, 0, v3, vcc
	v_cmp_gt_i32_e32 vcc, v1, v4
	s_nop 1
	v_addc_co_u32_e32 v2, vcc, 0, v2, vcc
	s_cbranch_scc1 .LBB77_86
.LBB77_87:                              ;   in Loop: Header=BB77_80 Depth=1
	v_add_u32_e32 v2, v2, v3
	s_mov_b32 s18, s15
	s_mov_b64 s[6:7], s[10:11]
.LBB77_88:                              ;   in Loop: Header=BB77_80 Depth=1
	s_and_b64 vcc, exec, s[6:7]
	s_cbranch_vccz .LBB77_79
; %bb.89:                               ;   in Loop: Header=BB77_80 Depth=1
	s_lshl_b32 s6, s18, 2
	s_add_i32 s6, s6, 0
.LBB77_90:                              ;   Parent Loop BB77_80 Depth=1
                                        ; =>  This Inner Loop Header: Depth=2
	v_mov_b32_e32 v3, s6
	ds_read_b32 v3, v3
	s_add_i32 s18, s18, 1
	s_add_i32 s6, s6, 4
	s_cmp_ge_i32 s18, s14
	s_waitcnt lgkmcnt(0)
	v_cmp_gt_i32_e32 vcc, v1, v3
	s_nop 1
	v_addc_co_u32_e32 v2, vcc, 0, v2, vcc
	s_cbranch_scc0 .LBB77_90
	s_branch .LBB77_79
.LBB77_91:
	s_endpgm
	.section	.rodata,"a",@progbits
	.p2align	6, 0x0
	.amdhsa_kernel _ZN9rocsparseL41csrgemm_numeric_fill_block_per_row_kernelILj1024ELj64ELj32768ELj137ELj64Eii21rocsparse_complex_numIdEEEvT5_PKS3_S5_NS_24const_host_device_scalarIT6_EEPKT4_S5_PKS7_SB_S5_SD_S8_SB_S5_SD_SB_S5_PS7_21rocsparse_index_base_SF_SF_SF_bbb
		.amdhsa_group_segment_fixed_size 0
		.amdhsa_private_segment_fixed_size 40
		.amdhsa_kernarg_size 172
		.amdhsa_user_sgpr_count 2
		.amdhsa_user_sgpr_dispatch_ptr 0
		.amdhsa_user_sgpr_queue_ptr 0
		.amdhsa_user_sgpr_kernarg_segment_ptr 1
		.amdhsa_user_sgpr_dispatch_id 0
		.amdhsa_user_sgpr_kernarg_preload_length 0
		.amdhsa_user_sgpr_kernarg_preload_offset 0
		.amdhsa_user_sgpr_private_segment_size 0
		.amdhsa_uses_dynamic_stack 0
		.amdhsa_enable_private_segment 1
		.amdhsa_system_sgpr_workgroup_id_x 1
		.amdhsa_system_sgpr_workgroup_id_y 0
		.amdhsa_system_sgpr_workgroup_id_z 0
		.amdhsa_system_sgpr_workgroup_info 0
		.amdhsa_system_vgpr_workitem_id 0
		.amdhsa_next_free_vgpr 30
		.amdhsa_next_free_sgpr 61
		.amdhsa_accum_offset 32
		.amdhsa_reserve_vcc 1
		.amdhsa_float_round_mode_32 0
		.amdhsa_float_round_mode_16_64 0
		.amdhsa_float_denorm_mode_32 3
		.amdhsa_float_denorm_mode_16_64 3
		.amdhsa_dx10_clamp 1
		.amdhsa_ieee_mode 1
		.amdhsa_fp16_overflow 0
		.amdhsa_tg_split 0
		.amdhsa_exception_fp_ieee_invalid_op 0
		.amdhsa_exception_fp_denorm_src 0
		.amdhsa_exception_fp_ieee_div_zero 0
		.amdhsa_exception_fp_ieee_overflow 0
		.amdhsa_exception_fp_ieee_underflow 0
		.amdhsa_exception_fp_ieee_inexact 0
		.amdhsa_exception_int_div_zero 0
	.end_amdhsa_kernel
	.section	.text._ZN9rocsparseL41csrgemm_numeric_fill_block_per_row_kernelILj1024ELj64ELj32768ELj137ELj64Eii21rocsparse_complex_numIdEEEvT5_PKS3_S5_NS_24const_host_device_scalarIT6_EEPKT4_S5_PKS7_SB_S5_SD_S8_SB_S5_SD_SB_S5_PS7_21rocsparse_index_base_SF_SF_SF_bbb,"axG",@progbits,_ZN9rocsparseL41csrgemm_numeric_fill_block_per_row_kernelILj1024ELj64ELj32768ELj137ELj64Eii21rocsparse_complex_numIdEEEvT5_PKS3_S5_NS_24const_host_device_scalarIT6_EEPKT4_S5_PKS7_SB_S5_SD_S8_SB_S5_SD_SB_S5_PS7_21rocsparse_index_base_SF_SF_SF_bbb,comdat
.Lfunc_end77:
	.size	_ZN9rocsparseL41csrgemm_numeric_fill_block_per_row_kernelILj1024ELj64ELj32768ELj137ELj64Eii21rocsparse_complex_numIdEEEvT5_PKS3_S5_NS_24const_host_device_scalarIT6_EEPKT4_S5_PKS7_SB_S5_SD_S8_SB_S5_SD_SB_S5_PS7_21rocsparse_index_base_SF_SF_SF_bbb, .Lfunc_end77-_ZN9rocsparseL41csrgemm_numeric_fill_block_per_row_kernelILj1024ELj64ELj32768ELj137ELj64Eii21rocsparse_complex_numIdEEEvT5_PKS3_S5_NS_24const_host_device_scalarIT6_EEPKT4_S5_PKS7_SB_S5_SD_S8_SB_S5_SD_SB_S5_PS7_21rocsparse_index_base_SF_SF_SF_bbb
                                        ; -- End function
	.set _ZN9rocsparseL41csrgemm_numeric_fill_block_per_row_kernelILj1024ELj64ELj32768ELj137ELj64Eii21rocsparse_complex_numIdEEEvT5_PKS3_S5_NS_24const_host_device_scalarIT6_EEPKT4_S5_PKS7_SB_S5_SD_S8_SB_S5_SD_SB_S5_PS7_21rocsparse_index_base_SF_SF_SF_bbb.num_vgpr, 30
	.set _ZN9rocsparseL41csrgemm_numeric_fill_block_per_row_kernelILj1024ELj64ELj32768ELj137ELj64Eii21rocsparse_complex_numIdEEEvT5_PKS3_S5_NS_24const_host_device_scalarIT6_EEPKT4_S5_PKS7_SB_S5_SD_S8_SB_S5_SD_SB_S5_PS7_21rocsparse_index_base_SF_SF_SF_bbb.num_agpr, 0
	.set _ZN9rocsparseL41csrgemm_numeric_fill_block_per_row_kernelILj1024ELj64ELj32768ELj137ELj64Eii21rocsparse_complex_numIdEEEvT5_PKS3_S5_NS_24const_host_device_scalarIT6_EEPKT4_S5_PKS7_SB_S5_SD_S8_SB_S5_SD_SB_S5_PS7_21rocsparse_index_base_SF_SF_SF_bbb.numbered_sgpr, 61
	.set _ZN9rocsparseL41csrgemm_numeric_fill_block_per_row_kernelILj1024ELj64ELj32768ELj137ELj64Eii21rocsparse_complex_numIdEEEvT5_PKS3_S5_NS_24const_host_device_scalarIT6_EEPKT4_S5_PKS7_SB_S5_SD_S8_SB_S5_SD_SB_S5_PS7_21rocsparse_index_base_SF_SF_SF_bbb.num_named_barrier, 0
	.set _ZN9rocsparseL41csrgemm_numeric_fill_block_per_row_kernelILj1024ELj64ELj32768ELj137ELj64Eii21rocsparse_complex_numIdEEEvT5_PKS3_S5_NS_24const_host_device_scalarIT6_EEPKT4_S5_PKS7_SB_S5_SD_S8_SB_S5_SD_SB_S5_PS7_21rocsparse_index_base_SF_SF_SF_bbb.private_seg_size, 40
	.set _ZN9rocsparseL41csrgemm_numeric_fill_block_per_row_kernelILj1024ELj64ELj32768ELj137ELj64Eii21rocsparse_complex_numIdEEEvT5_PKS3_S5_NS_24const_host_device_scalarIT6_EEPKT4_S5_PKS7_SB_S5_SD_S8_SB_S5_SD_SB_S5_PS7_21rocsparse_index_base_SF_SF_SF_bbb.uses_vcc, 1
	.set _ZN9rocsparseL41csrgemm_numeric_fill_block_per_row_kernelILj1024ELj64ELj32768ELj137ELj64Eii21rocsparse_complex_numIdEEEvT5_PKS3_S5_NS_24const_host_device_scalarIT6_EEPKT4_S5_PKS7_SB_S5_SD_S8_SB_S5_SD_SB_S5_PS7_21rocsparse_index_base_SF_SF_SF_bbb.uses_flat_scratch, 0
	.set _ZN9rocsparseL41csrgemm_numeric_fill_block_per_row_kernelILj1024ELj64ELj32768ELj137ELj64Eii21rocsparse_complex_numIdEEEvT5_PKS3_S5_NS_24const_host_device_scalarIT6_EEPKT4_S5_PKS7_SB_S5_SD_S8_SB_S5_SD_SB_S5_PS7_21rocsparse_index_base_SF_SF_SF_bbb.has_dyn_sized_stack, 0
	.set _ZN9rocsparseL41csrgemm_numeric_fill_block_per_row_kernelILj1024ELj64ELj32768ELj137ELj64Eii21rocsparse_complex_numIdEEEvT5_PKS3_S5_NS_24const_host_device_scalarIT6_EEPKT4_S5_PKS7_SB_S5_SD_S8_SB_S5_SD_SB_S5_PS7_21rocsparse_index_base_SF_SF_SF_bbb.has_recursion, 0
	.set _ZN9rocsparseL41csrgemm_numeric_fill_block_per_row_kernelILj1024ELj64ELj32768ELj137ELj64Eii21rocsparse_complex_numIdEEEvT5_PKS3_S5_NS_24const_host_device_scalarIT6_EEPKT4_S5_PKS7_SB_S5_SD_S8_SB_S5_SD_SB_S5_PS7_21rocsparse_index_base_SF_SF_SF_bbb.has_indirect_call, 0
	.section	.AMDGPU.csdata,"",@progbits
; Kernel info:
; codeLenInByte = 3668
; TotalNumSgprs: 67
; NumVgprs: 30
; NumAgprs: 0
; TotalNumVgprs: 30
; ScratchSize: 40
; MemoryBound: 0
; FloatMode: 240
; IeeeMode: 1
; LDSByteSize: 0 bytes/workgroup (compile time only)
; SGPRBlocks: 8
; VGPRBlocks: 3
; NumSGPRsForWavesPerEU: 67
; NumVGPRsForWavesPerEU: 30
; AccumOffset: 32
; Occupancy: 8
; WaveLimiterHint : 1
; COMPUTE_PGM_RSRC2:SCRATCH_EN: 1
; COMPUTE_PGM_RSRC2:USER_SGPR: 2
; COMPUTE_PGM_RSRC2:TRAP_HANDLER: 0
; COMPUTE_PGM_RSRC2:TGID_X_EN: 1
; COMPUTE_PGM_RSRC2:TGID_Y_EN: 0
; COMPUTE_PGM_RSRC2:TGID_Z_EN: 0
; COMPUTE_PGM_RSRC2:TIDIG_COMP_CNT: 0
; COMPUTE_PGM_RSRC3_GFX90A:ACCUM_OFFSET: 7
; COMPUTE_PGM_RSRC3_GFX90A:TG_SPLIT: 0
	.section	.text._ZN9rocsparseL51csrgemm_numeric_fill_block_per_row_multipass_kernelILj512ELj16ELj2048ELj32Eii21rocsparse_complex_numIdEEEvT4_PKS3_S5_NS_24const_host_device_scalarIT5_EEPKT3_S5_PKS7_SB_S5_SD_S8_SB_S5_SD_SB_S5_PS7_PS9_21rocsparse_index_base_SG_SG_SG_bbb,"axG",@progbits,_ZN9rocsparseL51csrgemm_numeric_fill_block_per_row_multipass_kernelILj512ELj16ELj2048ELj32Eii21rocsparse_complex_numIdEEEvT4_PKS3_S5_NS_24const_host_device_scalarIT5_EEPKT3_S5_PKS7_SB_S5_SD_S8_SB_S5_SD_SB_S5_PS7_PS9_21rocsparse_index_base_SG_SG_SG_bbb,comdat
	.globl	_ZN9rocsparseL51csrgemm_numeric_fill_block_per_row_multipass_kernelILj512ELj16ELj2048ELj32Eii21rocsparse_complex_numIdEEEvT4_PKS3_S5_NS_24const_host_device_scalarIT5_EEPKT3_S5_PKS7_SB_S5_SD_S8_SB_S5_SD_SB_S5_PS7_PS9_21rocsparse_index_base_SG_SG_SG_bbb ; -- Begin function _ZN9rocsparseL51csrgemm_numeric_fill_block_per_row_multipass_kernelILj512ELj16ELj2048ELj32Eii21rocsparse_complex_numIdEEEvT4_PKS3_S5_NS_24const_host_device_scalarIT5_EEPKT3_S5_PKS7_SB_S5_SD_S8_SB_S5_SD_SB_S5_PS7_PS9_21rocsparse_index_base_SG_SG_SG_bbb
	.p2align	8
	.type	_ZN9rocsparseL51csrgemm_numeric_fill_block_per_row_multipass_kernelILj512ELj16ELj2048ELj32Eii21rocsparse_complex_numIdEEEvT4_PKS3_S5_NS_24const_host_device_scalarIT5_EEPKT3_S5_PKS7_SB_S5_SD_S8_SB_S5_SD_SB_S5_PS7_PS9_21rocsparse_index_base_SG_SG_SG_bbb,@function
_ZN9rocsparseL51csrgemm_numeric_fill_block_per_row_multipass_kernelILj512ELj16ELj2048ELj32Eii21rocsparse_complex_numIdEEEvT4_PKS3_S5_NS_24const_host_device_scalarIT5_EEPKT3_S5_PKS7_SB_S5_SD_S8_SB_S5_SD_SB_S5_PS7_PS9_21rocsparse_index_base_SG_SG_SG_bbb: ; @_ZN9rocsparseL51csrgemm_numeric_fill_block_per_row_multipass_kernelILj512ELj16ELj2048ELj32Eii21rocsparse_complex_numIdEEEvT4_PKS3_S5_NS_24const_host_device_scalarIT5_EEPKT3_S5_PKS7_SB_S5_SD_S8_SB_S5_SD_SB_S5_PS7_PS9_21rocsparse_index_base_SG_SG_SG_bbb
; %bb.0:
	s_load_dword s3, s[0:1], 0xb0
	s_load_dwordx8 s[4:11], s[0:1], 0x8
	s_load_dwordx4 s[56:59], s[0:1], 0xa0
	s_load_dwordx4 s[12:15], s[0:1], 0x58
	v_mov_b64_e32 v[12:13], 0
	v_mov_b64_e32 v[10:11], 0
	s_waitcnt lgkmcnt(0)
	s_bitcmp1_b32 s3, 0
	s_cselect_b64 s[16:17], -1, 0
	s_bitcmp1_b32 s3, 16
	s_cselect_b64 s[20:21], -1, 0
	s_xor_b64 s[18:19], s[20:21], -1
	v_mov_b64_e32 v[2:3], s[8:9]
	scratch_store_dwordx2 off, v[2:3], off offset:16
	v_mov_b64_e32 v[2:3], s[12:13]
	s_bitcmp0_b32 s3, 0
	v_mov_b64_e32 v[14:15], 0
	scratch_store_dwordx2 off, v[2:3], off offset:24
	s_cbranch_scc1 .LBB78_3
; %bb.1:
	s_mov_b64 s[22:23], src_private_base
	s_and_b64 s[24:25], s[20:21], exec
	s_cselect_b32 s22, s23, s9
	s_cselect_b32 s23, 16, s8
	v_mov_b32_e32 v2, s23
	v_mov_b32_e32 v3, s22
	flat_load_dwordx2 v[10:11], v[2:3]
	s_andn2_b64 vcc, exec, s[18:19]
	v_mov_b64_e32 v[14:15], s[10:11]
	s_cbranch_vccnz .LBB78_3
; %bb.2:
	v_mov_b64_e32 v[2:3], s[8:9]
	flat_load_dwordx2 v[14:15], v[2:3] offset:8
.LBB78_3:
	s_load_dwordx2 s[8:9], s[0:1], 0x28
	s_bitcmp1_b32 s3, 8
	s_cselect_b64 s[64:65], -1, 0
	s_bfe_u32 s3, s3, 0x10008
	s_cmp_eq_u32 s3, 0
	v_mov_b64_e32 v[16:17], 0
	s_cbranch_scc1 .LBB78_6
; %bb.4:
	s_mov_b64 s[10:11], src_private_base
	s_and_b64 s[20:21], s[20:21], exec
	s_cselect_b32 s3, s11, s13
	s_cselect_b32 s10, 24, s12
	v_mov_b32_e32 v2, s10
	v_mov_b32_e32 v3, s3
	flat_load_dwordx2 v[16:17], v[2:3]
	s_andn2_b64 vcc, exec, s[18:19]
	v_mov_b64_e32 v[12:13], s[14:15]
	s_cbranch_vccnz .LBB78_6
; %bb.5:
	v_mov_b64_e32 v[2:3], s[12:13]
	flat_load_dwordx2 v[12:13], v[2:3] offset:8
.LBB78_6:
	s_load_dword s3, s[4:5], 0x0
	s_mov_b32 s67, 0
	v_cndmask_b32_e64 v1, 0, 1, s[16:17]
	s_waitcnt lgkmcnt(0)
	s_add_i32 s66, s3, s2
	s_lshl_b64 s[2:3], s[66:67], 2
	s_add_u32 s2, s6, s2
	s_addc_u32 s3, s7, s3
	s_load_dword s4, s[2:3], 0x0
	v_cmp_ne_u32_e64 s[2:3], 1, v1
	s_andn2_b64 vcc, exec, s[16:17]
	s_mov_b32 s6, 0
	s_cbranch_vccz .LBB78_9
; %bb.7:
	s_and_b64 vcc, exec, s[2:3]
	s_cbranch_vccz .LBB78_10
.LBB78_8:
	s_load_dword s33, s[0:1], 0x0
	s_waitcnt lgkmcnt(0)
	s_cmp_lt_i32 s33, 1
	s_cbranch_scc0 .LBB78_11
	s_branch .LBB78_64
.LBB78_9:
	s_waitcnt lgkmcnt(0)
	s_ashr_i32 s5, s4, 31
	s_lshl_b64 s[6:7], s[4:5], 2
	s_add_u32 s6, s8, s6
	s_addc_u32 s7, s9, s7
	s_load_dword s5, s[6:7], 0x0
	s_waitcnt lgkmcnt(0)
	s_sub_i32 s6, s5, s56
	s_and_b64 vcc, exec, s[2:3]
	s_cbranch_vccnz .LBB78_8
.LBB78_10:
	s_waitcnt lgkmcnt(0)
	s_ashr_i32 s5, s4, 31
	s_lshl_b64 s[2:3], s[4:5], 2
	s_add_u32 s2, s8, s2
	s_addc_u32 s3, s9, s3
	s_load_dword s2, s[2:3], 0x4
	s_waitcnt lgkmcnt(0)
	s_sub_i32 s67, s2, s56
	s_load_dword s33, s[0:1], 0x0
	s_waitcnt lgkmcnt(0)
	s_cmp_lt_i32 s33, 1
	s_cbranch_scc1 .LBB78_64
.LBB78_11:
	s_load_dwordx8 s[40:47], s[0:1], 0x68
	s_load_dwordx4 s[60:63], s[0:1], 0x90
	s_load_dwordx2 s[68:69], s[0:1], 0x50
	s_ashr_i32 s5, s4, 31
	s_lshl_b64 s[4:5], s[4:5], 2
	s_waitcnt lgkmcnt(0)
	s_add_u32 s2, s46, s4
	s_addc_u32 s3, s47, s5
	s_load_dword s7, s[2:3], 0x0
	s_load_dwordx8 s[48:55], s[0:1], 0x30
	v_lshrrev_b32_e32 v1, 4, v0
	v_add_u32_e32 v25, s6, v1
	v_mbcnt_lo_u32_b32 v1, -1, 0
	s_waitcnt lgkmcnt(0)
	s_sub_i32 s38, s7, s58
	v_mbcnt_hi_u32_b32 v1, -1, v1
	v_cmp_gt_i32_e32 vcc, s67, v25
	s_add_u32 s46, s40, s4
	v_sub_u32_e32 v1, 63, v1
	v_and_b32_e32 v24, 15, v0
	s_addc_u32 s47, s41, s5
	v_mov_b32_e32 v2, 0
	v_lshrrev_b64 v[18:19], v1, -1
	v_lshrrev_b32_e32 v1, 3, v0
	s_movk_i32 s4, 0x1ff
	s_and_b64 s[70:71], s[16:17], vcc
	s_movk_i32 s10, 0x60
	s_movk_i32 s12, 0x80
	;; [unrolled: 1-line block ×13, first 2 shown]
	v_cmp_eq_u32_e64 s[0:1], 0, v0
	v_cmp_eq_u32_e64 s[2:3], 15, v24
	v_subrev_u32_e32 v26, s59, v0
	v_and_b32_e32 v27, 60, v1
	v_cmp_eq_u32_e64 s[4:5], s4, v0
	v_cmp_gt_u32_e64 s[6:7], 32, v0
	v_cmp_gt_u32_e64 s[8:9], 64, v0
	;; [unrolled: 1-line block ×15, first 2 shown]
	v_or_b32_e32 v28, 0xfffffe00, v0
	v_lshlrev_b32_e32 v29, 4, v0
	v_mov_b32_e32 v32, 0x800
	v_mov_b32_e32 v30, s38
	;; [unrolled: 1-line block ×5, first 2 shown]
	s_movk_i32 s58, 0x5ff
	v_mov_b32_e32 v37, s33
	v_mov_b32_e32 v31, 1
	;; [unrolled: 1-line block ×3, first 2 shown]
	s_branch .LBB78_13
.LBB78_12:                              ;   in Loop: Header=BB78_13 Depth=1
	s_or_b64 exec, exec, s[38:39]
	ds_read_b32 v33, v2 offset:34816
	s_waitcnt lgkmcnt(0)
	s_barrier
	v_cmp_le_i32_e32 vcc, s33, v33
	v_add_u32_e32 v32, 0x800, v33
	s_cbranch_vccnz .LBB78_64
.LBB78_13:                              ; =>This Loop Header: Depth=1
                                        ;     Child Loop BB78_14 Depth 2
                                        ;     Child Loop BB78_20 Depth 2
                                        ;       Child Loop BB78_26 Depth 3
                                        ;     Child Loop BB78_43 Depth 2
                                        ;     Child Loop BB78_55 Depth 2
	;; [unrolled: 1-line block ×3, first 2 shown]
	s_mov_b64 s[38:39], 0
	v_mov_b32_e32 v0, v29
	v_mov_b32_e32 v1, v28
.LBB78_14:                              ;   Parent Loop BB78_13 Depth=1
                                        ; =>  This Inner Loop Header: Depth=2
	ds_write_b8 v1, v2 offset:33280
	ds_write_b128 v0, v[2:5]
	v_add_u32_e32 v1, 0x200, v1
	v_cmp_lt_u32_e32 vcc, s58, v1
	s_or_b64 s[38:39], vcc, s[38:39]
	v_add_u32_e32 v0, 0x2000, v0
	s_andn2_b64 exec, exec, s[38:39]
	s_cbranch_execnz .LBB78_14
; %bb.15:                               ;   in Loop: Header=BB78_13 Depth=1
	s_or_b64 exec, exec, s[38:39]
	s_and_saveexec_b64 s[38:39], s[0:1]
; %bb.16:                               ;   in Loop: Header=BB78_13 Depth=1
	ds_write_b32 v2, v37 offset:34816
; %bb.17:                               ;   in Loop: Header=BB78_13 Depth=1
	s_or_b64 exec, exec, s[38:39]
	v_mov_b32_e32 v34, s33
	s_waitcnt lgkmcnt(0)
	s_barrier
	s_and_saveexec_b64 s[72:73], s[70:71]
	s_cbranch_execz .LBB78_39
; %bb.18:                               ;   in Loop: Header=BB78_13 Depth=1
	s_mov_b64 s[74:75], 0
	v_cmp_ne_u32_e64 s[38:39], 0, v33
	v_mov_b32_e32 v34, s33
	v_mov_b32_e32 v0, v25
	s_branch .LBB78_20
.LBB78_19:                              ;   in Loop: Header=BB78_20 Depth=2
	s_or_b64 exec, exec, s[40:41]
	v_add_u32_e32 v0, 32, v0
	v_cmp_le_i32_e32 vcc, s67, v0
	s_or_b64 s[74:75], vcc, s[74:75]
	s_andn2_b64 exec, exec, s[74:75]
	s_cbranch_execz .LBB78_38
.LBB78_20:                              ;   Parent Loop BB78_13 Depth=1
                                        ; =>  This Loop Header: Depth=2
                                        ;       Child Loop BB78_26 Depth 3
	v_ashrrev_i32_e32 v1, 31, v0
	v_lshl_add_u64 v[6:7], v[0:1], 2, s[48:49]
	global_load_dword v22, v[6:7], off
	v_lshl_add_u64 v[6:7], v[0:1], 4, s[50:51]
	global_load_dwordx4 v[6:9], v[6:7], off
	s_and_b64 vcc, exec, s[38:39]
	v_lshl_add_u64 v[20:21], v[0:1], 2, s[62:63]
	s_waitcnt vmcnt(0)
	v_subrev_u32_e32 v22, s56, v22
	v_ashrrev_i32_e32 v23, 31, v22
	s_cbranch_vccz .LBB78_37
; %bb.21:                               ;   in Loop: Header=BB78_20 Depth=2
	global_load_dword v1, v[20:21], off
	s_cbranch_execnz .LBB78_23
.LBB78_22:                              ;   in Loop: Header=BB78_20 Depth=2
	v_lshl_add_u64 v[38:39], v[22:23], 2, s[52:53]
	global_load_dword v1, v[38:39], off
	s_waitcnt vmcnt(0)
	v_subrev_u32_e32 v1, s57, v1
.LBB78_23:                              ;   in Loop: Header=BB78_20 Depth=2
	v_lshl_add_u64 v[22:23], v[22:23], 2, s[52:53]
	global_load_dword v22, v[22:23], off offset:4
	s_waitcnt vmcnt(1)
	v_add_u32_e32 v1, v1, v24
	s_waitcnt vmcnt(0)
	v_subrev_u32_e32 v35, s57, v22
	v_cmp_lt_i32_e32 vcc, v1, v35
	s_and_saveexec_b64 s[76:77], vcc
	s_cbranch_execz .LBB78_35
; %bb.24:                               ;   in Loop: Header=BB78_20 Depth=2
	v_mul_f64 v[22:23], v[8:9], -v[14:15]
	v_mul_f64 v[8:9], v[10:11], v[8:9]
	v_fmac_f64_e32 v[22:23], v[10:11], v[6:7]
	v_fmac_f64_e32 v[8:9], v[14:15], v[6:7]
	s_mov_b64 s[80:81], 0
	v_mov_b32_e32 v7, v1
                                        ; implicit-def: $sgpr78_sgpr79
                                        ; implicit-def: $sgpr82_sgpr83
	s_branch .LBB78_26
.LBB78_25:                              ;   in Loop: Header=BB78_26 Depth=3
	s_or_b64 exec, exec, s[86:87]
	s_and_b64 s[40:41], exec, s[84:85]
	s_or_b64 s[80:81], s[40:41], s[80:81]
	s_andn2_b64 s[40:41], s[78:79], exec
	s_and_b64 s[78:79], s[82:83], exec
	s_or_b64 s[78:79], s[40:41], s[78:79]
	s_andn2_b64 exec, exec, s[80:81]
	s_cbranch_execz .LBB78_32
.LBB78_26:                              ;   Parent Loop BB78_13 Depth=1
                                        ;     Parent Loop BB78_20 Depth=2
                                        ; =>    This Inner Loop Header: Depth=3
	v_mov_b32_e32 v6, v7
	v_ashrrev_i32_e32 v7, 31, v6
	v_lshl_add_u64 v[38:39], v[6:7], 2, s[54:55]
	global_load_dword v36, v[38:39], off
	s_waitcnt vmcnt(0)
	v_subrev_u32_e32 v36, s57, v36
	v_cmp_lt_i32_e32 vcc, v36, v33
	v_cmp_ge_i32_e64 s[40:41], v36, v32
	s_or_b64 s[84:85], vcc, s[40:41]
	s_mov_b64 s[40:41], 0
	s_and_saveexec_b64 s[86:87], s[84:85]
	s_xor_b64 s[84:85], exec, s[86:87]
; %bb.27:                               ;   in Loop: Header=BB78_26 Depth=3
	v_cmp_lt_i32_e32 vcc, v36, v32
	s_and_b64 s[40:41], vcc, exec
; %bb.28:                               ;   in Loop: Header=BB78_26 Depth=3
	s_andn2_saveexec_b64 s[84:85], s[84:85]
	s_cbranch_execz .LBB78_30
; %bb.29:                               ;   in Loop: Header=BB78_26 Depth=3
	v_lshl_add_u64 v[38:39], v[6:7], 4, s[68:69]
	global_load_dwordx4 v[38:41], v[38:39], off
	v_sub_u32_e32 v7, v36, v33
	ds_write_b8 v7, v31 offset:32768
	v_lshlrev_b32_e32 v7, 4, v7
	s_or_b64 s[40:41], s[40:41], exec
	s_waitcnt vmcnt(0)
	v_mul_f64 v[42:43], v[40:41], -v[8:9]
	v_mul_f64 v[40:41], v[22:23], v[40:41]
	v_fmac_f64_e32 v[42:43], v[22:23], v[38:39]
	v_fmac_f64_e32 v[40:41], v[8:9], v[38:39]
	ds_add_f64 v7, v[42:43]
	ds_add_f64 v7, v[40:41] offset:8
.LBB78_30:                              ;   in Loop: Header=BB78_26 Depth=3
	s_or_b64 exec, exec, s[84:85]
	s_mov_b64 s[84:85], -1
	s_or_b64 s[82:83], s[82:83], exec
                                        ; implicit-def: $vgpr7
	s_and_saveexec_b64 s[86:87], s[40:41]
	s_cbranch_execz .LBB78_25
; %bb.31:                               ;   in Loop: Header=BB78_26 Depth=3
	v_add_u32_e32 v7, 16, v6
	v_cmp_ge_i32_e32 vcc, v7, v35
	s_andn2_b64 s[82:83], s[82:83], exec
	s_orn2_b64 s[84:85], vcc, exec
	s_branch .LBB78_25
.LBB78_32:                              ;   in Loop: Header=BB78_20 Depth=2
	s_or_b64 exec, exec, s[80:81]
	s_and_saveexec_b64 s[40:41], s[78:79]
	s_xor_b64 s[40:41], exec, s[40:41]
; %bb.33:                               ;   in Loop: Header=BB78_20 Depth=2
	v_min_i32_e32 v34, v36, v34
	v_mov_b32_e32 v1, v6
; %bb.34:                               ;   in Loop: Header=BB78_20 Depth=2
	s_or_b64 exec, exec, s[40:41]
.LBB78_35:                              ;   in Loop: Header=BB78_20 Depth=2
	s_or_b64 exec, exec, s[76:77]
	v_mov_b32_dpp v6, v1 row_shr:1 row_mask:0xf bank_mask:0xf
	v_min_i32_e32 v1, v6, v1
	s_nop 1
	v_mov_b32_dpp v6, v1 row_shr:2 row_mask:0xf bank_mask:0xf
	v_min_i32_e32 v1, v6, v1
	s_nop 1
	v_mov_b32_dpp v6, v1 row_shr:4 row_mask:0xf bank_mask:0xe
	v_min_i32_e32 v1, v6, v1
	s_nop 1
	v_mov_b32_dpp v6, v1 row_shr:8 row_mask:0xf bank_mask:0xc
	s_and_saveexec_b64 s[40:41], s[2:3]
	s_cbranch_execz .LBB78_19
; %bb.36:                               ;   in Loop: Header=BB78_20 Depth=2
	v_min_i32_e32 v1, v6, v1
	global_store_dword v[20:21], v1, off
	s_branch .LBB78_19
.LBB78_37:                              ;   in Loop: Header=BB78_20 Depth=2
                                        ; implicit-def: $vgpr1
	s_branch .LBB78_22
.LBB78_38:                              ;   in Loop: Header=BB78_13 Depth=1
	s_or_b64 exec, exec, s[74:75]
.LBB78_39:                              ;   in Loop: Header=BB78_13 Depth=1
	s_or_b64 exec, exec, s[72:73]
	s_andn2_b64 vcc, exec, s[64:65]
	s_cbranch_vccnz .LBB78_53
; %bb.40:                               ;   in Loop: Header=BB78_13 Depth=1
	s_load_dwordx2 s[38:39], s[46:47], 0x0
	s_waitcnt lgkmcnt(0)
	s_sub_i32 s66, s39, s59
	v_add_u32_e32 v0, s38, v26
	v_cmp_gt_i32_e32 vcc, s66, v0
	s_and_saveexec_b64 s[40:41], vcc
	s_cbranch_execz .LBB78_52
; %bb.41:                               ;   in Loop: Header=BB78_13 Depth=1
	s_mov_b64 s[72:73], 0
                                        ; implicit-def: $sgpr74_sgpr75
                                        ; implicit-def: $sgpr76_sgpr77
	s_branch .LBB78_43
.LBB78_42:                              ;   in Loop: Header=BB78_43 Depth=2
	s_or_b64 exec, exec, s[80:81]
	s_and_b64 s[38:39], exec, s[78:79]
	s_or_b64 s[72:73], s[38:39], s[72:73]
	s_andn2_b64 s[38:39], s[74:75], exec
	s_and_b64 s[74:75], s[76:77], exec
	s_or_b64 s[74:75], s[38:39], s[74:75]
	s_andn2_b64 exec, exec, s[72:73]
	s_cbranch_execz .LBB78_49
.LBB78_43:                              ;   Parent Loop BB78_13 Depth=1
                                        ; =>  This Inner Loop Header: Depth=2
	v_ashrrev_i32_e32 v1, 31, v0
	v_lshl_add_u64 v[6:7], v[0:1], 2, s[42:43]
	global_load_dword v6, v[6:7], off
	s_waitcnt vmcnt(0)
	v_subrev_u32_e32 v6, s59, v6
	v_cmp_lt_i32_e32 vcc, v6, v33
	v_cmp_ge_i32_e64 s[38:39], v6, v32
	s_or_b64 s[78:79], vcc, s[38:39]
	s_mov_b64 s[38:39], 0
	s_and_saveexec_b64 s[80:81], s[78:79]
	s_xor_b64 s[78:79], exec, s[80:81]
; %bb.44:                               ;   in Loop: Header=BB78_43 Depth=2
	v_cmp_lt_i32_e32 vcc, v6, v32
	s_and_b64 s[38:39], vcc, exec
; %bb.45:                               ;   in Loop: Header=BB78_43 Depth=2
	s_andn2_saveexec_b64 s[78:79], s[78:79]
	s_cbranch_execz .LBB78_47
; %bb.46:                               ;   in Loop: Header=BB78_43 Depth=2
	v_lshl_add_u64 v[8:9], v[0:1], 4, s[44:45]
	global_load_dwordx4 v[20:23], v[8:9], off
	v_sub_u32_e32 v1, v6, v33
	ds_write_b8 v1, v31 offset:32768
	v_lshlrev_b32_e32 v1, 4, v1
	s_or_b64 s[38:39], s[38:39], exec
	s_waitcnt vmcnt(0)
	v_mul_f64 v[8:9], v[22:23], -v[12:13]
	v_mul_f64 v[22:23], v[16:17], v[22:23]
	v_fmac_f64_e32 v[8:9], v[16:17], v[20:21]
	v_fmac_f64_e32 v[22:23], v[12:13], v[20:21]
	ds_add_f64 v1, v[8:9]
	ds_add_f64 v1, v[22:23] offset:8
.LBB78_47:                              ;   in Loop: Header=BB78_43 Depth=2
	s_or_b64 exec, exec, s[78:79]
	s_mov_b64 s[78:79], -1
	s_or_b64 s[76:77], s[76:77], exec
	s_and_saveexec_b64 s[80:81], s[38:39]
	s_cbranch_execz .LBB78_42
; %bb.48:                               ;   in Loop: Header=BB78_43 Depth=2
	v_add_u32_e32 v0, 0x200, v0
	v_cmp_le_i32_e32 vcc, s66, v0
	s_andn2_b64 s[76:77], s[76:77], exec
	s_orn2_b64 s[78:79], vcc, exec
	s_branch .LBB78_42
.LBB78_49:                              ;   in Loop: Header=BB78_13 Depth=1
	s_or_b64 exec, exec, s[72:73]
	s_and_saveexec_b64 s[38:39], s[74:75]
	s_xor_b64 s[38:39], exec, s[38:39]
; %bb.50:                               ;   in Loop: Header=BB78_13 Depth=1
	v_min_i32_e32 v34, v6, v34
; %bb.51:                               ;   in Loop: Header=BB78_13 Depth=1
	s_or_b64 exec, exec, s[38:39]
.LBB78_52:                              ;   in Loop: Header=BB78_13 Depth=1
	s_or_b64 exec, exec, s[40:41]
.LBB78_53:                              ;   in Loop: Header=BB78_13 Depth=1
	v_mov_b32_dpp v0, v34 row_shr:1 row_mask:0xf bank_mask:0xf
	v_min_i32_e32 v0, v0, v34
	s_nop 1
	v_mov_b32_dpp v1, v0 row_shr:2 row_mask:0xf bank_mask:0xf
	v_min_i32_e32 v0, v1, v0
	s_nop 1
	;; [unrolled: 3-line block ×3, first 2 shown]
	v_mov_b32_dpp v1, v0 row_shr:8 row_mask:0xf bank_mask:0xc
	s_and_saveexec_b64 s[38:39], s[2:3]
	s_cbranch_execz .LBB78_58
; %bb.54:                               ;   in Loop: Header=BB78_13 Depth=1
	s_mov_b64 s[40:41], exec
	v_min_i32_e32 v0, v1, v0
	s_brev_b32 s66, -2
.LBB78_55:                              ;   Parent Loop BB78_13 Depth=1
                                        ; =>  This Inner Loop Header: Depth=2
	s_ff1_i32_b64 s72, s[40:41]
	v_readlane_b32 s74, v0, s72
	s_lshl_b64 s[72:73], 1, s72
	s_min_i32 s66, s66, s74
	s_andn2_b64 s[40:41], s[40:41], s[72:73]
	s_cmp_lg_u64 s[40:41], 0
	s_cbranch_scc1 .LBB78_55
; %bb.56:                               ;   in Loop: Header=BB78_13 Depth=1
	v_mbcnt_lo_u32_b32 v0, exec_lo, 0
	v_mbcnt_hi_u32_b32 v0, exec_hi, v0
	v_cmp_eq_u32_e32 vcc, 0, v0
	s_and_saveexec_b64 s[40:41], vcc
	s_xor_b64 s[40:41], exec, s[40:41]
; %bb.57:                               ;   in Loop: Header=BB78_13 Depth=1
	v_mov_b32_e32 v0, s66
	ds_min_i32 v2, v0 offset:34816
.LBB78_58:                              ;   in Loop: Header=BB78_13 Depth=1
	s_or_b64 exec, exec, s[38:39]
	s_mov_b64 s[38:39], 0
	v_mov_b32_e32 v0, v29
	v_mov_b32_e32 v1, v28
	s_waitcnt lgkmcnt(0)
	s_barrier
	s_branch .LBB78_60
.LBB78_59:                              ;   in Loop: Header=BB78_60 Depth=2
	s_or_b64 exec, exec, s[40:41]
	s_waitcnt lgkmcnt(0)
	s_barrier
	ds_read_b32 v6, v2 offset:60
	v_add_u32_e32 v1, 0x200, v1
	v_cmp_lt_u32_e32 vcc, s58, v1
	s_or_b64 s[38:39], vcc, s[38:39]
	v_add_u32_e32 v0, 0x2000, v0
	s_waitcnt lgkmcnt(0)
	v_add_u32_e32 v30, v6, v30
	s_andn2_b64 exec, exec, s[38:39]
	s_cbranch_execz .LBB78_12
.LBB78_60:                              ;   Parent Loop BB78_13 Depth=1
                                        ; =>  This Inner Loop Header: Depth=2
	ds_read2_b64 v[6:9], v0 offset1:1
	ds_read_u8 v36, v1 offset:33280
	s_waitcnt lgkmcnt(0)
	scratch_store_dwordx4 off, v[6:9], off
	v_cmp_ne_u16_e32 vcc, 0, v36
	s_bcnt1_i32_b64 s40, vcc
	s_nop 0
	v_and_b32_e32 v6, vcc_lo, v18
	v_bcnt_u32_b32 v21, v6, 0
	v_mov_b32_e32 v6, s40
	s_barrier
	ds_write_b32 v27, v6
	s_waitcnt lgkmcnt(0)
	s_barrier
	ds_read_b128 v[6:9], v2
	v_and_b32_e32 v20, vcc_hi, v19
	v_bcnt_u32_b32 v41, v20, v21
	ds_read_b128 v[20:23], v2 offset:16
	ds_read_b128 v[32:35], v2 offset:32
	ds_read_b96 v[38:40], v2 offset:48
	s_waitcnt lgkmcnt(0)
	v_cndmask_b32_e64 v6, v6, 0, s[6:7]
	v_add_u32_e32 v6, v6, v41
	v_cndmask_b32_e64 v7, v7, 0, s[8:9]
	v_cndmask_b32_e64 v8, v8, 0, s[10:11]
	v_add3_u32 v6, v6, v7, v8
	v_cndmask_b32_e64 v7, v9, 0, s[12:13]
	v_cndmask_b32_e64 v8, v20, 0, s[14:15]
	v_add3_u32 v6, v6, v7, v8
	;; [unrolled: 3-line block ×7, first 2 shown]
	v_and_b32_e32 v7, 1, v36
	v_cmp_eq_u32_e32 vcc, 1, v7
	s_and_saveexec_b64 s[40:41], vcc
	s_cbranch_execz .LBB78_62
; %bb.61:                               ;   in Loop: Header=BB78_60 Depth=2
	scratch_load_dwordx4 v[20:23], off, off
	v_add_u32_e32 v8, v6, v30
	v_ashrrev_i32_e32 v9, 31, v8
	v_lshl_add_u64 v[8:9], v[8:9], 4, s[60:61]
	s_waitcnt vmcnt(0)
	global_store_dwordx4 v[8:9], v[20:23], off offset:-16
.LBB78_62:                              ;   in Loop: Header=BB78_60 Depth=2
	s_or_b64 exec, exec, s[40:41]
	s_and_saveexec_b64 s[40:41], s[4:5]
	s_cbranch_execz .LBB78_59
; %bb.63:                               ;   in Loop: Header=BB78_60 Depth=2
	ds_write_b32 v2, v6 offset:60
	s_branch .LBB78_59
.LBB78_64:
	s_endpgm
	.section	.rodata,"a",@progbits
	.p2align	6, 0x0
	.amdhsa_kernel _ZN9rocsparseL51csrgemm_numeric_fill_block_per_row_multipass_kernelILj512ELj16ELj2048ELj32Eii21rocsparse_complex_numIdEEEvT4_PKS3_S5_NS_24const_host_device_scalarIT5_EEPKT3_S5_PKS7_SB_S5_SD_S8_SB_S5_SD_SB_S5_PS7_PS9_21rocsparse_index_base_SG_SG_SG_bbb
		.amdhsa_group_segment_fixed_size 34824
		.amdhsa_private_segment_fixed_size 40
		.amdhsa_kernarg_size 180
		.amdhsa_user_sgpr_count 2
		.amdhsa_user_sgpr_dispatch_ptr 0
		.amdhsa_user_sgpr_queue_ptr 0
		.amdhsa_user_sgpr_kernarg_segment_ptr 1
		.amdhsa_user_sgpr_dispatch_id 0
		.amdhsa_user_sgpr_kernarg_preload_length 0
		.amdhsa_user_sgpr_kernarg_preload_offset 0
		.amdhsa_user_sgpr_private_segment_size 0
		.amdhsa_uses_dynamic_stack 0
		.amdhsa_enable_private_segment 1
		.amdhsa_system_sgpr_workgroup_id_x 1
		.amdhsa_system_sgpr_workgroup_id_y 0
		.amdhsa_system_sgpr_workgroup_id_z 0
		.amdhsa_system_sgpr_workgroup_info 0
		.amdhsa_system_vgpr_workitem_id 0
		.amdhsa_next_free_vgpr 44
		.amdhsa_next_free_sgpr 88
		.amdhsa_accum_offset 44
		.amdhsa_reserve_vcc 1
		.amdhsa_float_round_mode_32 0
		.amdhsa_float_round_mode_16_64 0
		.amdhsa_float_denorm_mode_32 3
		.amdhsa_float_denorm_mode_16_64 3
		.amdhsa_dx10_clamp 1
		.amdhsa_ieee_mode 1
		.amdhsa_fp16_overflow 0
		.amdhsa_tg_split 0
		.amdhsa_exception_fp_ieee_invalid_op 0
		.amdhsa_exception_fp_denorm_src 0
		.amdhsa_exception_fp_ieee_div_zero 0
		.amdhsa_exception_fp_ieee_overflow 0
		.amdhsa_exception_fp_ieee_underflow 0
		.amdhsa_exception_fp_ieee_inexact 0
		.amdhsa_exception_int_div_zero 0
	.end_amdhsa_kernel
	.section	.text._ZN9rocsparseL51csrgemm_numeric_fill_block_per_row_multipass_kernelILj512ELj16ELj2048ELj32Eii21rocsparse_complex_numIdEEEvT4_PKS3_S5_NS_24const_host_device_scalarIT5_EEPKT3_S5_PKS7_SB_S5_SD_S8_SB_S5_SD_SB_S5_PS7_PS9_21rocsparse_index_base_SG_SG_SG_bbb,"axG",@progbits,_ZN9rocsparseL51csrgemm_numeric_fill_block_per_row_multipass_kernelILj512ELj16ELj2048ELj32Eii21rocsparse_complex_numIdEEEvT4_PKS3_S5_NS_24const_host_device_scalarIT5_EEPKT3_S5_PKS7_SB_S5_SD_S8_SB_S5_SD_SB_S5_PS7_PS9_21rocsparse_index_base_SG_SG_SG_bbb,comdat
.Lfunc_end78:
	.size	_ZN9rocsparseL51csrgemm_numeric_fill_block_per_row_multipass_kernelILj512ELj16ELj2048ELj32Eii21rocsparse_complex_numIdEEEvT4_PKS3_S5_NS_24const_host_device_scalarIT5_EEPKT3_S5_PKS7_SB_S5_SD_S8_SB_S5_SD_SB_S5_PS7_PS9_21rocsparse_index_base_SG_SG_SG_bbb, .Lfunc_end78-_ZN9rocsparseL51csrgemm_numeric_fill_block_per_row_multipass_kernelILj512ELj16ELj2048ELj32Eii21rocsparse_complex_numIdEEEvT4_PKS3_S5_NS_24const_host_device_scalarIT5_EEPKT3_S5_PKS7_SB_S5_SD_S8_SB_S5_SD_SB_S5_PS7_PS9_21rocsparse_index_base_SG_SG_SG_bbb
                                        ; -- End function
	.set _ZN9rocsparseL51csrgemm_numeric_fill_block_per_row_multipass_kernelILj512ELj16ELj2048ELj32Eii21rocsparse_complex_numIdEEEvT4_PKS3_S5_NS_24const_host_device_scalarIT5_EEPKT3_S5_PKS7_SB_S5_SD_S8_SB_S5_SD_SB_S5_PS7_PS9_21rocsparse_index_base_SG_SG_SG_bbb.num_vgpr, 44
	.set _ZN9rocsparseL51csrgemm_numeric_fill_block_per_row_multipass_kernelILj512ELj16ELj2048ELj32Eii21rocsparse_complex_numIdEEEvT4_PKS3_S5_NS_24const_host_device_scalarIT5_EEPKT3_S5_PKS7_SB_S5_SD_S8_SB_S5_SD_SB_S5_PS7_PS9_21rocsparse_index_base_SG_SG_SG_bbb.num_agpr, 0
	.set _ZN9rocsparseL51csrgemm_numeric_fill_block_per_row_multipass_kernelILj512ELj16ELj2048ELj32Eii21rocsparse_complex_numIdEEEvT4_PKS3_S5_NS_24const_host_device_scalarIT5_EEPKT3_S5_PKS7_SB_S5_SD_S8_SB_S5_SD_SB_S5_PS7_PS9_21rocsparse_index_base_SG_SG_SG_bbb.numbered_sgpr, 88
	.set _ZN9rocsparseL51csrgemm_numeric_fill_block_per_row_multipass_kernelILj512ELj16ELj2048ELj32Eii21rocsparse_complex_numIdEEEvT4_PKS3_S5_NS_24const_host_device_scalarIT5_EEPKT3_S5_PKS7_SB_S5_SD_S8_SB_S5_SD_SB_S5_PS7_PS9_21rocsparse_index_base_SG_SG_SG_bbb.num_named_barrier, 0
	.set _ZN9rocsparseL51csrgemm_numeric_fill_block_per_row_multipass_kernelILj512ELj16ELj2048ELj32Eii21rocsparse_complex_numIdEEEvT4_PKS3_S5_NS_24const_host_device_scalarIT5_EEPKT3_S5_PKS7_SB_S5_SD_S8_SB_S5_SD_SB_S5_PS7_PS9_21rocsparse_index_base_SG_SG_SG_bbb.private_seg_size, 40
	.set _ZN9rocsparseL51csrgemm_numeric_fill_block_per_row_multipass_kernelILj512ELj16ELj2048ELj32Eii21rocsparse_complex_numIdEEEvT4_PKS3_S5_NS_24const_host_device_scalarIT5_EEPKT3_S5_PKS7_SB_S5_SD_S8_SB_S5_SD_SB_S5_PS7_PS9_21rocsparse_index_base_SG_SG_SG_bbb.uses_vcc, 1
	.set _ZN9rocsparseL51csrgemm_numeric_fill_block_per_row_multipass_kernelILj512ELj16ELj2048ELj32Eii21rocsparse_complex_numIdEEEvT4_PKS3_S5_NS_24const_host_device_scalarIT5_EEPKT3_S5_PKS7_SB_S5_SD_S8_SB_S5_SD_SB_S5_PS7_PS9_21rocsparse_index_base_SG_SG_SG_bbb.uses_flat_scratch, 0
	.set _ZN9rocsparseL51csrgemm_numeric_fill_block_per_row_multipass_kernelILj512ELj16ELj2048ELj32Eii21rocsparse_complex_numIdEEEvT4_PKS3_S5_NS_24const_host_device_scalarIT5_EEPKT3_S5_PKS7_SB_S5_SD_S8_SB_S5_SD_SB_S5_PS7_PS9_21rocsparse_index_base_SG_SG_SG_bbb.has_dyn_sized_stack, 0
	.set _ZN9rocsparseL51csrgemm_numeric_fill_block_per_row_multipass_kernelILj512ELj16ELj2048ELj32Eii21rocsparse_complex_numIdEEEvT4_PKS3_S5_NS_24const_host_device_scalarIT5_EEPKT3_S5_PKS7_SB_S5_SD_S8_SB_S5_SD_SB_S5_PS7_PS9_21rocsparse_index_base_SG_SG_SG_bbb.has_recursion, 0
	.set _ZN9rocsparseL51csrgemm_numeric_fill_block_per_row_multipass_kernelILj512ELj16ELj2048ELj32Eii21rocsparse_complex_numIdEEEvT4_PKS3_S5_NS_24const_host_device_scalarIT5_EEPKT3_S5_PKS7_SB_S5_SD_S8_SB_S5_SD_SB_S5_PS7_PS9_21rocsparse_index_base_SG_SG_SG_bbb.has_indirect_call, 0
	.section	.AMDGPU.csdata,"",@progbits
; Kernel info:
; codeLenInByte = 2476
; TotalNumSgprs: 94
; NumVgprs: 44
; NumAgprs: 0
; TotalNumVgprs: 44
; ScratchSize: 40
; MemoryBound: 0
; FloatMode: 240
; IeeeMode: 1
; LDSByteSize: 34824 bytes/workgroup (compile time only)
; SGPRBlocks: 11
; VGPRBlocks: 5
; NumSGPRsForWavesPerEU: 94
; NumVGPRsForWavesPerEU: 44
; AccumOffset: 44
; Occupancy: 8
; WaveLimiterHint : 1
; COMPUTE_PGM_RSRC2:SCRATCH_EN: 1
; COMPUTE_PGM_RSRC2:USER_SGPR: 2
; COMPUTE_PGM_RSRC2:TRAP_HANDLER: 0
; COMPUTE_PGM_RSRC2:TGID_X_EN: 1
; COMPUTE_PGM_RSRC2:TGID_Y_EN: 0
; COMPUTE_PGM_RSRC2:TGID_Z_EN: 0
; COMPUTE_PGM_RSRC2:TIDIG_COMP_CNT: 0
; COMPUTE_PGM_RSRC3_GFX90A:ACCUM_OFFSET: 10
; COMPUTE_PGM_RSRC3_GFX90A:TG_SPLIT: 0
	.section	.text._ZN9rocsparseL51csrgemm_numeric_fill_block_per_row_multipass_kernelILj512ELj16ELj2048ELj64Eii21rocsparse_complex_numIdEEEvT4_PKS3_S5_NS_24const_host_device_scalarIT5_EEPKT3_S5_PKS7_SB_S5_SD_S8_SB_S5_SD_SB_S5_PS7_PS9_21rocsparse_index_base_SG_SG_SG_bbb,"axG",@progbits,_ZN9rocsparseL51csrgemm_numeric_fill_block_per_row_multipass_kernelILj512ELj16ELj2048ELj64Eii21rocsparse_complex_numIdEEEvT4_PKS3_S5_NS_24const_host_device_scalarIT5_EEPKT3_S5_PKS7_SB_S5_SD_S8_SB_S5_SD_SB_S5_PS7_PS9_21rocsparse_index_base_SG_SG_SG_bbb,comdat
	.globl	_ZN9rocsparseL51csrgemm_numeric_fill_block_per_row_multipass_kernelILj512ELj16ELj2048ELj64Eii21rocsparse_complex_numIdEEEvT4_PKS3_S5_NS_24const_host_device_scalarIT5_EEPKT3_S5_PKS7_SB_S5_SD_S8_SB_S5_SD_SB_S5_PS7_PS9_21rocsparse_index_base_SG_SG_SG_bbb ; -- Begin function _ZN9rocsparseL51csrgemm_numeric_fill_block_per_row_multipass_kernelILj512ELj16ELj2048ELj64Eii21rocsparse_complex_numIdEEEvT4_PKS3_S5_NS_24const_host_device_scalarIT5_EEPKT3_S5_PKS7_SB_S5_SD_S8_SB_S5_SD_SB_S5_PS7_PS9_21rocsparse_index_base_SG_SG_SG_bbb
	.p2align	8
	.type	_ZN9rocsparseL51csrgemm_numeric_fill_block_per_row_multipass_kernelILj512ELj16ELj2048ELj64Eii21rocsparse_complex_numIdEEEvT4_PKS3_S5_NS_24const_host_device_scalarIT5_EEPKT3_S5_PKS7_SB_S5_SD_S8_SB_S5_SD_SB_S5_PS7_PS9_21rocsparse_index_base_SG_SG_SG_bbb,@function
_ZN9rocsparseL51csrgemm_numeric_fill_block_per_row_multipass_kernelILj512ELj16ELj2048ELj64Eii21rocsparse_complex_numIdEEEvT4_PKS3_S5_NS_24const_host_device_scalarIT5_EEPKT3_S5_PKS7_SB_S5_SD_S8_SB_S5_SD_SB_S5_PS7_PS9_21rocsparse_index_base_SG_SG_SG_bbb: ; @_ZN9rocsparseL51csrgemm_numeric_fill_block_per_row_multipass_kernelILj512ELj16ELj2048ELj64Eii21rocsparse_complex_numIdEEEvT4_PKS3_S5_NS_24const_host_device_scalarIT5_EEPKT3_S5_PKS7_SB_S5_SD_S8_SB_S5_SD_SB_S5_PS7_PS9_21rocsparse_index_base_SG_SG_SG_bbb
; %bb.0:
	s_load_dword s3, s[0:1], 0xb0
	s_load_dwordx8 s[4:11], s[0:1], 0x8
	s_load_dwordx4 s[44:47], s[0:1], 0xa0
	s_load_dwordx4 s[12:15], s[0:1], 0x58
	v_mov_b64_e32 v[12:13], 0
	v_mov_b64_e32 v[10:11], 0
	s_waitcnt lgkmcnt(0)
	s_bitcmp1_b32 s3, 0
	s_cselect_b64 s[16:17], -1, 0
	s_bitcmp1_b32 s3, 16
	s_cselect_b64 s[22:23], -1, 0
	s_xor_b64 s[18:19], s[22:23], -1
	v_mov_b64_e32 v[2:3], s[8:9]
	scratch_store_dwordx2 off, v[2:3], off offset:16
	v_mov_b64_e32 v[2:3], s[12:13]
	s_bitcmp0_b32 s3, 0
	v_mov_b64_e32 v[14:15], 0
	scratch_store_dwordx2 off, v[2:3], off offset:24
	s_cbranch_scc1 .LBB79_3
; %bb.1:
	s_mov_b64 s[20:21], src_private_base
	s_and_b64 s[24:25], s[22:23], exec
	s_cselect_b32 s20, s21, s9
	s_cselect_b32 s21, 16, s8
	v_mov_b32_e32 v2, s21
	v_mov_b32_e32 v3, s20
	flat_load_dwordx2 v[10:11], v[2:3]
	s_andn2_b64 vcc, exec, s[18:19]
	v_mov_b64_e32 v[14:15], s[10:11]
	s_cbranch_vccnz .LBB79_3
; %bb.2:
	v_mov_b64_e32 v[2:3], s[8:9]
	flat_load_dwordx2 v[14:15], v[2:3] offset:8
.LBB79_3:
	s_load_dwordx2 s[8:9], s[0:1], 0x28
	s_bitcmp1_b32 s3, 8
	s_cselect_b64 s[20:21], -1, 0
	s_bfe_u32 s3, s3, 0x10008
	s_cmp_eq_u32 s3, 0
	v_mov_b64_e32 v[16:17], 0
	s_cbranch_scc1 .LBB79_6
; %bb.4:
	s_mov_b64 s[10:11], src_private_base
	s_and_b64 s[22:23], s[22:23], exec
	s_cselect_b32 s3, s11, s13
	s_cselect_b32 s10, 24, s12
	v_mov_b32_e32 v2, s10
	v_mov_b32_e32 v3, s3
	flat_load_dwordx2 v[16:17], v[2:3]
	s_andn2_b64 vcc, exec, s[18:19]
	v_mov_b64_e32 v[12:13], s[14:15]
	s_cbranch_vccnz .LBB79_6
; %bb.5:
	v_mov_b64_e32 v[2:3], s[12:13]
	flat_load_dwordx2 v[12:13], v[2:3] offset:8
.LBB79_6:
	s_load_dword s3, s[4:5], 0x0
	s_mov_b32 s35, 0
	v_cndmask_b32_e64 v1, 0, 1, s[16:17]
	s_waitcnt lgkmcnt(0)
	s_add_i32 s34, s3, s2
	s_lshl_b64 s[2:3], s[34:35], 2
	s_add_u32 s2, s6, s2
	s_addc_u32 s3, s7, s3
	s_load_dword s4, s[2:3], 0x0
	v_cmp_ne_u32_e64 s[2:3], 1, v1
	s_andn2_b64 vcc, exec, s[16:17]
	s_mov_b32 s6, 0
	s_cbranch_vccz .LBB79_9
; %bb.7:
	s_and_b64 vcc, exec, s[2:3]
	s_cbranch_vccz .LBB79_10
.LBB79_8:
	s_load_dword s33, s[0:1], 0x0
	s_waitcnt lgkmcnt(0)
	s_cmp_lt_i32 s33, 1
	s_cbranch_scc0 .LBB79_11
	s_branch .LBB79_64
.LBB79_9:
	s_waitcnt lgkmcnt(0)
	s_ashr_i32 s5, s4, 31
	s_lshl_b64 s[6:7], s[4:5], 2
	s_add_u32 s6, s8, s6
	s_addc_u32 s7, s9, s7
	s_load_dword s5, s[6:7], 0x0
	s_waitcnt lgkmcnt(0)
	s_sub_i32 s6, s5, s44
	s_and_b64 vcc, exec, s[2:3]
	s_cbranch_vccnz .LBB79_8
.LBB79_10:
	s_waitcnt lgkmcnt(0)
	s_ashr_i32 s5, s4, 31
	s_lshl_b64 s[2:3], s[4:5], 2
	s_add_u32 s2, s8, s2
	s_addc_u32 s3, s9, s3
	s_load_dword s2, s[2:3], 0x4
	s_waitcnt lgkmcnt(0)
	s_sub_i32 s35, s2, s44
	s_load_dword s33, s[0:1], 0x0
	s_waitcnt lgkmcnt(0)
	s_cmp_lt_i32 s33, 1
	s_cbranch_scc1 .LBB79_64
.LBB79_11:
	s_load_dwordx8 s[24:31], s[0:1], 0x68
	s_load_dwordx4 s[48:51], s[0:1], 0x90
	s_load_dwordx2 s[52:53], s[0:1], 0x50
	s_ashr_i32 s5, s4, 31
	s_lshl_b64 s[4:5], s[4:5], 2
	s_waitcnt lgkmcnt(0)
	s_add_u32 s2, s30, s4
	s_addc_u32 s3, s31, s5
	s_load_dword s7, s[2:3], 0x0
	s_load_dwordx8 s[36:43], s[0:1], 0x30
	v_lshrrev_b32_e32 v1, 4, v0
	v_add_u32_e32 v25, s6, v1
	v_cmp_gt_i32_e32 vcc, s35, v25
	s_waitcnt lgkmcnt(0)
	s_sub_i32 s22, s7, s46
	s_add_u32 s30, s24, s4
	v_mbcnt_lo_u32_b32 v3, -1, 0
	s_addc_u32 s31, s25, s5
	v_mbcnt_hi_u32_b32 v3, -1, v3
	s_movk_i32 s4, 0x1ff
	s_and_b64 s[54:55], s[16:17], vcc
	s_movk_i32 s8, 0x80
	s_movk_i32 s10, 0xc0
	;; [unrolled: 1-line block ×6, first 2 shown]
	v_and_b32_e32 v24, 15, v0
	v_cmp_eq_u32_e64 s[0:1], 0, v0
	v_subrev_u32_e32 v26, s47, v0
	v_mov_b32_e32 v2, 0
	v_sub_u32_e32 v3, 63, v3
	v_cmp_eq_u32_e64 s[4:5], s4, v0
	v_cmp_gt_u32_e64 s[6:7], 64, v0
	v_cmp_gt_u32_e64 s[8:9], s8, v0
	;; [unrolled: 1-line block ×7, first 2 shown]
	v_or_b32_e32 v28, 0xfffffe00, v0
	v_lshlrev_b32_e32 v29, 4, v0
	v_cndmask_b32_e64 v0, 0, 1, s[20:21]
	v_cmp_eq_u32_e64 s[2:3], 15, v24
	v_lshrrev_b64 v[18:19], v3, -1
	v_and_b32_e32 v27, 28, v1
	v_mov_b32_e32 v32, 0x800
	v_mov_b32_e32 v30, s22
	;; [unrolled: 1-line block ×5, first 2 shown]
	s_movk_i32 s34, 0x5ff
	v_mov_b32_e32 v37, s33
	v_mov_b32_e32 v31, 1
	v_cmp_ne_u32_e64 s[20:21], 1, v0
	v_mov_b32_e32 v33, v2
	s_branch .LBB79_13
.LBB79_12:                              ;   in Loop: Header=BB79_13 Depth=1
	s_or_b64 exec, exec, s[22:23]
	ds_read_b32 v33, v2 offset:34816
	s_waitcnt lgkmcnt(0)
	s_barrier
	v_cmp_le_i32_e32 vcc, s33, v33
	v_add_u32_e32 v32, 0x800, v33
	s_cbranch_vccnz .LBB79_64
.LBB79_13:                              ; =>This Loop Header: Depth=1
                                        ;     Child Loop BB79_14 Depth 2
                                        ;     Child Loop BB79_20 Depth 2
                                        ;       Child Loop BB79_26 Depth 3
                                        ;     Child Loop BB79_43 Depth 2
                                        ;     Child Loop BB79_55 Depth 2
	;; [unrolled: 1-line block ×3, first 2 shown]
	s_mov_b64 s[22:23], 0
	v_mov_b32_e32 v0, v29
	v_mov_b32_e32 v1, v28
.LBB79_14:                              ;   Parent Loop BB79_13 Depth=1
                                        ; =>  This Inner Loop Header: Depth=2
	ds_write_b8 v1, v2 offset:33280
	ds_write_b128 v0, v[2:5]
	v_add_u32_e32 v1, 0x200, v1
	v_cmp_lt_u32_e32 vcc, s34, v1
	s_or_b64 s[22:23], vcc, s[22:23]
	v_add_u32_e32 v0, 0x2000, v0
	s_andn2_b64 exec, exec, s[22:23]
	s_cbranch_execnz .LBB79_14
; %bb.15:                               ;   in Loop: Header=BB79_13 Depth=1
	s_or_b64 exec, exec, s[22:23]
	s_and_saveexec_b64 s[22:23], s[0:1]
; %bb.16:                               ;   in Loop: Header=BB79_13 Depth=1
	ds_write_b32 v2, v37 offset:34816
; %bb.17:                               ;   in Loop: Header=BB79_13 Depth=1
	s_or_b64 exec, exec, s[22:23]
	v_mov_b32_e32 v34, s33
	s_waitcnt lgkmcnt(0)
	s_barrier
	s_and_saveexec_b64 s[56:57], s[54:55]
	s_cbranch_execz .LBB79_39
; %bb.18:                               ;   in Loop: Header=BB79_13 Depth=1
	s_mov_b64 s[58:59], 0
	v_cmp_ne_u32_e64 s[22:23], 0, v33
	v_mov_b32_e32 v34, s33
	v_mov_b32_e32 v0, v25
	s_branch .LBB79_20
.LBB79_19:                              ;   in Loop: Header=BB79_20 Depth=2
	s_or_b64 exec, exec, s[24:25]
	v_add_u32_e32 v0, 32, v0
	v_cmp_le_i32_e32 vcc, s35, v0
	s_or_b64 s[58:59], vcc, s[58:59]
	s_andn2_b64 exec, exec, s[58:59]
	s_cbranch_execz .LBB79_38
.LBB79_20:                              ;   Parent Loop BB79_13 Depth=1
                                        ; =>  This Loop Header: Depth=2
                                        ;       Child Loop BB79_26 Depth 3
	v_ashrrev_i32_e32 v1, 31, v0
	v_lshl_add_u64 v[6:7], v[0:1], 2, s[36:37]
	global_load_dword v22, v[6:7], off
	v_lshl_add_u64 v[6:7], v[0:1], 4, s[38:39]
	global_load_dwordx4 v[6:9], v[6:7], off
	s_and_b64 vcc, exec, s[22:23]
	v_lshl_add_u64 v[20:21], v[0:1], 2, s[50:51]
	s_waitcnt vmcnt(0)
	v_subrev_u32_e32 v22, s44, v22
	v_ashrrev_i32_e32 v23, 31, v22
	s_cbranch_vccz .LBB79_37
; %bb.21:                               ;   in Loop: Header=BB79_20 Depth=2
	global_load_dword v1, v[20:21], off
	s_cbranch_execnz .LBB79_23
.LBB79_22:                              ;   in Loop: Header=BB79_20 Depth=2
	v_lshl_add_u64 v[38:39], v[22:23], 2, s[40:41]
	global_load_dword v1, v[38:39], off
	s_waitcnt vmcnt(0)
	v_subrev_u32_e32 v1, s45, v1
.LBB79_23:                              ;   in Loop: Header=BB79_20 Depth=2
	v_lshl_add_u64 v[22:23], v[22:23], 2, s[40:41]
	global_load_dword v22, v[22:23], off offset:4
	s_waitcnt vmcnt(1)
	v_add_u32_e32 v1, v1, v24
	s_waitcnt vmcnt(0)
	v_subrev_u32_e32 v35, s45, v22
	v_cmp_lt_i32_e32 vcc, v1, v35
	s_and_saveexec_b64 s[60:61], vcc
	s_cbranch_execz .LBB79_35
; %bb.24:                               ;   in Loop: Header=BB79_20 Depth=2
	v_mul_f64 v[22:23], v[8:9], -v[14:15]
	v_mul_f64 v[8:9], v[10:11], v[8:9]
	v_fmac_f64_e32 v[22:23], v[10:11], v[6:7]
	v_fmac_f64_e32 v[8:9], v[14:15], v[6:7]
	s_mov_b64 s[64:65], 0
	v_mov_b32_e32 v7, v1
                                        ; implicit-def: $sgpr62_sgpr63
                                        ; implicit-def: $sgpr66_sgpr67
	s_branch .LBB79_26
.LBB79_25:                              ;   in Loop: Header=BB79_26 Depth=3
	s_or_b64 exec, exec, s[70:71]
	s_and_b64 s[24:25], exec, s[68:69]
	s_or_b64 s[64:65], s[24:25], s[64:65]
	s_andn2_b64 s[24:25], s[62:63], exec
	s_and_b64 s[62:63], s[66:67], exec
	s_or_b64 s[62:63], s[24:25], s[62:63]
	s_andn2_b64 exec, exec, s[64:65]
	s_cbranch_execz .LBB79_32
.LBB79_26:                              ;   Parent Loop BB79_13 Depth=1
                                        ;     Parent Loop BB79_20 Depth=2
                                        ; =>    This Inner Loop Header: Depth=3
	v_mov_b32_e32 v6, v7
	v_ashrrev_i32_e32 v7, 31, v6
	v_lshl_add_u64 v[38:39], v[6:7], 2, s[42:43]
	global_load_dword v36, v[38:39], off
	s_waitcnt vmcnt(0)
	v_subrev_u32_e32 v36, s45, v36
	v_cmp_lt_i32_e32 vcc, v36, v33
	v_cmp_ge_i32_e64 s[24:25], v36, v32
	s_or_b64 s[68:69], vcc, s[24:25]
	s_mov_b64 s[24:25], 0
	s_and_saveexec_b64 s[70:71], s[68:69]
	s_xor_b64 s[68:69], exec, s[70:71]
; %bb.27:                               ;   in Loop: Header=BB79_26 Depth=3
	v_cmp_lt_i32_e32 vcc, v36, v32
	s_and_b64 s[24:25], vcc, exec
; %bb.28:                               ;   in Loop: Header=BB79_26 Depth=3
	s_andn2_saveexec_b64 s[68:69], s[68:69]
	s_cbranch_execz .LBB79_30
; %bb.29:                               ;   in Loop: Header=BB79_26 Depth=3
	v_lshl_add_u64 v[38:39], v[6:7], 4, s[52:53]
	global_load_dwordx4 v[38:41], v[38:39], off
	v_sub_u32_e32 v7, v36, v33
	ds_write_b8 v7, v31 offset:32768
	v_lshlrev_b32_e32 v7, 4, v7
	s_or_b64 s[24:25], s[24:25], exec
	s_waitcnt vmcnt(0)
	v_mul_f64 v[42:43], v[40:41], -v[8:9]
	v_mul_f64 v[40:41], v[22:23], v[40:41]
	v_fmac_f64_e32 v[42:43], v[22:23], v[38:39]
	v_fmac_f64_e32 v[40:41], v[8:9], v[38:39]
	ds_add_f64 v7, v[42:43]
	ds_add_f64 v7, v[40:41] offset:8
.LBB79_30:                              ;   in Loop: Header=BB79_26 Depth=3
	s_or_b64 exec, exec, s[68:69]
	s_mov_b64 s[68:69], -1
	s_or_b64 s[66:67], s[66:67], exec
                                        ; implicit-def: $vgpr7
	s_and_saveexec_b64 s[70:71], s[24:25]
	s_cbranch_execz .LBB79_25
; %bb.31:                               ;   in Loop: Header=BB79_26 Depth=3
	v_add_u32_e32 v7, 16, v6
	v_cmp_ge_i32_e32 vcc, v7, v35
	s_andn2_b64 s[66:67], s[66:67], exec
	s_orn2_b64 s[68:69], vcc, exec
	s_branch .LBB79_25
.LBB79_32:                              ;   in Loop: Header=BB79_20 Depth=2
	s_or_b64 exec, exec, s[64:65]
	s_and_saveexec_b64 s[24:25], s[62:63]
	s_xor_b64 s[24:25], exec, s[24:25]
; %bb.33:                               ;   in Loop: Header=BB79_20 Depth=2
	v_min_i32_e32 v34, v36, v34
	v_mov_b32_e32 v1, v6
; %bb.34:                               ;   in Loop: Header=BB79_20 Depth=2
	s_or_b64 exec, exec, s[24:25]
.LBB79_35:                              ;   in Loop: Header=BB79_20 Depth=2
	s_or_b64 exec, exec, s[60:61]
	v_mov_b32_dpp v6, v1 row_shr:1 row_mask:0xf bank_mask:0xf
	v_min_i32_e32 v1, v6, v1
	s_nop 1
	v_mov_b32_dpp v6, v1 row_shr:2 row_mask:0xf bank_mask:0xf
	v_min_i32_e32 v1, v6, v1
	s_nop 1
	v_mov_b32_dpp v6, v1 row_shr:4 row_mask:0xf bank_mask:0xe
	v_min_i32_e32 v1, v6, v1
	s_nop 1
	v_mov_b32_dpp v6, v1 row_shr:8 row_mask:0xf bank_mask:0xc
	s_and_saveexec_b64 s[24:25], s[2:3]
	s_cbranch_execz .LBB79_19
; %bb.36:                               ;   in Loop: Header=BB79_20 Depth=2
	v_min_i32_e32 v1, v6, v1
	global_store_dword v[20:21], v1, off
	s_branch .LBB79_19
.LBB79_37:                              ;   in Loop: Header=BB79_20 Depth=2
                                        ; implicit-def: $vgpr1
	s_branch .LBB79_22
.LBB79_38:                              ;   in Loop: Header=BB79_13 Depth=1
	s_or_b64 exec, exec, s[58:59]
.LBB79_39:                              ;   in Loop: Header=BB79_13 Depth=1
	s_or_b64 exec, exec, s[56:57]
	s_and_b64 vcc, exec, s[20:21]
	s_cbranch_vccnz .LBB79_53
; %bb.40:                               ;   in Loop: Header=BB79_13 Depth=1
	s_load_dwordx2 s[22:23], s[30:31], 0x0
	s_waitcnt lgkmcnt(0)
	s_sub_i32 s46, s23, s47
	v_add_u32_e32 v0, s22, v26
	v_cmp_gt_i32_e32 vcc, s46, v0
	s_and_saveexec_b64 s[24:25], vcc
	s_cbranch_execz .LBB79_52
; %bb.41:                               ;   in Loop: Header=BB79_13 Depth=1
	s_mov_b64 s[56:57], 0
                                        ; implicit-def: $sgpr58_sgpr59
                                        ; implicit-def: $sgpr60_sgpr61
	s_branch .LBB79_43
.LBB79_42:                              ;   in Loop: Header=BB79_43 Depth=2
	s_or_b64 exec, exec, s[64:65]
	s_and_b64 s[22:23], exec, s[62:63]
	s_or_b64 s[56:57], s[22:23], s[56:57]
	s_andn2_b64 s[22:23], s[58:59], exec
	s_and_b64 s[58:59], s[60:61], exec
	s_or_b64 s[58:59], s[22:23], s[58:59]
	s_andn2_b64 exec, exec, s[56:57]
	s_cbranch_execz .LBB79_49
.LBB79_43:                              ;   Parent Loop BB79_13 Depth=1
                                        ; =>  This Inner Loop Header: Depth=2
	v_ashrrev_i32_e32 v1, 31, v0
	v_lshl_add_u64 v[6:7], v[0:1], 2, s[26:27]
	global_load_dword v6, v[6:7], off
	s_waitcnt vmcnt(0)
	v_subrev_u32_e32 v6, s47, v6
	v_cmp_lt_i32_e32 vcc, v6, v33
	v_cmp_ge_i32_e64 s[22:23], v6, v32
	s_or_b64 s[62:63], vcc, s[22:23]
	s_mov_b64 s[22:23], 0
	s_and_saveexec_b64 s[64:65], s[62:63]
	s_xor_b64 s[62:63], exec, s[64:65]
; %bb.44:                               ;   in Loop: Header=BB79_43 Depth=2
	v_cmp_lt_i32_e32 vcc, v6, v32
	s_and_b64 s[22:23], vcc, exec
; %bb.45:                               ;   in Loop: Header=BB79_43 Depth=2
	s_andn2_saveexec_b64 s[62:63], s[62:63]
	s_cbranch_execz .LBB79_47
; %bb.46:                               ;   in Loop: Header=BB79_43 Depth=2
	v_lshl_add_u64 v[8:9], v[0:1], 4, s[28:29]
	global_load_dwordx4 v[20:23], v[8:9], off
	v_sub_u32_e32 v1, v6, v33
	ds_write_b8 v1, v31 offset:32768
	v_lshlrev_b32_e32 v1, 4, v1
	s_or_b64 s[22:23], s[22:23], exec
	s_waitcnt vmcnt(0)
	v_mul_f64 v[8:9], v[22:23], -v[12:13]
	v_mul_f64 v[22:23], v[16:17], v[22:23]
	v_fmac_f64_e32 v[8:9], v[16:17], v[20:21]
	v_fmac_f64_e32 v[22:23], v[12:13], v[20:21]
	ds_add_f64 v1, v[8:9]
	ds_add_f64 v1, v[22:23] offset:8
.LBB79_47:                              ;   in Loop: Header=BB79_43 Depth=2
	s_or_b64 exec, exec, s[62:63]
	s_mov_b64 s[62:63], -1
	s_or_b64 s[60:61], s[60:61], exec
	s_and_saveexec_b64 s[64:65], s[22:23]
	s_cbranch_execz .LBB79_42
; %bb.48:                               ;   in Loop: Header=BB79_43 Depth=2
	v_add_u32_e32 v0, 0x200, v0
	v_cmp_le_i32_e32 vcc, s46, v0
	s_andn2_b64 s[60:61], s[60:61], exec
	s_orn2_b64 s[62:63], vcc, exec
	s_branch .LBB79_42
.LBB79_49:                              ;   in Loop: Header=BB79_13 Depth=1
	s_or_b64 exec, exec, s[56:57]
	s_and_saveexec_b64 s[22:23], s[58:59]
	s_xor_b64 s[22:23], exec, s[22:23]
; %bb.50:                               ;   in Loop: Header=BB79_13 Depth=1
	v_min_i32_e32 v34, v6, v34
; %bb.51:                               ;   in Loop: Header=BB79_13 Depth=1
	s_or_b64 exec, exec, s[22:23]
.LBB79_52:                              ;   in Loop: Header=BB79_13 Depth=1
	s_or_b64 exec, exec, s[24:25]
.LBB79_53:                              ;   in Loop: Header=BB79_13 Depth=1
	v_mov_b32_dpp v0, v34 row_shr:1 row_mask:0xf bank_mask:0xf
	v_min_i32_e32 v0, v0, v34
	s_nop 1
	v_mov_b32_dpp v1, v0 row_shr:2 row_mask:0xf bank_mask:0xf
	v_min_i32_e32 v0, v1, v0
	s_nop 1
	;; [unrolled: 3-line block ×3, first 2 shown]
	v_mov_b32_dpp v1, v0 row_shr:8 row_mask:0xf bank_mask:0xc
	s_and_saveexec_b64 s[22:23], s[2:3]
	s_cbranch_execz .LBB79_58
; %bb.54:                               ;   in Loop: Header=BB79_13 Depth=1
	s_mov_b64 s[24:25], exec
	v_min_i32_e32 v0, v1, v0
	s_brev_b32 s46, -2
.LBB79_55:                              ;   Parent Loop BB79_13 Depth=1
                                        ; =>  This Inner Loop Header: Depth=2
	s_ff1_i32_b64 s56, s[24:25]
	v_readlane_b32 s58, v0, s56
	s_lshl_b64 s[56:57], 1, s56
	s_min_i32 s46, s46, s58
	s_andn2_b64 s[24:25], s[24:25], s[56:57]
	s_cmp_lg_u64 s[24:25], 0
	s_cbranch_scc1 .LBB79_55
; %bb.56:                               ;   in Loop: Header=BB79_13 Depth=1
	v_mbcnt_lo_u32_b32 v0, exec_lo, 0
	v_mbcnt_hi_u32_b32 v0, exec_hi, v0
	v_cmp_eq_u32_e32 vcc, 0, v0
	s_and_saveexec_b64 s[24:25], vcc
	s_xor_b64 s[24:25], exec, s[24:25]
; %bb.57:                               ;   in Loop: Header=BB79_13 Depth=1
	v_mov_b32_e32 v0, s46
	ds_min_i32 v2, v0 offset:34816
.LBB79_58:                              ;   in Loop: Header=BB79_13 Depth=1
	s_or_b64 exec, exec, s[22:23]
	s_mov_b64 s[22:23], 0
	v_mov_b32_e32 v0, v29
	v_mov_b32_e32 v1, v28
	s_waitcnt lgkmcnt(0)
	s_barrier
	s_branch .LBB79_60
.LBB79_59:                              ;   in Loop: Header=BB79_60 Depth=2
	s_or_b64 exec, exec, s[24:25]
	s_waitcnt lgkmcnt(0)
	s_barrier
	ds_read_b32 v6, v2 offset:28
	v_add_u32_e32 v1, 0x200, v1
	v_cmp_lt_u32_e32 vcc, s34, v1
	s_or_b64 s[22:23], vcc, s[22:23]
	v_add_u32_e32 v0, 0x2000, v0
	s_waitcnt lgkmcnt(0)
	v_add_u32_e32 v30, v6, v30
	s_andn2_b64 exec, exec, s[22:23]
	s_cbranch_execz .LBB79_12
.LBB79_60:                              ;   Parent Loop BB79_13 Depth=1
                                        ; =>  This Inner Loop Header: Depth=2
	ds_read2_b64 v[6:9], v0 offset1:1
	ds_read_u8 v23, v1 offset:33280
	s_waitcnt lgkmcnt(0)
	scratch_store_dwordx4 off, v[6:9], off
	v_cmp_ne_u16_e32 vcc, 0, v23
	s_bcnt1_i32_b64 s24, vcc
	v_mov_b32_e32 v6, s24
	s_barrier
	ds_write_b32 v27, v6
	s_waitcnt lgkmcnt(0)
	s_barrier
	ds_read_b128 v[6:9], v2
	v_and_b32_e32 v21, vcc_lo, v18
	v_and_b32_e32 v20, vcc_hi, v19
	v_bcnt_u32_b32 v21, v21, 0
	v_bcnt_u32_b32 v32, v20, v21
	ds_read_b96 v[20:22], v2 offset:16
	s_waitcnt lgkmcnt(0)
	v_cndmask_b32_e64 v6, v6, 0, s[6:7]
	v_add_u32_e32 v6, v6, v32
	v_cndmask_b32_e64 v7, v7, 0, s[8:9]
	v_cndmask_b32_e64 v8, v8, 0, s[10:11]
	v_add3_u32 v6, v6, v7, v8
	v_cndmask_b32_e64 v7, v9, 0, s[12:13]
	v_cndmask_b32_e64 v8, v20, 0, s[14:15]
	v_add3_u32 v6, v6, v7, v8
	;; [unrolled: 3-line block ×3, first 2 shown]
	v_and_b32_e32 v7, 1, v23
	v_cmp_eq_u32_e32 vcc, 1, v7
	s_and_saveexec_b64 s[24:25], vcc
	s_cbranch_execz .LBB79_62
; %bb.61:                               ;   in Loop: Header=BB79_60 Depth=2
	scratch_load_dwordx4 v[20:23], off, off
	v_add_u32_e32 v8, v6, v30
	v_ashrrev_i32_e32 v9, 31, v8
	v_lshl_add_u64 v[8:9], v[8:9], 4, s[48:49]
	s_waitcnt vmcnt(0)
	global_store_dwordx4 v[8:9], v[20:23], off offset:-16
.LBB79_62:                              ;   in Loop: Header=BB79_60 Depth=2
	s_or_b64 exec, exec, s[24:25]
	s_and_saveexec_b64 s[24:25], s[4:5]
	s_cbranch_execz .LBB79_59
; %bb.63:                               ;   in Loop: Header=BB79_60 Depth=2
	ds_write_b32 v2, v6 offset:28
	s_branch .LBB79_59
.LBB79_64:
	s_endpgm
	.section	.rodata,"a",@progbits
	.p2align	6, 0x0
	.amdhsa_kernel _ZN9rocsparseL51csrgemm_numeric_fill_block_per_row_multipass_kernelILj512ELj16ELj2048ELj64Eii21rocsparse_complex_numIdEEEvT4_PKS3_S5_NS_24const_host_device_scalarIT5_EEPKT3_S5_PKS7_SB_S5_SD_S8_SB_S5_SD_SB_S5_PS7_PS9_21rocsparse_index_base_SG_SG_SG_bbb
		.amdhsa_group_segment_fixed_size 34824
		.amdhsa_private_segment_fixed_size 40
		.amdhsa_kernarg_size 180
		.amdhsa_user_sgpr_count 2
		.amdhsa_user_sgpr_dispatch_ptr 0
		.amdhsa_user_sgpr_queue_ptr 0
		.amdhsa_user_sgpr_kernarg_segment_ptr 1
		.amdhsa_user_sgpr_dispatch_id 0
		.amdhsa_user_sgpr_kernarg_preload_length 0
		.amdhsa_user_sgpr_kernarg_preload_offset 0
		.amdhsa_user_sgpr_private_segment_size 0
		.amdhsa_uses_dynamic_stack 0
		.amdhsa_enable_private_segment 1
		.amdhsa_system_sgpr_workgroup_id_x 1
		.amdhsa_system_sgpr_workgroup_id_y 0
		.amdhsa_system_sgpr_workgroup_id_z 0
		.amdhsa_system_sgpr_workgroup_info 0
		.amdhsa_system_vgpr_workitem_id 0
		.amdhsa_next_free_vgpr 44
		.amdhsa_next_free_sgpr 72
		.amdhsa_accum_offset 44
		.amdhsa_reserve_vcc 1
		.amdhsa_float_round_mode_32 0
		.amdhsa_float_round_mode_16_64 0
		.amdhsa_float_denorm_mode_32 3
		.amdhsa_float_denorm_mode_16_64 3
		.amdhsa_dx10_clamp 1
		.amdhsa_ieee_mode 1
		.amdhsa_fp16_overflow 0
		.amdhsa_tg_split 0
		.amdhsa_exception_fp_ieee_invalid_op 0
		.amdhsa_exception_fp_denorm_src 0
		.amdhsa_exception_fp_ieee_div_zero 0
		.amdhsa_exception_fp_ieee_overflow 0
		.amdhsa_exception_fp_ieee_underflow 0
		.amdhsa_exception_fp_ieee_inexact 0
		.amdhsa_exception_int_div_zero 0
	.end_amdhsa_kernel
	.section	.text._ZN9rocsparseL51csrgemm_numeric_fill_block_per_row_multipass_kernelILj512ELj16ELj2048ELj64Eii21rocsparse_complex_numIdEEEvT4_PKS3_S5_NS_24const_host_device_scalarIT5_EEPKT3_S5_PKS7_SB_S5_SD_S8_SB_S5_SD_SB_S5_PS7_PS9_21rocsparse_index_base_SG_SG_SG_bbb,"axG",@progbits,_ZN9rocsparseL51csrgemm_numeric_fill_block_per_row_multipass_kernelILj512ELj16ELj2048ELj64Eii21rocsparse_complex_numIdEEEvT4_PKS3_S5_NS_24const_host_device_scalarIT5_EEPKT3_S5_PKS7_SB_S5_SD_S8_SB_S5_SD_SB_S5_PS7_PS9_21rocsparse_index_base_SG_SG_SG_bbb,comdat
.Lfunc_end79:
	.size	_ZN9rocsparseL51csrgemm_numeric_fill_block_per_row_multipass_kernelILj512ELj16ELj2048ELj64Eii21rocsparse_complex_numIdEEEvT4_PKS3_S5_NS_24const_host_device_scalarIT5_EEPKT3_S5_PKS7_SB_S5_SD_S8_SB_S5_SD_SB_S5_PS7_PS9_21rocsparse_index_base_SG_SG_SG_bbb, .Lfunc_end79-_ZN9rocsparseL51csrgemm_numeric_fill_block_per_row_multipass_kernelILj512ELj16ELj2048ELj64Eii21rocsparse_complex_numIdEEEvT4_PKS3_S5_NS_24const_host_device_scalarIT5_EEPKT3_S5_PKS7_SB_S5_SD_S8_SB_S5_SD_SB_S5_PS7_PS9_21rocsparse_index_base_SG_SG_SG_bbb
                                        ; -- End function
	.set _ZN9rocsparseL51csrgemm_numeric_fill_block_per_row_multipass_kernelILj512ELj16ELj2048ELj64Eii21rocsparse_complex_numIdEEEvT4_PKS3_S5_NS_24const_host_device_scalarIT5_EEPKT3_S5_PKS7_SB_S5_SD_S8_SB_S5_SD_SB_S5_PS7_PS9_21rocsparse_index_base_SG_SG_SG_bbb.num_vgpr, 44
	.set _ZN9rocsparseL51csrgemm_numeric_fill_block_per_row_multipass_kernelILj512ELj16ELj2048ELj64Eii21rocsparse_complex_numIdEEEvT4_PKS3_S5_NS_24const_host_device_scalarIT5_EEPKT3_S5_PKS7_SB_S5_SD_S8_SB_S5_SD_SB_S5_PS7_PS9_21rocsparse_index_base_SG_SG_SG_bbb.num_agpr, 0
	.set _ZN9rocsparseL51csrgemm_numeric_fill_block_per_row_multipass_kernelILj512ELj16ELj2048ELj64Eii21rocsparse_complex_numIdEEEvT4_PKS3_S5_NS_24const_host_device_scalarIT5_EEPKT3_S5_PKS7_SB_S5_SD_S8_SB_S5_SD_SB_S5_PS7_PS9_21rocsparse_index_base_SG_SG_SG_bbb.numbered_sgpr, 72
	.set _ZN9rocsparseL51csrgemm_numeric_fill_block_per_row_multipass_kernelILj512ELj16ELj2048ELj64Eii21rocsparse_complex_numIdEEEvT4_PKS3_S5_NS_24const_host_device_scalarIT5_EEPKT3_S5_PKS7_SB_S5_SD_S8_SB_S5_SD_SB_S5_PS7_PS9_21rocsparse_index_base_SG_SG_SG_bbb.num_named_barrier, 0
	.set _ZN9rocsparseL51csrgemm_numeric_fill_block_per_row_multipass_kernelILj512ELj16ELj2048ELj64Eii21rocsparse_complex_numIdEEEvT4_PKS3_S5_NS_24const_host_device_scalarIT5_EEPKT3_S5_PKS7_SB_S5_SD_S8_SB_S5_SD_SB_S5_PS7_PS9_21rocsparse_index_base_SG_SG_SG_bbb.private_seg_size, 40
	.set _ZN9rocsparseL51csrgemm_numeric_fill_block_per_row_multipass_kernelILj512ELj16ELj2048ELj64Eii21rocsparse_complex_numIdEEEvT4_PKS3_S5_NS_24const_host_device_scalarIT5_EEPKT3_S5_PKS7_SB_S5_SD_S8_SB_S5_SD_SB_S5_PS7_PS9_21rocsparse_index_base_SG_SG_SG_bbb.uses_vcc, 1
	.set _ZN9rocsparseL51csrgemm_numeric_fill_block_per_row_multipass_kernelILj512ELj16ELj2048ELj64Eii21rocsparse_complex_numIdEEEvT4_PKS3_S5_NS_24const_host_device_scalarIT5_EEPKT3_S5_PKS7_SB_S5_SD_S8_SB_S5_SD_SB_S5_PS7_PS9_21rocsparse_index_base_SG_SG_SG_bbb.uses_flat_scratch, 0
	.set _ZN9rocsparseL51csrgemm_numeric_fill_block_per_row_multipass_kernelILj512ELj16ELj2048ELj64Eii21rocsparse_complex_numIdEEEvT4_PKS3_S5_NS_24const_host_device_scalarIT5_EEPKT3_S5_PKS7_SB_S5_SD_S8_SB_S5_SD_SB_S5_PS7_PS9_21rocsparse_index_base_SG_SG_SG_bbb.has_dyn_sized_stack, 0
	.set _ZN9rocsparseL51csrgemm_numeric_fill_block_per_row_multipass_kernelILj512ELj16ELj2048ELj64Eii21rocsparse_complex_numIdEEEvT4_PKS3_S5_NS_24const_host_device_scalarIT5_EEPKT3_S5_PKS7_SB_S5_SD_S8_SB_S5_SD_SB_S5_PS7_PS9_21rocsparse_index_base_SG_SG_SG_bbb.has_recursion, 0
	.set _ZN9rocsparseL51csrgemm_numeric_fill_block_per_row_multipass_kernelILj512ELj16ELj2048ELj64Eii21rocsparse_complex_numIdEEEvT4_PKS3_S5_NS_24const_host_device_scalarIT5_EEPKT3_S5_PKS7_SB_S5_SD_S8_SB_S5_SD_SB_S5_PS7_PS9_21rocsparse_index_base_SG_SG_SG_bbb.has_indirect_call, 0
	.section	.AMDGPU.csdata,"",@progbits
; Kernel info:
; codeLenInByte = 2280
; TotalNumSgprs: 78
; NumVgprs: 44
; NumAgprs: 0
; TotalNumVgprs: 44
; ScratchSize: 40
; MemoryBound: 0
; FloatMode: 240
; IeeeMode: 1
; LDSByteSize: 34824 bytes/workgroup (compile time only)
; SGPRBlocks: 9
; VGPRBlocks: 5
; NumSGPRsForWavesPerEU: 78
; NumVGPRsForWavesPerEU: 44
; AccumOffset: 44
; Occupancy: 8
; WaveLimiterHint : 1
; COMPUTE_PGM_RSRC2:SCRATCH_EN: 1
; COMPUTE_PGM_RSRC2:USER_SGPR: 2
; COMPUTE_PGM_RSRC2:TRAP_HANDLER: 0
; COMPUTE_PGM_RSRC2:TGID_X_EN: 1
; COMPUTE_PGM_RSRC2:TGID_Y_EN: 0
; COMPUTE_PGM_RSRC2:TGID_Z_EN: 0
; COMPUTE_PGM_RSRC2:TIDIG_COMP_CNT: 0
; COMPUTE_PGM_RSRC3_GFX90A:ACCUM_OFFSET: 10
; COMPUTE_PGM_RSRC3_GFX90A:TG_SPLIT: 0
	.section	.text._ZN9rocsparseL38csrgemm_numeric_fill_wf_per_row_kernelILj256ELj8ELj16ELj137EllfEEvT4_S1_PKS1_S3_NS_24const_host_device_scalarIT5_EEPKT3_S3_PKS5_S9_S3_SB_S6_S9_S3_SB_S9_S3_PS5_21rocsparse_index_base_SD_SD_SD_bbb,"axG",@progbits,_ZN9rocsparseL38csrgemm_numeric_fill_wf_per_row_kernelILj256ELj8ELj16ELj137EllfEEvT4_S1_PKS1_S3_NS_24const_host_device_scalarIT5_EEPKT3_S3_PKS5_S9_S3_SB_S6_S9_S3_SB_S9_S3_PS5_21rocsparse_index_base_SD_SD_SD_bbb,comdat
	.globl	_ZN9rocsparseL38csrgemm_numeric_fill_wf_per_row_kernelILj256ELj8ELj16ELj137EllfEEvT4_S1_PKS1_S3_NS_24const_host_device_scalarIT5_EEPKT3_S3_PKS5_S9_S3_SB_S6_S9_S3_SB_S9_S3_PS5_21rocsparse_index_base_SD_SD_SD_bbb ; -- Begin function _ZN9rocsparseL38csrgemm_numeric_fill_wf_per_row_kernelILj256ELj8ELj16ELj137EllfEEvT4_S1_PKS1_S3_NS_24const_host_device_scalarIT5_EEPKT3_S3_PKS5_S9_S3_SB_S6_S9_S3_SB_S9_S3_PS5_21rocsparse_index_base_SD_SD_SD_bbb
	.p2align	8
	.type	_ZN9rocsparseL38csrgemm_numeric_fill_wf_per_row_kernelILj256ELj8ELj16ELj137EllfEEvT4_S1_PKS1_S3_NS_24const_host_device_scalarIT5_EEPKT3_S3_PKS5_S9_S3_SB_S6_S9_S3_SB_S9_S3_PS5_21rocsparse_index_base_SD_SD_SD_bbb,@function
_ZN9rocsparseL38csrgemm_numeric_fill_wf_per_row_kernelILj256ELj8ELj16ELj137EllfEEvT4_S1_PKS1_S3_NS_24const_host_device_scalarIT5_EEPKT3_S3_PKS5_S9_S3_SB_S6_S9_S3_SB_S9_S3_PS5_21rocsparse_index_base_SD_SD_SD_bbb: ; @_ZN9rocsparseL38csrgemm_numeric_fill_wf_per_row_kernelILj256ELj8ELj16ELj137EllfEEvT4_S1_PKS1_S3_NS_24const_host_device_scalarIT5_EEPKT3_S3_PKS5_S9_S3_SB_S6_S9_S3_SB_S9_S3_PS5_21rocsparse_index_base_SD_SD_SD_bbb
; %bb.0:
	s_load_dword s3, s[0:1], 0xa0
	s_load_dwordx4 s[28:31], s[0:1], 0x90
	s_load_dwordx2 s[4:5], s[0:1], 0x20
	s_load_dwordx2 s[24:25], s[0:1], 0x58
	s_waitcnt lgkmcnt(0)
	s_bitcmp1_b32 s3, 0
	s_cselect_b64 s[6:7], -1, 0
	s_bitcmp1_b32 s3, 16
	s_cselect_b64 s[26:27], -1, 0
	s_xor_b64 s[8:9], s[6:7], -1
	s_or_b64 s[8:9], s[26:27], s[8:9]
	s_and_b64 vcc, exec, s[8:9]
	s_cbranch_vccnz .LBB80_2
; %bb.1:
	s_load_dword s4, s[4:5], 0x0
	s_waitcnt lgkmcnt(0)
	v_mov_b32_e32 v24, s4
	s_branch .LBB80_3
.LBB80_2:
	v_mov_b32_e32 v1, s4
	v_cndmask_b32_e64 v24, 0, v1, s[6:7]
.LBB80_3:
	s_load_dwordx2 s[34:35], s[0:1], 0x88
	s_load_dwordx8 s[8:15], s[0:1], 0x60
	s_load_dwordx4 s[36:39], s[0:1], 0x48
	s_load_dwordx4 s[40:43], s[0:1], 0x10
	s_load_dwordx8 s[16:23], s[0:1], 0x28
	s_bitcmp1_b32 s3, 8
	s_cselect_b64 s[4:5], -1, 0
	s_xor_b64 s[44:45], s[4:5], -1
	s_or_b64 s[26:27], s[26:27], s[44:45]
	s_and_b64 vcc, exec, s[26:27]
	s_cbranch_vccnz .LBB80_5
; %bb.4:
	s_load_dword s3, s[24:25], 0x0
	s_waitcnt lgkmcnt(0)
	v_mov_b32_e32 v22, s3
	s_branch .LBB80_6
.LBB80_5:
	v_mov_b32_e32 v1, s24
	v_cndmask_b32_e64 v22, 0, v1, s[4:5]
.LBB80_6:
	s_load_dwordx4 s[24:27], s[0:1], 0x0
	v_and_b32_e32 v25, 7, v0
	v_lshrrev_b32_e32 v0, 3, v0
	v_lshlrev_b32_e32 v1, 6, v0
	v_lshlrev_b32_e32 v2, 2, v25
	s_movk_i32 s0, 0x1000
	v_or3_b32 v19, v1, v2, s0
	v_lshlrev_b32_e32 v1, 3, v25
	v_or_b32_e32 v18, -8, v25
	v_lshl_or_b32 v20, v0, 7, v1
	s_mov_b64 s[0:1], 0
	s_waitcnt lgkmcnt(0)
	v_mov_b64_e32 v[6:7], s[26:27]
	v_mov_b32_e32 v1, 0
	v_mov_b32_e32 v2, v20
	;; [unrolled: 1-line block ×4, first 2 shown]
.LBB80_7:                               ; =>This Inner Loop Header: Depth=1
	v_add_co_u32_e32 v4, vcc, 8, v4
	s_xor_b64 s[44:45], vcc, -1
	s_and_b64 s[44:45], exec, s[44:45]
	ds_write_b64 v2, v[6:7]
	ds_write_b32 v3, v1
	v_add_u32_e32 v3, 32, v3
	s_or_b64 s[0:1], s[44:45], s[0:1]
	v_add_u32_e32 v2, 64, v2
	s_andn2_b64 exec, exec, s[0:1]
	s_cbranch_execnz .LBB80_7
; %bb.8:
	s_or_b64 exec, exec, s[0:1]
	s_lshl_b32 s0, s2, 5
	s_and_b32 s0, s0, 0x1fffffe0
	v_or_b32_e32 v4, s0, v0
	v_mov_b32_e32 v5, 0
	v_cmp_gt_i64_e32 vcc, s[24:25], v[4:5]
	s_waitcnt lgkmcnt(0)
	s_and_saveexec_b64 s[0:1], vcc
	s_cbranch_execz .LBB80_52
; %bb.9:
	s_cmp_eq_u64 s[42:43], 0
	s_cbranch_scc1 .LBB80_11
; %bb.10:
	s_load_dwordx2 s[0:1], s[40:41], 0x0
	v_lshlrev_b32_e32 v1, 3, v4
	s_waitcnt lgkmcnt(0)
	s_lshl_b64 s[0:1], s[0:1], 3
	s_add_u32 s0, s42, s0
	s_addc_u32 s1, s43, s1
	global_load_dwordx2 v[4:5], v1, s[0:1]
.LBB80_11:
	v_mov_b32_e32 v1, 0x1000
	v_lshlrev_b32_e32 v21, 7, v0
	s_andn2_b64 vcc, exec, s[6:7]
	v_lshl_or_b32 v23, v0, 6, v1
	s_cbranch_vccnz .LBB80_31
; %bb.12:
	s_waitcnt vmcnt(0)
	v_lshl_add_u64 v[0:1], v[4:5], 3, s[16:17]
	global_load_dwordx4 v[0:3], v[0:1], off
	v_subrev_co_u32_e32 v8, vcc, s28, v25
	s_nop 1
	v_subb_co_u32_e64 v9, s[0:1], 0, 0, vcc
	s_waitcnt vmcnt(0)
	v_subrev_co_u32_e32 v6, vcc, s28, v2
	s_nop 1
	v_subbrev_co_u32_e32 v7, vcc, 0, v3, vcc
	v_lshl_add_u64 v[8:9], v[0:1], 0, v[8:9]
	v_cmp_lt_i64_e32 vcc, v[8:9], v[6:7]
	s_and_saveexec_b64 s[0:1], vcc
	s_cbranch_execz .LBB80_30
; %bb.13:
	s_mov_b64 s[2:3], 0
	s_branch .LBB80_15
.LBB80_14:                              ;   in Loop: Header=BB80_15 Depth=1
	s_or_b64 exec, exec, s[6:7]
	v_lshl_add_u64 v[8:9], v[8:9], 0, 8
	v_cmp_ge_i64_e32 vcc, v[8:9], v[6:7]
	s_or_b64 s[2:3], vcc, s[2:3]
	s_andn2_b64 exec, exec, s[2:3]
	s_cbranch_execz .LBB80_30
.LBB80_15:                              ; =>This Loop Header: Depth=1
                                        ;     Child Loop BB80_19 Depth 2
                                        ;       Child Loop BB80_22 Depth 3
	v_lshl_add_u64 v[0:1], v[8:9], 3, s[18:19]
	global_load_dwordx2 v[0:1], v[0:1], off
	s_waitcnt vmcnt(0)
	v_subrev_co_u32_e32 v0, vcc, s28, v0
	s_nop 1
	v_subbrev_co_u32_e32 v1, vcc, 0, v1, vcc
	v_lshl_add_u64 v[0:1], v[0:1], 3, s[22:23]
	global_load_dwordx4 v[0:3], v[0:1], off
	s_waitcnt vmcnt(0)
	v_cmp_lt_i64_e32 vcc, v[0:1], v[2:3]
	s_and_saveexec_b64 s[6:7], vcc
	s_cbranch_execz .LBB80_14
; %bb.16:                               ;   in Loop: Header=BB80_15 Depth=1
	v_lshl_add_u64 v[10:11], v[8:9], 2, s[20:21]
	global_load_dword v10, v[10:11], off
	v_subrev_co_u32_e32 v2, vcc, s29, v2
	s_mov_b64 s[16:17], 0
	s_nop 0
	v_subbrev_co_u32_e32 v3, vcc, 0, v3, vcc
	v_subrev_co_u32_e32 v0, vcc, s29, v0
	s_waitcnt vmcnt(0)
	v_mul_f32_e32 v26, v24, v10
	v_subbrev_co_u32_e32 v1, vcc, 0, v1, vcc
	s_branch .LBB80_19
.LBB80_17:                              ;   in Loop: Header=BB80_19 Depth=2
	s_or_b64 exec, exec, s[40:41]
.LBB80_18:                              ;   in Loop: Header=BB80_19 Depth=2
	s_or_b64 exec, exec, s[24:25]
	s_waitcnt vmcnt(0)
	v_mul_f32_e32 v10, v26, v27
	v_lshl_add_u32 v11, v12, 2, v23
	ds_add_f32 v11, v10
	v_lshl_add_u64 v[0:1], v[0:1], 0, 1
	v_cmp_ge_i64_e32 vcc, v[0:1], v[2:3]
	s_or_b64 s[16:17], vcc, s[16:17]
	s_andn2_b64 exec, exec, s[16:17]
	s_cbranch_execz .LBB80_14
.LBB80_19:                              ;   Parent Loop BB80_15 Depth=1
                                        ; =>  This Loop Header: Depth=2
                                        ;       Child Loop BB80_22 Depth 3
	v_lshl_add_u64 v[10:11], v[0:1], 3, s[36:37]
	global_load_dwordx2 v[10:11], v[10:11], off
	v_lshl_add_u64 v[12:13], v[0:1], 2, s[38:39]
	global_load_dword v27, v[12:13], off
	s_waitcnt vmcnt(1)
	v_subrev_co_u32_e32 v10, vcc, s29, v10
	v_lshl_add_u32 v12, v10, 3, v10
	v_and_b32_e32 v12, 15, v12
	v_lshl_add_u32 v28, v12, 3, v21
	ds_read_b64 v[16:17], v28
	v_subbrev_co_u32_e32 v11, vcc, 0, v11, vcc
	s_waitcnt lgkmcnt(0)
	v_cmp_ne_u64_e32 vcc, v[16:17], v[10:11]
	s_and_saveexec_b64 s[24:25], vcc
	s_cbranch_execz .LBB80_18
; %bb.20:                               ;   in Loop: Header=BB80_19 Depth=2
	s_mov_b64 s[40:41], 0
                                        ; implicit-def: $sgpr42_sgpr43
                                        ; implicit-def: $sgpr44_sgpr45
	s_branch .LBB80_22
.LBB80_21:                              ;   in Loop: Header=BB80_22 Depth=3
	s_or_b64 exec, exec, s[50:51]
	s_and_b64 s[46:47], exec, s[48:49]
	s_or_b64 s[40:41], s[46:47], s[40:41]
	s_andn2_b64 s[42:43], s[42:43], exec
	s_and_b64 s[46:47], s[44:45], exec
	s_or_b64 s[42:43], s[42:43], s[46:47]
	s_andn2_b64 exec, exec, s[40:41]
	s_cbranch_execz .LBB80_28
.LBB80_22:                              ;   Parent Loop BB80_15 Depth=1
                                        ;     Parent Loop BB80_19 Depth=2
                                        ; =>    This Inner Loop Header: Depth=3
	v_mov_b64_e32 v[14:15], v[12:13]
	v_cmp_ne_u64_e32 vcc, s[26:27], v[16:17]
	s_mov_b64 s[46:47], 0
                                        ; implicit-def: $vgpr12_vgpr13
	s_and_saveexec_b64 s[48:49], vcc
	s_xor_b64 s[48:49], exec, s[48:49]
; %bb.23:                               ;   in Loop: Header=BB80_22 Depth=3
	v_add_u32_e32 v12, 1, v14
	s_mov_b64 s[46:47], exec
	v_and_b32_e32 v12, 15, v12
                                        ; implicit-def: $vgpr28
; %bb.24:                               ;   in Loop: Header=BB80_22 Depth=3
	s_andn2_saveexec_b64 s[48:49], s[48:49]
	s_cbranch_execz .LBB80_26
; %bb.25:                               ;   in Loop: Header=BB80_22 Depth=3
	v_mov_b64_e32 v[12:13], s[26:27]
	ds_cmpst_rtn_b64 v[12:13], v28, v[12:13], v[10:11]
	s_andn2_b64 s[46:47], s[46:47], exec
	s_waitcnt lgkmcnt(0)
	v_cmp_ne_u64_e32 vcc, s[26:27], v[12:13]
	s_and_b64 s[50:51], vcc, exec
	s_or_b64 s[46:47], s[46:47], s[50:51]
	v_mov_b64_e32 v[12:13], v[14:15]
.LBB80_26:                              ;   in Loop: Header=BB80_22 Depth=3
	s_or_b64 exec, exec, s[48:49]
	s_mov_b64 s[48:49], -1
	s_or_b64 s[44:45], s[44:45], exec
                                        ; implicit-def: $vgpr28
                                        ; implicit-def: $vgpr16_vgpr17
	s_and_saveexec_b64 s[50:51], s[46:47]
	s_cbranch_execz .LBB80_21
; %bb.27:                               ;   in Loop: Header=BB80_22 Depth=3
	v_lshl_add_u32 v28, v12, 3, v21
	ds_read_b64 v[16:17], v28
	s_andn2_b64 s[44:45], s[44:45], exec
	s_waitcnt lgkmcnt(0)
	v_cmp_eq_u64_e32 vcc, v[16:17], v[10:11]
	s_orn2_b64 s[48:49], vcc, exec
	s_branch .LBB80_21
.LBB80_28:                              ;   in Loop: Header=BB80_19 Depth=2
	s_or_b64 exec, exec, s[40:41]
	s_and_saveexec_b64 s[40:41], s[42:43]
	s_xor_b64 s[40:41], exec, s[40:41]
	s_cbranch_execz .LBB80_17
; %bb.29:                               ;   in Loop: Header=BB80_19 Depth=2
	v_mov_b32_e32 v12, v14
	s_branch .LBB80_17
.LBB80_30:
	s_or_b64 exec, exec, s[0:1]
.LBB80_31:
	s_andn2_b64 vcc, exec, s[4:5]
	s_cbranch_vccnz .LBB80_48
; %bb.32:
	s_waitcnt vmcnt(0)
	v_lshl_add_u64 v[0:1], v[4:5], 3, s[8:9]
	global_load_dwordx4 v[6:9], v[0:1], off
	v_subrev_co_u32_e32 v2, vcc, s31, v25
	s_nop 1
	v_subb_co_u32_e64 v3, s[0:1], 0, 0, vcc
	s_waitcnt vmcnt(0)
	v_subrev_co_u32_e32 v0, vcc, s31, v8
	s_nop 1
	v_subbrev_co_u32_e32 v1, vcc, 0, v9, vcc
	v_lshl_add_u64 v[2:3], v[6:7], 0, v[2:3]
	v_cmp_lt_i64_e32 vcc, v[2:3], v[0:1]
	s_and_saveexec_b64 s[0:1], vcc
	s_cbranch_execz .LBB80_47
; %bb.33:
	s_mov_b32 s24, s31
	s_mov_b64 s[2:3], 0
	s_branch .LBB80_36
.LBB80_34:                              ;   in Loop: Header=BB80_36 Depth=1
	s_or_b64 exec, exec, s[6:7]
.LBB80_35:                              ;   in Loop: Header=BB80_36 Depth=1
	s_or_b64 exec, exec, s[4:5]
	s_waitcnt vmcnt(0)
	v_mul_f32_e32 v6, v22, v14
	v_lshl_add_u32 v7, v8, 2, v23
	ds_add_f32 v7, v6
	v_lshl_add_u64 v[2:3], v[2:3], 0, 8
	v_cmp_ge_i64_e32 vcc, v[2:3], v[0:1]
	s_or_b64 s[2:3], vcc, s[2:3]
	s_andn2_b64 exec, exec, s[2:3]
	s_cbranch_execz .LBB80_47
.LBB80_36:                              ; =>This Loop Header: Depth=1
                                        ;     Child Loop BB80_39 Depth 2
	v_lshl_add_u64 v[6:7], v[2:3], 3, s[10:11]
	global_load_dwordx2 v[6:7], v[6:7], off
	v_lshl_add_u64 v[8:9], v[2:3], 2, s[12:13]
	global_load_dword v14, v[8:9], off
	s_waitcnt vmcnt(1)
	v_subrev_co_u32_e32 v6, vcc, s24, v6
	v_lshl_add_u32 v8, v6, 3, v6
	v_and_b32_e32 v8, 15, v8
	v_lshl_add_u32 v15, v8, 3, v21
	ds_read_b64 v[12:13], v15
	v_subbrev_co_u32_e32 v7, vcc, 0, v7, vcc
	s_waitcnt lgkmcnt(0)
	v_cmp_ne_u64_e32 vcc, v[12:13], v[6:7]
	s_and_saveexec_b64 s[4:5], vcc
	s_cbranch_execz .LBB80_35
; %bb.37:                               ;   in Loop: Header=BB80_36 Depth=1
	s_mov_b64 s[6:7], 0
                                        ; implicit-def: $sgpr8_sgpr9
                                        ; implicit-def: $sgpr16_sgpr17
	s_branch .LBB80_39
.LBB80_38:                              ;   in Loop: Header=BB80_39 Depth=2
	s_or_b64 exec, exec, s[22:23]
	s_and_b64 s[18:19], exec, s[20:21]
	s_or_b64 s[6:7], s[18:19], s[6:7]
	s_andn2_b64 s[8:9], s[8:9], exec
	s_and_b64 s[18:19], s[16:17], exec
	s_or_b64 s[8:9], s[8:9], s[18:19]
	s_andn2_b64 exec, exec, s[6:7]
	s_cbranch_execz .LBB80_45
.LBB80_39:                              ;   Parent Loop BB80_36 Depth=1
                                        ; =>  This Inner Loop Header: Depth=2
	v_mov_b64_e32 v[10:11], v[8:9]
	v_cmp_ne_u64_e32 vcc, s[26:27], v[12:13]
	s_mov_b64 s[18:19], 0
                                        ; implicit-def: $vgpr8_vgpr9
	s_and_saveexec_b64 s[20:21], vcc
	s_xor_b64 s[20:21], exec, s[20:21]
; %bb.40:                               ;   in Loop: Header=BB80_39 Depth=2
	v_add_u32_e32 v8, 1, v10
	s_mov_b64 s[18:19], exec
	v_and_b32_e32 v8, 15, v8
                                        ; implicit-def: $vgpr15
; %bb.41:                               ;   in Loop: Header=BB80_39 Depth=2
	s_andn2_saveexec_b64 s[20:21], s[20:21]
	s_cbranch_execz .LBB80_43
; %bb.42:                               ;   in Loop: Header=BB80_39 Depth=2
	v_mov_b64_e32 v[8:9], s[26:27]
	ds_cmpst_rtn_b64 v[8:9], v15, v[8:9], v[6:7]
	s_andn2_b64 s[18:19], s[18:19], exec
	s_waitcnt lgkmcnt(0)
	v_cmp_ne_u64_e32 vcc, s[26:27], v[8:9]
	s_and_b64 s[22:23], vcc, exec
	s_or_b64 s[18:19], s[18:19], s[22:23]
	v_mov_b64_e32 v[8:9], v[10:11]
.LBB80_43:                              ;   in Loop: Header=BB80_39 Depth=2
	s_or_b64 exec, exec, s[20:21]
	s_mov_b64 s[20:21], -1
	s_or_b64 s[16:17], s[16:17], exec
                                        ; implicit-def: $vgpr15
                                        ; implicit-def: $vgpr12_vgpr13
	s_and_saveexec_b64 s[22:23], s[18:19]
	s_cbranch_execz .LBB80_38
; %bb.44:                               ;   in Loop: Header=BB80_39 Depth=2
	v_lshl_add_u32 v15, v8, 3, v21
	ds_read_b64 v[12:13], v15
	s_andn2_b64 s[16:17], s[16:17], exec
	s_waitcnt lgkmcnt(0)
	v_cmp_eq_u64_e32 vcc, v[12:13], v[6:7]
	s_orn2_b64 s[20:21], vcc, exec
	s_branch .LBB80_38
.LBB80_45:                              ;   in Loop: Header=BB80_36 Depth=1
	s_or_b64 exec, exec, s[6:7]
	s_and_saveexec_b64 s[6:7], s[8:9]
	s_xor_b64 s[6:7], exec, s[6:7]
	s_cbranch_execz .LBB80_34
; %bb.46:                               ;   in Loop: Header=BB80_36 Depth=1
	v_mov_b32_e32 v8, v10
	s_branch .LBB80_34
.LBB80_47:
	s_or_b64 exec, exec, s[0:1]
.LBB80_48:
	s_waitcnt vmcnt(0)
	v_lshl_add_u64 v[0:1], v[4:5], 3, s[14:15]
	s_waitcnt lgkmcnt(0)
	global_load_dwordx2 v[0:1], v[0:1], off
	s_mov_b64 s[0:1], 0
	v_mov_b32_e32 v3, 0
	s_waitcnt vmcnt(0)
	v_subrev_co_u32_e32 v0, vcc, s30, v0
	s_nop 1
	v_subbrev_co_u32_e32 v1, vcc, 0, v1, vcc
	v_lshl_add_u64 v[0:1], v[0:1], 2, s[34:35]
	s_branch .LBB80_50
.LBB80_49:                              ;   in Loop: Header=BB80_50 Depth=1
	s_or_b64 exec, exec, s[2:3]
	v_add_co_u32_e32 v18, vcc, 8, v18
	s_xor_b64 s[2:3], vcc, -1
	s_and_b64 s[2:3], exec, s[2:3]
	v_add_u32_e32 v19, 32, v19
	s_or_b64 s[0:1], s[2:3], s[0:1]
	v_add_u32_e32 v20, 64, v20
	s_andn2_b64 exec, exec, s[0:1]
	s_cbranch_execz .LBB80_52
.LBB80_50:                              ; =>This Inner Loop Header: Depth=1
	ds_read_b64 v[4:5], v20
	s_waitcnt lgkmcnt(0)
	v_cmp_gt_i64_e32 vcc, s[26:27], v[4:5]
	s_and_saveexec_b64 s[2:3], vcc
	s_cbranch_execz .LBB80_49
; %bb.51:                               ;   in Loop: Header=BB80_50 Depth=1
	ds_read_b128 v[6:9], v21
	ds_read_b128 v[10:13], v21 offset:16
	ds_read_b128 v[14:17], v21 offset:32
	;; [unrolled: 1-line block ×7, first 2 shown]
	ds_read_b32 v42, v19
	s_waitcnt lgkmcnt(8)
	v_cmp_gt_i64_e32 vcc, v[4:5], v[6:7]
	s_nop 1
	v_cndmask_b32_e64 v2, 0, 1, vcc
	v_lshlrev_b32_e32 v2, 2, v2
	v_cmp_gt_i64_e32 vcc, v[4:5], v[8:9]
	v_lshl_add_u64 v[6:7], v[0:1], 0, v[2:3]
	s_nop 0
	v_cndmask_b32_e64 v2, 0, 1, vcc
	v_lshlrev_b32_e32 v2, 2, v2
	s_waitcnt lgkmcnt(7)
	v_cmp_gt_i64_e32 vcc, v[4:5], v[10:11]
	v_lshl_add_u64 v[6:7], v[6:7], 0, v[2:3]
	s_nop 0
	v_cndmask_b32_e64 v2, 0, 1, vcc
	v_lshlrev_b32_e32 v2, 2, v2
	v_cmp_gt_i64_e32 vcc, v[4:5], v[12:13]
	v_lshl_add_u64 v[6:7], v[6:7], 0, v[2:3]
	s_nop 0
	v_cndmask_b32_e64 v2, 0, 1, vcc
	v_lshlrev_b32_e32 v2, 2, v2
	s_waitcnt lgkmcnt(6)
	v_cmp_gt_i64_e32 vcc, v[4:5], v[14:15]
	v_lshl_add_u64 v[6:7], v[6:7], 0, v[2:3]
	;; [unrolled: 11-line block ×7, first 2 shown]
	s_nop 0
	v_cndmask_b32_e64 v2, 0, 1, vcc
	v_lshlrev_b32_e32 v2, 2, v2
	v_cmp_gt_i64_e32 vcc, v[4:5], v[40:41]
	v_lshl_add_u64 v[6:7], v[6:7], 0, v[2:3]
	s_nop 0
	v_cndmask_b32_e64 v2, 0, 1, vcc
	v_lshlrev_b32_e32 v2, 2, v2
	v_lshl_add_u64 v[4:5], v[6:7], 0, v[2:3]
	s_waitcnt lgkmcnt(0)
	global_store_dword v[4:5], v42, off
	s_branch .LBB80_49
.LBB80_52:
	s_endpgm
	.section	.rodata,"a",@progbits
	.p2align	6, 0x0
	.amdhsa_kernel _ZN9rocsparseL38csrgemm_numeric_fill_wf_per_row_kernelILj256ELj8ELj16ELj137EllfEEvT4_S1_PKS1_S3_NS_24const_host_device_scalarIT5_EEPKT3_S3_PKS5_S9_S3_SB_S6_S9_S3_SB_S9_S3_PS5_21rocsparse_index_base_SD_SD_SD_bbb
		.amdhsa_group_segment_fixed_size 6144
		.amdhsa_private_segment_fixed_size 0
		.amdhsa_kernarg_size 164
		.amdhsa_user_sgpr_count 2
		.amdhsa_user_sgpr_dispatch_ptr 0
		.amdhsa_user_sgpr_queue_ptr 0
		.amdhsa_user_sgpr_kernarg_segment_ptr 1
		.amdhsa_user_sgpr_dispatch_id 0
		.amdhsa_user_sgpr_kernarg_preload_length 0
		.amdhsa_user_sgpr_kernarg_preload_offset 0
		.amdhsa_user_sgpr_private_segment_size 0
		.amdhsa_uses_dynamic_stack 0
		.amdhsa_enable_private_segment 0
		.amdhsa_system_sgpr_workgroup_id_x 1
		.amdhsa_system_sgpr_workgroup_id_y 0
		.amdhsa_system_sgpr_workgroup_id_z 0
		.amdhsa_system_sgpr_workgroup_info 0
		.amdhsa_system_vgpr_workitem_id 0
		.amdhsa_next_free_vgpr 43
		.amdhsa_next_free_sgpr 52
		.amdhsa_accum_offset 44
		.amdhsa_reserve_vcc 1
		.amdhsa_float_round_mode_32 0
		.amdhsa_float_round_mode_16_64 0
		.amdhsa_float_denorm_mode_32 3
		.amdhsa_float_denorm_mode_16_64 3
		.amdhsa_dx10_clamp 1
		.amdhsa_ieee_mode 1
		.amdhsa_fp16_overflow 0
		.amdhsa_tg_split 0
		.amdhsa_exception_fp_ieee_invalid_op 0
		.amdhsa_exception_fp_denorm_src 0
		.amdhsa_exception_fp_ieee_div_zero 0
		.amdhsa_exception_fp_ieee_overflow 0
		.amdhsa_exception_fp_ieee_underflow 0
		.amdhsa_exception_fp_ieee_inexact 0
		.amdhsa_exception_int_div_zero 0
	.end_amdhsa_kernel
	.section	.text._ZN9rocsparseL38csrgemm_numeric_fill_wf_per_row_kernelILj256ELj8ELj16ELj137EllfEEvT4_S1_PKS1_S3_NS_24const_host_device_scalarIT5_EEPKT3_S3_PKS5_S9_S3_SB_S6_S9_S3_SB_S9_S3_PS5_21rocsparse_index_base_SD_SD_SD_bbb,"axG",@progbits,_ZN9rocsparseL38csrgemm_numeric_fill_wf_per_row_kernelILj256ELj8ELj16ELj137EllfEEvT4_S1_PKS1_S3_NS_24const_host_device_scalarIT5_EEPKT3_S3_PKS5_S9_S3_SB_S6_S9_S3_SB_S9_S3_PS5_21rocsparse_index_base_SD_SD_SD_bbb,comdat
.Lfunc_end80:
	.size	_ZN9rocsparseL38csrgemm_numeric_fill_wf_per_row_kernelILj256ELj8ELj16ELj137EllfEEvT4_S1_PKS1_S3_NS_24const_host_device_scalarIT5_EEPKT3_S3_PKS5_S9_S3_SB_S6_S9_S3_SB_S9_S3_PS5_21rocsparse_index_base_SD_SD_SD_bbb, .Lfunc_end80-_ZN9rocsparseL38csrgemm_numeric_fill_wf_per_row_kernelILj256ELj8ELj16ELj137EllfEEvT4_S1_PKS1_S3_NS_24const_host_device_scalarIT5_EEPKT3_S3_PKS5_S9_S3_SB_S6_S9_S3_SB_S9_S3_PS5_21rocsparse_index_base_SD_SD_SD_bbb
                                        ; -- End function
	.set _ZN9rocsparseL38csrgemm_numeric_fill_wf_per_row_kernelILj256ELj8ELj16ELj137EllfEEvT4_S1_PKS1_S3_NS_24const_host_device_scalarIT5_EEPKT3_S3_PKS5_S9_S3_SB_S6_S9_S3_SB_S9_S3_PS5_21rocsparse_index_base_SD_SD_SD_bbb.num_vgpr, 43
	.set _ZN9rocsparseL38csrgemm_numeric_fill_wf_per_row_kernelILj256ELj8ELj16ELj137EllfEEvT4_S1_PKS1_S3_NS_24const_host_device_scalarIT5_EEPKT3_S3_PKS5_S9_S3_SB_S6_S9_S3_SB_S9_S3_PS5_21rocsparse_index_base_SD_SD_SD_bbb.num_agpr, 0
	.set _ZN9rocsparseL38csrgemm_numeric_fill_wf_per_row_kernelILj256ELj8ELj16ELj137EllfEEvT4_S1_PKS1_S3_NS_24const_host_device_scalarIT5_EEPKT3_S3_PKS5_S9_S3_SB_S6_S9_S3_SB_S9_S3_PS5_21rocsparse_index_base_SD_SD_SD_bbb.numbered_sgpr, 52
	.set _ZN9rocsparseL38csrgemm_numeric_fill_wf_per_row_kernelILj256ELj8ELj16ELj137EllfEEvT4_S1_PKS1_S3_NS_24const_host_device_scalarIT5_EEPKT3_S3_PKS5_S9_S3_SB_S6_S9_S3_SB_S9_S3_PS5_21rocsparse_index_base_SD_SD_SD_bbb.num_named_barrier, 0
	.set _ZN9rocsparseL38csrgemm_numeric_fill_wf_per_row_kernelILj256ELj8ELj16ELj137EllfEEvT4_S1_PKS1_S3_NS_24const_host_device_scalarIT5_EEPKT3_S3_PKS5_S9_S3_SB_S6_S9_S3_SB_S9_S3_PS5_21rocsparse_index_base_SD_SD_SD_bbb.private_seg_size, 0
	.set _ZN9rocsparseL38csrgemm_numeric_fill_wf_per_row_kernelILj256ELj8ELj16ELj137EllfEEvT4_S1_PKS1_S3_NS_24const_host_device_scalarIT5_EEPKT3_S3_PKS5_S9_S3_SB_S6_S9_S3_SB_S9_S3_PS5_21rocsparse_index_base_SD_SD_SD_bbb.uses_vcc, 1
	.set _ZN9rocsparseL38csrgemm_numeric_fill_wf_per_row_kernelILj256ELj8ELj16ELj137EllfEEvT4_S1_PKS1_S3_NS_24const_host_device_scalarIT5_EEPKT3_S3_PKS5_S9_S3_SB_S6_S9_S3_SB_S9_S3_PS5_21rocsparse_index_base_SD_SD_SD_bbb.uses_flat_scratch, 0
	.set _ZN9rocsparseL38csrgemm_numeric_fill_wf_per_row_kernelILj256ELj8ELj16ELj137EllfEEvT4_S1_PKS1_S3_NS_24const_host_device_scalarIT5_EEPKT3_S3_PKS5_S9_S3_SB_S6_S9_S3_SB_S9_S3_PS5_21rocsparse_index_base_SD_SD_SD_bbb.has_dyn_sized_stack, 0
	.set _ZN9rocsparseL38csrgemm_numeric_fill_wf_per_row_kernelILj256ELj8ELj16ELj137EllfEEvT4_S1_PKS1_S3_NS_24const_host_device_scalarIT5_EEPKT3_S3_PKS5_S9_S3_SB_S6_S9_S3_SB_S9_S3_PS5_21rocsparse_index_base_SD_SD_SD_bbb.has_recursion, 0
	.set _ZN9rocsparseL38csrgemm_numeric_fill_wf_per_row_kernelILj256ELj8ELj16ELj137EllfEEvT4_S1_PKS1_S3_NS_24const_host_device_scalarIT5_EEPKT3_S3_PKS5_S9_S3_SB_S6_S9_S3_SB_S9_S3_PS5_21rocsparse_index_base_SD_SD_SD_bbb.has_indirect_call, 0
	.section	.AMDGPU.csdata,"",@progbits
; Kernel info:
; codeLenInByte = 2132
; TotalNumSgprs: 58
; NumVgprs: 43
; NumAgprs: 0
; TotalNumVgprs: 43
; ScratchSize: 0
; MemoryBound: 0
; FloatMode: 240
; IeeeMode: 1
; LDSByteSize: 6144 bytes/workgroup (compile time only)
; SGPRBlocks: 7
; VGPRBlocks: 5
; NumSGPRsForWavesPerEU: 58
; NumVGPRsForWavesPerEU: 43
; AccumOffset: 44
; Occupancy: 8
; WaveLimiterHint : 1
; COMPUTE_PGM_RSRC2:SCRATCH_EN: 0
; COMPUTE_PGM_RSRC2:USER_SGPR: 2
; COMPUTE_PGM_RSRC2:TRAP_HANDLER: 0
; COMPUTE_PGM_RSRC2:TGID_X_EN: 1
; COMPUTE_PGM_RSRC2:TGID_Y_EN: 0
; COMPUTE_PGM_RSRC2:TGID_Z_EN: 0
; COMPUTE_PGM_RSRC2:TIDIG_COMP_CNT: 0
; COMPUTE_PGM_RSRC3_GFX90A:ACCUM_OFFSET: 10
; COMPUTE_PGM_RSRC3_GFX90A:TG_SPLIT: 0
	.section	.text._ZN9rocsparseL38csrgemm_numeric_fill_wf_per_row_kernelILj256ELj16ELj32ELj137EllfEEvT4_S1_PKS1_S3_NS_24const_host_device_scalarIT5_EEPKT3_S3_PKS5_S9_S3_SB_S6_S9_S3_SB_S9_S3_PS5_21rocsparse_index_base_SD_SD_SD_bbb,"axG",@progbits,_ZN9rocsparseL38csrgemm_numeric_fill_wf_per_row_kernelILj256ELj16ELj32ELj137EllfEEvT4_S1_PKS1_S3_NS_24const_host_device_scalarIT5_EEPKT3_S3_PKS5_S9_S3_SB_S6_S9_S3_SB_S9_S3_PS5_21rocsparse_index_base_SD_SD_SD_bbb,comdat
	.globl	_ZN9rocsparseL38csrgemm_numeric_fill_wf_per_row_kernelILj256ELj16ELj32ELj137EllfEEvT4_S1_PKS1_S3_NS_24const_host_device_scalarIT5_EEPKT3_S3_PKS5_S9_S3_SB_S6_S9_S3_SB_S9_S3_PS5_21rocsparse_index_base_SD_SD_SD_bbb ; -- Begin function _ZN9rocsparseL38csrgemm_numeric_fill_wf_per_row_kernelILj256ELj16ELj32ELj137EllfEEvT4_S1_PKS1_S3_NS_24const_host_device_scalarIT5_EEPKT3_S3_PKS5_S9_S3_SB_S6_S9_S3_SB_S9_S3_PS5_21rocsparse_index_base_SD_SD_SD_bbb
	.p2align	8
	.type	_ZN9rocsparseL38csrgemm_numeric_fill_wf_per_row_kernelILj256ELj16ELj32ELj137EllfEEvT4_S1_PKS1_S3_NS_24const_host_device_scalarIT5_EEPKT3_S3_PKS5_S9_S3_SB_S6_S9_S3_SB_S9_S3_PS5_21rocsparse_index_base_SD_SD_SD_bbb,@function
_ZN9rocsparseL38csrgemm_numeric_fill_wf_per_row_kernelILj256ELj16ELj32ELj137EllfEEvT4_S1_PKS1_S3_NS_24const_host_device_scalarIT5_EEPKT3_S3_PKS5_S9_S3_SB_S6_S9_S3_SB_S9_S3_PS5_21rocsparse_index_base_SD_SD_SD_bbb: ; @_ZN9rocsparseL38csrgemm_numeric_fill_wf_per_row_kernelILj256ELj16ELj32ELj137EllfEEvT4_S1_PKS1_S3_NS_24const_host_device_scalarIT5_EEPKT3_S3_PKS5_S9_S3_SB_S6_S9_S3_SB_S9_S3_PS5_21rocsparse_index_base_SD_SD_SD_bbb
; %bb.0:
	s_load_dword s3, s[0:1], 0xa0
	s_load_dwordx4 s[28:31], s[0:1], 0x90
	s_load_dwordx2 s[4:5], s[0:1], 0x20
	s_load_dwordx2 s[24:25], s[0:1], 0x58
	s_waitcnt lgkmcnt(0)
	s_bitcmp1_b32 s3, 0
	s_cselect_b64 s[6:7], -1, 0
	s_bitcmp1_b32 s3, 16
	s_cselect_b64 s[26:27], -1, 0
	s_xor_b64 s[8:9], s[6:7], -1
	s_or_b64 s[8:9], s[26:27], s[8:9]
	s_and_b64 vcc, exec, s[8:9]
	s_cbranch_vccnz .LBB81_2
; %bb.1:
	s_load_dword s4, s[4:5], 0x0
	s_waitcnt lgkmcnt(0)
	v_mov_b32_e32 v24, s4
	s_branch .LBB81_3
.LBB81_2:
	v_mov_b32_e32 v1, s4
	v_cndmask_b32_e64 v24, 0, v1, s[6:7]
.LBB81_3:
	s_load_dwordx2 s[34:35], s[0:1], 0x88
	s_load_dwordx8 s[8:15], s[0:1], 0x60
	s_load_dwordx4 s[36:39], s[0:1], 0x48
	s_load_dwordx4 s[40:43], s[0:1], 0x10
	s_load_dwordx8 s[16:23], s[0:1], 0x28
	s_bitcmp1_b32 s3, 8
	s_cselect_b64 s[4:5], -1, 0
	s_xor_b64 s[44:45], s[4:5], -1
	s_or_b64 s[26:27], s[26:27], s[44:45]
	s_and_b64 vcc, exec, s[26:27]
	s_cbranch_vccnz .LBB81_5
; %bb.4:
	s_load_dword s3, s[24:25], 0x0
	s_waitcnt lgkmcnt(0)
	v_mov_b32_e32 v22, s3
	s_branch .LBB81_6
.LBB81_5:
	v_mov_b32_e32 v1, s24
	v_cndmask_b32_e64 v22, 0, v1, s[4:5]
.LBB81_6:
	s_load_dwordx4 s[24:27], s[0:1], 0x0
	v_and_b32_e32 v25, 15, v0
	v_lshrrev_b32_e32 v0, 4, v0
	v_lshlrev_b32_e32 v1, 7, v0
	v_lshlrev_b32_e32 v2, 2, v25
	s_movk_i32 s0, 0x1000
	v_or3_b32 v19, v1, v2, s0
	v_lshlrev_b32_e32 v1, 3, v25
	v_or_b32_e32 v18, -16, v25
	v_lshl_or_b32 v20, v0, 8, v1
	s_mov_b64 s[0:1], 0
	s_waitcnt lgkmcnt(0)
	v_mov_b64_e32 v[6:7], s[26:27]
	v_mov_b32_e32 v1, 0
	v_mov_b32_e32 v2, v20
	v_mov_b32_e32 v3, v19
	v_mov_b32_e32 v4, v18
.LBB81_7:                               ; =>This Inner Loop Header: Depth=1
	v_add_co_u32_e32 v4, vcc, 16, v4
	s_xor_b64 s[44:45], vcc, -1
	s_and_b64 s[44:45], exec, s[44:45]
	ds_write_b64 v2, v[6:7]
	ds_write_b32 v3, v1
	v_add_u32_e32 v3, 64, v3
	s_or_b64 s[0:1], s[44:45], s[0:1]
	v_add_u32_e32 v2, 0x80, v2
	s_andn2_b64 exec, exec, s[0:1]
	s_cbranch_execnz .LBB81_7
; %bb.8:
	s_or_b64 exec, exec, s[0:1]
	s_lshl_b32 s0, s2, 4
	s_and_b32 s0, s0, 0xffffff0
	v_or_b32_e32 v4, s0, v0
	v_mov_b32_e32 v5, 0
	v_cmp_gt_i64_e32 vcc, s[24:25], v[4:5]
	s_waitcnt lgkmcnt(0)
	s_and_saveexec_b64 s[0:1], vcc
	s_cbranch_execz .LBB81_52
; %bb.9:
	s_cmp_eq_u64 s[42:43], 0
	s_cbranch_scc1 .LBB81_11
; %bb.10:
	s_load_dwordx2 s[0:1], s[40:41], 0x0
	v_lshlrev_b32_e32 v1, 3, v4
	s_waitcnt lgkmcnt(0)
	s_lshl_b64 s[0:1], s[0:1], 3
	s_add_u32 s0, s42, s0
	s_addc_u32 s1, s43, s1
	global_load_dwordx2 v[4:5], v1, s[0:1]
.LBB81_11:
	v_mov_b32_e32 v1, 0x1000
	v_lshlrev_b32_e32 v21, 8, v0
	s_andn2_b64 vcc, exec, s[6:7]
	v_lshl_or_b32 v23, v0, 7, v1
	s_cbranch_vccnz .LBB81_31
; %bb.12:
	s_waitcnt vmcnt(0)
	v_lshl_add_u64 v[0:1], v[4:5], 3, s[16:17]
	global_load_dwordx4 v[0:3], v[0:1], off
	v_subrev_co_u32_e32 v8, vcc, s28, v25
	s_nop 1
	v_subb_co_u32_e64 v9, s[0:1], 0, 0, vcc
	s_waitcnt vmcnt(0)
	v_subrev_co_u32_e32 v6, vcc, s28, v2
	s_nop 1
	v_subbrev_co_u32_e32 v7, vcc, 0, v3, vcc
	v_lshl_add_u64 v[8:9], v[0:1], 0, v[8:9]
	v_cmp_lt_i64_e32 vcc, v[8:9], v[6:7]
	s_and_saveexec_b64 s[0:1], vcc
	s_cbranch_execz .LBB81_30
; %bb.13:
	s_mov_b64 s[2:3], 0
	s_branch .LBB81_15
.LBB81_14:                              ;   in Loop: Header=BB81_15 Depth=1
	s_or_b64 exec, exec, s[6:7]
	v_lshl_add_u64 v[8:9], v[8:9], 0, 16
	v_cmp_ge_i64_e32 vcc, v[8:9], v[6:7]
	s_or_b64 s[2:3], vcc, s[2:3]
	s_andn2_b64 exec, exec, s[2:3]
	s_cbranch_execz .LBB81_30
.LBB81_15:                              ; =>This Loop Header: Depth=1
                                        ;     Child Loop BB81_19 Depth 2
                                        ;       Child Loop BB81_22 Depth 3
	v_lshl_add_u64 v[0:1], v[8:9], 3, s[18:19]
	global_load_dwordx2 v[0:1], v[0:1], off
	s_waitcnt vmcnt(0)
	v_subrev_co_u32_e32 v0, vcc, s28, v0
	s_nop 1
	v_subbrev_co_u32_e32 v1, vcc, 0, v1, vcc
	v_lshl_add_u64 v[0:1], v[0:1], 3, s[22:23]
	global_load_dwordx4 v[0:3], v[0:1], off
	s_waitcnt vmcnt(0)
	v_cmp_lt_i64_e32 vcc, v[0:1], v[2:3]
	s_and_saveexec_b64 s[6:7], vcc
	s_cbranch_execz .LBB81_14
; %bb.16:                               ;   in Loop: Header=BB81_15 Depth=1
	v_lshl_add_u64 v[10:11], v[8:9], 2, s[20:21]
	global_load_dword v10, v[10:11], off
	v_subrev_co_u32_e32 v2, vcc, s29, v2
	s_mov_b64 s[16:17], 0
	s_nop 0
	v_subbrev_co_u32_e32 v3, vcc, 0, v3, vcc
	v_subrev_co_u32_e32 v0, vcc, s29, v0
	s_waitcnt vmcnt(0)
	v_mul_f32_e32 v26, v24, v10
	v_subbrev_co_u32_e32 v1, vcc, 0, v1, vcc
	s_branch .LBB81_19
.LBB81_17:                              ;   in Loop: Header=BB81_19 Depth=2
	s_or_b64 exec, exec, s[40:41]
.LBB81_18:                              ;   in Loop: Header=BB81_19 Depth=2
	s_or_b64 exec, exec, s[24:25]
	s_waitcnt vmcnt(0)
	v_mul_f32_e32 v10, v26, v27
	v_lshl_add_u32 v11, v12, 2, v23
	ds_add_f32 v11, v10
	v_lshl_add_u64 v[0:1], v[0:1], 0, 1
	v_cmp_ge_i64_e32 vcc, v[0:1], v[2:3]
	s_or_b64 s[16:17], vcc, s[16:17]
	s_andn2_b64 exec, exec, s[16:17]
	s_cbranch_execz .LBB81_14
.LBB81_19:                              ;   Parent Loop BB81_15 Depth=1
                                        ; =>  This Loop Header: Depth=2
                                        ;       Child Loop BB81_22 Depth 3
	v_lshl_add_u64 v[10:11], v[0:1], 3, s[36:37]
	global_load_dwordx2 v[10:11], v[10:11], off
	v_lshl_add_u64 v[12:13], v[0:1], 2, s[38:39]
	global_load_dword v27, v[12:13], off
	s_waitcnt vmcnt(1)
	v_subrev_co_u32_e32 v10, vcc, s29, v10
	v_lshl_add_u32 v12, v10, 3, v10
	v_and_b32_e32 v12, 31, v12
	v_lshl_add_u32 v28, v12, 3, v21
	ds_read_b64 v[16:17], v28
	v_subbrev_co_u32_e32 v11, vcc, 0, v11, vcc
	s_waitcnt lgkmcnt(0)
	v_cmp_ne_u64_e32 vcc, v[16:17], v[10:11]
	s_and_saveexec_b64 s[24:25], vcc
	s_cbranch_execz .LBB81_18
; %bb.20:                               ;   in Loop: Header=BB81_19 Depth=2
	s_mov_b64 s[40:41], 0
                                        ; implicit-def: $sgpr42_sgpr43
                                        ; implicit-def: $sgpr44_sgpr45
	s_branch .LBB81_22
.LBB81_21:                              ;   in Loop: Header=BB81_22 Depth=3
	s_or_b64 exec, exec, s[50:51]
	s_and_b64 s[46:47], exec, s[48:49]
	s_or_b64 s[40:41], s[46:47], s[40:41]
	s_andn2_b64 s[42:43], s[42:43], exec
	s_and_b64 s[46:47], s[44:45], exec
	s_or_b64 s[42:43], s[42:43], s[46:47]
	s_andn2_b64 exec, exec, s[40:41]
	s_cbranch_execz .LBB81_28
.LBB81_22:                              ;   Parent Loop BB81_15 Depth=1
                                        ;     Parent Loop BB81_19 Depth=2
                                        ; =>    This Inner Loop Header: Depth=3
	v_mov_b64_e32 v[14:15], v[12:13]
	v_cmp_ne_u64_e32 vcc, s[26:27], v[16:17]
	s_mov_b64 s[46:47], 0
                                        ; implicit-def: $vgpr12_vgpr13
	s_and_saveexec_b64 s[48:49], vcc
	s_xor_b64 s[48:49], exec, s[48:49]
; %bb.23:                               ;   in Loop: Header=BB81_22 Depth=3
	v_add_u32_e32 v12, 1, v14
	s_mov_b64 s[46:47], exec
	v_and_b32_e32 v12, 31, v12
                                        ; implicit-def: $vgpr28
; %bb.24:                               ;   in Loop: Header=BB81_22 Depth=3
	s_andn2_saveexec_b64 s[48:49], s[48:49]
	s_cbranch_execz .LBB81_26
; %bb.25:                               ;   in Loop: Header=BB81_22 Depth=3
	v_mov_b64_e32 v[12:13], s[26:27]
	ds_cmpst_rtn_b64 v[12:13], v28, v[12:13], v[10:11]
	s_andn2_b64 s[46:47], s[46:47], exec
	s_waitcnt lgkmcnt(0)
	v_cmp_ne_u64_e32 vcc, s[26:27], v[12:13]
	s_and_b64 s[50:51], vcc, exec
	s_or_b64 s[46:47], s[46:47], s[50:51]
	v_mov_b64_e32 v[12:13], v[14:15]
.LBB81_26:                              ;   in Loop: Header=BB81_22 Depth=3
	s_or_b64 exec, exec, s[48:49]
	s_mov_b64 s[48:49], -1
	s_or_b64 s[44:45], s[44:45], exec
                                        ; implicit-def: $vgpr28
                                        ; implicit-def: $vgpr16_vgpr17
	s_and_saveexec_b64 s[50:51], s[46:47]
	s_cbranch_execz .LBB81_21
; %bb.27:                               ;   in Loop: Header=BB81_22 Depth=3
	v_lshl_add_u32 v28, v12, 3, v21
	ds_read_b64 v[16:17], v28
	s_andn2_b64 s[44:45], s[44:45], exec
	s_waitcnt lgkmcnt(0)
	v_cmp_eq_u64_e32 vcc, v[16:17], v[10:11]
	s_orn2_b64 s[48:49], vcc, exec
	s_branch .LBB81_21
.LBB81_28:                              ;   in Loop: Header=BB81_19 Depth=2
	s_or_b64 exec, exec, s[40:41]
	s_and_saveexec_b64 s[40:41], s[42:43]
	s_xor_b64 s[40:41], exec, s[40:41]
	s_cbranch_execz .LBB81_17
; %bb.29:                               ;   in Loop: Header=BB81_19 Depth=2
	v_mov_b32_e32 v12, v14
	s_branch .LBB81_17
.LBB81_30:
	s_or_b64 exec, exec, s[0:1]
.LBB81_31:
	s_andn2_b64 vcc, exec, s[4:5]
	s_cbranch_vccnz .LBB81_48
; %bb.32:
	s_waitcnt vmcnt(0)
	v_lshl_add_u64 v[0:1], v[4:5], 3, s[8:9]
	global_load_dwordx4 v[6:9], v[0:1], off
	v_subrev_co_u32_e32 v2, vcc, s31, v25
	s_nop 1
	v_subb_co_u32_e64 v3, s[0:1], 0, 0, vcc
	s_waitcnt vmcnt(0)
	v_subrev_co_u32_e32 v0, vcc, s31, v8
	s_nop 1
	v_subbrev_co_u32_e32 v1, vcc, 0, v9, vcc
	v_lshl_add_u64 v[2:3], v[6:7], 0, v[2:3]
	v_cmp_lt_i64_e32 vcc, v[2:3], v[0:1]
	s_and_saveexec_b64 s[0:1], vcc
	s_cbranch_execz .LBB81_47
; %bb.33:
	s_mov_b32 s24, s31
	s_mov_b64 s[2:3], 0
	s_branch .LBB81_36
.LBB81_34:                              ;   in Loop: Header=BB81_36 Depth=1
	s_or_b64 exec, exec, s[6:7]
.LBB81_35:                              ;   in Loop: Header=BB81_36 Depth=1
	s_or_b64 exec, exec, s[4:5]
	s_waitcnt vmcnt(0)
	v_mul_f32_e32 v6, v22, v14
	v_lshl_add_u32 v7, v8, 2, v23
	ds_add_f32 v7, v6
	v_lshl_add_u64 v[2:3], v[2:3], 0, 16
	v_cmp_ge_i64_e32 vcc, v[2:3], v[0:1]
	s_or_b64 s[2:3], vcc, s[2:3]
	s_andn2_b64 exec, exec, s[2:3]
	s_cbranch_execz .LBB81_47
.LBB81_36:                              ; =>This Loop Header: Depth=1
                                        ;     Child Loop BB81_39 Depth 2
	v_lshl_add_u64 v[6:7], v[2:3], 3, s[10:11]
	global_load_dwordx2 v[6:7], v[6:7], off
	v_lshl_add_u64 v[8:9], v[2:3], 2, s[12:13]
	global_load_dword v14, v[8:9], off
	s_waitcnt vmcnt(1)
	v_subrev_co_u32_e32 v6, vcc, s24, v6
	v_lshl_add_u32 v8, v6, 3, v6
	v_and_b32_e32 v8, 31, v8
	v_lshl_add_u32 v15, v8, 3, v21
	ds_read_b64 v[12:13], v15
	v_subbrev_co_u32_e32 v7, vcc, 0, v7, vcc
	s_waitcnt lgkmcnt(0)
	v_cmp_ne_u64_e32 vcc, v[12:13], v[6:7]
	s_and_saveexec_b64 s[4:5], vcc
	s_cbranch_execz .LBB81_35
; %bb.37:                               ;   in Loop: Header=BB81_36 Depth=1
	s_mov_b64 s[6:7], 0
                                        ; implicit-def: $sgpr8_sgpr9
                                        ; implicit-def: $sgpr16_sgpr17
	s_branch .LBB81_39
.LBB81_38:                              ;   in Loop: Header=BB81_39 Depth=2
	s_or_b64 exec, exec, s[22:23]
	s_and_b64 s[18:19], exec, s[20:21]
	s_or_b64 s[6:7], s[18:19], s[6:7]
	s_andn2_b64 s[8:9], s[8:9], exec
	s_and_b64 s[18:19], s[16:17], exec
	s_or_b64 s[8:9], s[8:9], s[18:19]
	s_andn2_b64 exec, exec, s[6:7]
	s_cbranch_execz .LBB81_45
.LBB81_39:                              ;   Parent Loop BB81_36 Depth=1
                                        ; =>  This Inner Loop Header: Depth=2
	v_mov_b64_e32 v[10:11], v[8:9]
	v_cmp_ne_u64_e32 vcc, s[26:27], v[12:13]
	s_mov_b64 s[18:19], 0
                                        ; implicit-def: $vgpr8_vgpr9
	s_and_saveexec_b64 s[20:21], vcc
	s_xor_b64 s[20:21], exec, s[20:21]
; %bb.40:                               ;   in Loop: Header=BB81_39 Depth=2
	v_add_u32_e32 v8, 1, v10
	s_mov_b64 s[18:19], exec
	v_and_b32_e32 v8, 31, v8
                                        ; implicit-def: $vgpr15
; %bb.41:                               ;   in Loop: Header=BB81_39 Depth=2
	s_andn2_saveexec_b64 s[20:21], s[20:21]
	s_cbranch_execz .LBB81_43
; %bb.42:                               ;   in Loop: Header=BB81_39 Depth=2
	v_mov_b64_e32 v[8:9], s[26:27]
	ds_cmpst_rtn_b64 v[8:9], v15, v[8:9], v[6:7]
	s_andn2_b64 s[18:19], s[18:19], exec
	s_waitcnt lgkmcnt(0)
	v_cmp_ne_u64_e32 vcc, s[26:27], v[8:9]
	s_and_b64 s[22:23], vcc, exec
	s_or_b64 s[18:19], s[18:19], s[22:23]
	v_mov_b64_e32 v[8:9], v[10:11]
.LBB81_43:                              ;   in Loop: Header=BB81_39 Depth=2
	s_or_b64 exec, exec, s[20:21]
	s_mov_b64 s[20:21], -1
	s_or_b64 s[16:17], s[16:17], exec
                                        ; implicit-def: $vgpr15
                                        ; implicit-def: $vgpr12_vgpr13
	s_and_saveexec_b64 s[22:23], s[18:19]
	s_cbranch_execz .LBB81_38
; %bb.44:                               ;   in Loop: Header=BB81_39 Depth=2
	v_lshl_add_u32 v15, v8, 3, v21
	ds_read_b64 v[12:13], v15
	s_andn2_b64 s[16:17], s[16:17], exec
	s_waitcnt lgkmcnt(0)
	v_cmp_eq_u64_e32 vcc, v[12:13], v[6:7]
	s_orn2_b64 s[20:21], vcc, exec
	s_branch .LBB81_38
.LBB81_45:                              ;   in Loop: Header=BB81_36 Depth=1
	s_or_b64 exec, exec, s[6:7]
	s_and_saveexec_b64 s[6:7], s[8:9]
	s_xor_b64 s[6:7], exec, s[6:7]
	s_cbranch_execz .LBB81_34
; %bb.46:                               ;   in Loop: Header=BB81_36 Depth=1
	v_mov_b32_e32 v8, v10
	s_branch .LBB81_34
.LBB81_47:
	s_or_b64 exec, exec, s[0:1]
.LBB81_48:
	s_waitcnt vmcnt(0)
	v_lshl_add_u64 v[0:1], v[4:5], 3, s[14:15]
	s_waitcnt lgkmcnt(0)
	global_load_dwordx2 v[0:1], v[0:1], off
	s_mov_b64 s[14:15], 0
	v_mov_b32_e32 v3, 0
	s_waitcnt vmcnt(0)
	v_subrev_co_u32_e32 v0, vcc, s30, v0
	s_nop 1
	v_subbrev_co_u32_e32 v1, vcc, 0, v1, vcc
	v_lshl_add_u64 v[0:1], v[0:1], 2, s[34:35]
	s_branch .LBB81_50
.LBB81_49:                              ;   in Loop: Header=BB81_50 Depth=1
	s_or_b64 exec, exec, s[16:17]
	v_add_co_u32_e32 v18, vcc, 16, v18
	s_xor_b64 s[0:1], vcc, -1
	s_and_b64 s[0:1], exec, s[0:1]
	v_add_u32_e32 v19, 64, v19
	s_or_b64 s[14:15], s[0:1], s[14:15]
	v_add_u32_e32 v20, 0x80, v20
	s_andn2_b64 exec, exec, s[14:15]
	s_cbranch_execz .LBB81_52
.LBB81_50:                              ; =>This Inner Loop Header: Depth=1
	ds_read_b64 v[4:5], v20
	s_waitcnt lgkmcnt(0)
	v_cmp_gt_i64_e32 vcc, s[26:27], v[4:5]
	s_and_saveexec_b64 s[16:17], vcc
	s_cbranch_execz .LBB81_49
; %bb.51:                               ;   in Loop: Header=BB81_50 Depth=1
	ds_read_b128 v[6:9], v21
	ds_read_b128 v[10:13], v21 offset:16
	ds_read_b128 v[14:17], v21 offset:32
	;; [unrolled: 1-line block ×3, first 2 shown]
	s_waitcnt lgkmcnt(3)
	v_cmp_gt_i64_e64 s[12:13], v[4:5], v[6:7]
	v_cmp_gt_i64_e64 s[8:9], v[4:5], v[8:9]
	s_nop 0
	v_cndmask_b32_e64 v2, 0, 1, s[12:13]
	v_lshlrev_b32_e32 v2, 2, v2
	v_lshl_add_u64 v[58:59], v[0:1], 0, v[2:3]
	v_cndmask_b32_e64 v2, 0, 1, s[8:9]
	s_waitcnt lgkmcnt(2)
	v_cmp_gt_i64_e64 s[10:11], v[4:5], v[10:11]
	v_lshlrev_b32_e32 v2, 2, v2
	v_lshl_add_u64 v[58:59], v[58:59], 0, v[2:3]
	v_cndmask_b32_e64 v2, 0, 1, s[10:11]
	v_cmp_gt_i64_e64 s[4:5], v[4:5], v[12:13]
	v_lshlrev_b32_e32 v2, 2, v2
	v_lshl_add_u64 v[58:59], v[58:59], 0, v[2:3]
	v_cndmask_b32_e64 v2, 0, 1, s[4:5]
	s_waitcnt lgkmcnt(1)
	v_cmp_gt_i64_e64 s[6:7], v[4:5], v[14:15]
	v_lshlrev_b32_e32 v2, 2, v2
	v_lshl_add_u64 v[58:59], v[58:59], 0, v[2:3]
	v_cndmask_b32_e64 v2, 0, 1, s[6:7]
	v_cmp_gt_i64_e64 s[0:1], v[4:5], v[16:17]
	v_lshlrev_b32_e32 v2, 2, v2
	v_lshl_add_u64 v[58:59], v[58:59], 0, v[2:3]
	v_cndmask_b32_e64 v2, 0, 1, s[0:1]
	s_waitcnt lgkmcnt(0)
	v_cmp_gt_i64_e64 s[2:3], v[4:5], v[22:23]
	v_lshlrev_b32_e32 v2, 2, v2
	v_lshl_add_u64 v[58:59], v[58:59], 0, v[2:3]
	v_cndmask_b32_e64 v2, 0, 1, s[2:3]
	v_cmp_gt_i64_e32 vcc, v[4:5], v[24:25]
	v_lshlrev_b32_e32 v2, 2, v2
	v_lshl_add_u64 v[58:59], v[58:59], 0, v[2:3]
	v_cndmask_b32_e64 v2, 0, 1, vcc
	ds_read_b128 v[6:9], v21 offset:64
	ds_read_b128 v[10:13], v21 offset:80
	ds_read_b128 v[14:17], v21 offset:96
	ds_read_b128 v[22:25], v21 offset:112
	ds_read_b128 v[26:29], v21 offset:128
	ds_read_b128 v[30:33], v21 offset:144
	ds_read_b128 v[34:37], v21 offset:160
	ds_read_b128 v[38:41], v21 offset:176
	ds_read_b128 v[42:45], v21 offset:192
	ds_read_b128 v[46:49], v21 offset:208
	ds_read_b128 v[50:53], v21 offset:224
	ds_read_b128 v[54:57], v21 offset:240
	ds_read_b32 v60, v19
	v_lshlrev_b32_e32 v2, 2, v2
	s_waitcnt lgkmcnt(12)
	v_cmp_gt_i64_e32 vcc, v[4:5], v[6:7]
	v_lshl_add_u64 v[58:59], v[58:59], 0, v[2:3]
	s_nop 0
	v_cndmask_b32_e64 v2, 0, 1, vcc
	v_lshlrev_b32_e32 v2, 2, v2
	v_cmp_gt_i64_e32 vcc, v[4:5], v[8:9]
	v_lshl_add_u64 v[6:7], v[58:59], 0, v[2:3]
	s_nop 0
	v_cndmask_b32_e64 v2, 0, 1, vcc
	v_lshlrev_b32_e32 v2, 2, v2
	s_waitcnt lgkmcnt(11)
	v_cmp_gt_i64_e32 vcc, v[4:5], v[10:11]
	v_lshl_add_u64 v[6:7], v[6:7], 0, v[2:3]
	s_nop 0
	v_cndmask_b32_e64 v2, 0, 1, vcc
	v_lshlrev_b32_e32 v2, 2, v2
	v_cmp_gt_i64_e32 vcc, v[4:5], v[12:13]
	v_lshl_add_u64 v[6:7], v[6:7], 0, v[2:3]
	s_nop 0
	v_cndmask_b32_e64 v2, 0, 1, vcc
	;; [unrolled: 11-line block ×12, first 2 shown]
	v_lshlrev_b32_e32 v2, 2, v2
	v_lshl_add_u64 v[4:5], v[6:7], 0, v[2:3]
	s_waitcnt lgkmcnt(0)
	global_store_dword v[4:5], v60, off
	s_branch .LBB81_49
.LBB81_52:
	s_endpgm
	.section	.rodata,"a",@progbits
	.p2align	6, 0x0
	.amdhsa_kernel _ZN9rocsparseL38csrgemm_numeric_fill_wf_per_row_kernelILj256ELj16ELj32ELj137EllfEEvT4_S1_PKS1_S3_NS_24const_host_device_scalarIT5_EEPKT3_S3_PKS5_S9_S3_SB_S6_S9_S3_SB_S9_S3_PS5_21rocsparse_index_base_SD_SD_SD_bbb
		.amdhsa_group_segment_fixed_size 6144
		.amdhsa_private_segment_fixed_size 0
		.amdhsa_kernarg_size 164
		.amdhsa_user_sgpr_count 2
		.amdhsa_user_sgpr_dispatch_ptr 0
		.amdhsa_user_sgpr_queue_ptr 0
		.amdhsa_user_sgpr_kernarg_segment_ptr 1
		.amdhsa_user_sgpr_dispatch_id 0
		.amdhsa_user_sgpr_kernarg_preload_length 0
		.amdhsa_user_sgpr_kernarg_preload_offset 0
		.amdhsa_user_sgpr_private_segment_size 0
		.amdhsa_uses_dynamic_stack 0
		.amdhsa_enable_private_segment 0
		.amdhsa_system_sgpr_workgroup_id_x 1
		.amdhsa_system_sgpr_workgroup_id_y 0
		.amdhsa_system_sgpr_workgroup_id_z 0
		.amdhsa_system_sgpr_workgroup_info 0
		.amdhsa_system_vgpr_workitem_id 0
		.amdhsa_next_free_vgpr 61
		.amdhsa_next_free_sgpr 52
		.amdhsa_accum_offset 64
		.amdhsa_reserve_vcc 1
		.amdhsa_float_round_mode_32 0
		.amdhsa_float_round_mode_16_64 0
		.amdhsa_float_denorm_mode_32 3
		.amdhsa_float_denorm_mode_16_64 3
		.amdhsa_dx10_clamp 1
		.amdhsa_ieee_mode 1
		.amdhsa_fp16_overflow 0
		.amdhsa_tg_split 0
		.amdhsa_exception_fp_ieee_invalid_op 0
		.amdhsa_exception_fp_denorm_src 0
		.amdhsa_exception_fp_ieee_div_zero 0
		.amdhsa_exception_fp_ieee_overflow 0
		.amdhsa_exception_fp_ieee_underflow 0
		.amdhsa_exception_fp_ieee_inexact 0
		.amdhsa_exception_int_div_zero 0
	.end_amdhsa_kernel
	.section	.text._ZN9rocsparseL38csrgemm_numeric_fill_wf_per_row_kernelILj256ELj16ELj32ELj137EllfEEvT4_S1_PKS1_S3_NS_24const_host_device_scalarIT5_EEPKT3_S3_PKS5_S9_S3_SB_S6_S9_S3_SB_S9_S3_PS5_21rocsparse_index_base_SD_SD_SD_bbb,"axG",@progbits,_ZN9rocsparseL38csrgemm_numeric_fill_wf_per_row_kernelILj256ELj16ELj32ELj137EllfEEvT4_S1_PKS1_S3_NS_24const_host_device_scalarIT5_EEPKT3_S3_PKS5_S9_S3_SB_S6_S9_S3_SB_S9_S3_PS5_21rocsparse_index_base_SD_SD_SD_bbb,comdat
.Lfunc_end81:
	.size	_ZN9rocsparseL38csrgemm_numeric_fill_wf_per_row_kernelILj256ELj16ELj32ELj137EllfEEvT4_S1_PKS1_S3_NS_24const_host_device_scalarIT5_EEPKT3_S3_PKS5_S9_S3_SB_S6_S9_S3_SB_S9_S3_PS5_21rocsparse_index_base_SD_SD_SD_bbb, .Lfunc_end81-_ZN9rocsparseL38csrgemm_numeric_fill_wf_per_row_kernelILj256ELj16ELj32ELj137EllfEEvT4_S1_PKS1_S3_NS_24const_host_device_scalarIT5_EEPKT3_S3_PKS5_S9_S3_SB_S6_S9_S3_SB_S9_S3_PS5_21rocsparse_index_base_SD_SD_SD_bbb
                                        ; -- End function
	.set _ZN9rocsparseL38csrgemm_numeric_fill_wf_per_row_kernelILj256ELj16ELj32ELj137EllfEEvT4_S1_PKS1_S3_NS_24const_host_device_scalarIT5_EEPKT3_S3_PKS5_S9_S3_SB_S6_S9_S3_SB_S9_S3_PS5_21rocsparse_index_base_SD_SD_SD_bbb.num_vgpr, 61
	.set _ZN9rocsparseL38csrgemm_numeric_fill_wf_per_row_kernelILj256ELj16ELj32ELj137EllfEEvT4_S1_PKS1_S3_NS_24const_host_device_scalarIT5_EEPKT3_S3_PKS5_S9_S3_SB_S6_S9_S3_SB_S9_S3_PS5_21rocsparse_index_base_SD_SD_SD_bbb.num_agpr, 0
	.set _ZN9rocsparseL38csrgemm_numeric_fill_wf_per_row_kernelILj256ELj16ELj32ELj137EllfEEvT4_S1_PKS1_S3_NS_24const_host_device_scalarIT5_EEPKT3_S3_PKS5_S9_S3_SB_S6_S9_S3_SB_S9_S3_PS5_21rocsparse_index_base_SD_SD_SD_bbb.numbered_sgpr, 52
	.set _ZN9rocsparseL38csrgemm_numeric_fill_wf_per_row_kernelILj256ELj16ELj32ELj137EllfEEvT4_S1_PKS1_S3_NS_24const_host_device_scalarIT5_EEPKT3_S3_PKS5_S9_S3_SB_S6_S9_S3_SB_S9_S3_PS5_21rocsparse_index_base_SD_SD_SD_bbb.num_named_barrier, 0
	.set _ZN9rocsparseL38csrgemm_numeric_fill_wf_per_row_kernelILj256ELj16ELj32ELj137EllfEEvT4_S1_PKS1_S3_NS_24const_host_device_scalarIT5_EEPKT3_S3_PKS5_S9_S3_SB_S6_S9_S3_SB_S9_S3_PS5_21rocsparse_index_base_SD_SD_SD_bbb.private_seg_size, 0
	.set _ZN9rocsparseL38csrgemm_numeric_fill_wf_per_row_kernelILj256ELj16ELj32ELj137EllfEEvT4_S1_PKS1_S3_NS_24const_host_device_scalarIT5_EEPKT3_S3_PKS5_S9_S3_SB_S6_S9_S3_SB_S9_S3_PS5_21rocsparse_index_base_SD_SD_SD_bbb.uses_vcc, 1
	.set _ZN9rocsparseL38csrgemm_numeric_fill_wf_per_row_kernelILj256ELj16ELj32ELj137EllfEEvT4_S1_PKS1_S3_NS_24const_host_device_scalarIT5_EEPKT3_S3_PKS5_S9_S3_SB_S6_S9_S3_SB_S9_S3_PS5_21rocsparse_index_base_SD_SD_SD_bbb.uses_flat_scratch, 0
	.set _ZN9rocsparseL38csrgemm_numeric_fill_wf_per_row_kernelILj256ELj16ELj32ELj137EllfEEvT4_S1_PKS1_S3_NS_24const_host_device_scalarIT5_EEPKT3_S3_PKS5_S9_S3_SB_S6_S9_S3_SB_S9_S3_PS5_21rocsparse_index_base_SD_SD_SD_bbb.has_dyn_sized_stack, 0
	.set _ZN9rocsparseL38csrgemm_numeric_fill_wf_per_row_kernelILj256ELj16ELj32ELj137EllfEEvT4_S1_PKS1_S3_NS_24const_host_device_scalarIT5_EEPKT3_S3_PKS5_S9_S3_SB_S6_S9_S3_SB_S9_S3_PS5_21rocsparse_index_base_SD_SD_SD_bbb.has_recursion, 0
	.set _ZN9rocsparseL38csrgemm_numeric_fill_wf_per_row_kernelILj256ELj16ELj32ELj137EllfEEvT4_S1_PKS1_S3_NS_24const_host_device_scalarIT5_EEPKT3_S3_PKS5_S9_S3_SB_S6_S9_S3_SB_S9_S3_PS5_21rocsparse_index_base_SD_SD_SD_bbb.has_indirect_call, 0
	.section	.AMDGPU.csdata,"",@progbits
; Kernel info:
; codeLenInByte = 2684
; TotalNumSgprs: 58
; NumVgprs: 61
; NumAgprs: 0
; TotalNumVgprs: 61
; ScratchSize: 0
; MemoryBound: 0
; FloatMode: 240
; IeeeMode: 1
; LDSByteSize: 6144 bytes/workgroup (compile time only)
; SGPRBlocks: 7
; VGPRBlocks: 7
; NumSGPRsForWavesPerEU: 58
; NumVGPRsForWavesPerEU: 61
; AccumOffset: 64
; Occupancy: 8
; WaveLimiterHint : 1
; COMPUTE_PGM_RSRC2:SCRATCH_EN: 0
; COMPUTE_PGM_RSRC2:USER_SGPR: 2
; COMPUTE_PGM_RSRC2:TRAP_HANDLER: 0
; COMPUTE_PGM_RSRC2:TGID_X_EN: 1
; COMPUTE_PGM_RSRC2:TGID_Y_EN: 0
; COMPUTE_PGM_RSRC2:TGID_Z_EN: 0
; COMPUTE_PGM_RSRC2:TIDIG_COMP_CNT: 0
; COMPUTE_PGM_RSRC3_GFX90A:ACCUM_OFFSET: 15
; COMPUTE_PGM_RSRC3_GFX90A:TG_SPLIT: 0
	.section	.text._ZN9rocsparseL41csrgemm_numeric_fill_block_per_row_kernelILj128ELj16ELj256ELj137ELj32EllfEEvT5_PKS1_S3_NS_24const_host_device_scalarIT6_EEPKT4_S3_PKS5_S9_S3_SB_S6_S9_S3_SB_S9_S3_PS5_21rocsparse_index_base_SD_SD_SD_bbb,"axG",@progbits,_ZN9rocsparseL41csrgemm_numeric_fill_block_per_row_kernelILj128ELj16ELj256ELj137ELj32EllfEEvT5_PKS1_S3_NS_24const_host_device_scalarIT6_EEPKT4_S3_PKS5_S9_S3_SB_S6_S9_S3_SB_S9_S3_PS5_21rocsparse_index_base_SD_SD_SD_bbb,comdat
	.globl	_ZN9rocsparseL41csrgemm_numeric_fill_block_per_row_kernelILj128ELj16ELj256ELj137ELj32EllfEEvT5_PKS1_S3_NS_24const_host_device_scalarIT6_EEPKT4_S3_PKS5_S9_S3_SB_S6_S9_S3_SB_S9_S3_PS5_21rocsparse_index_base_SD_SD_SD_bbb ; -- Begin function _ZN9rocsparseL41csrgemm_numeric_fill_block_per_row_kernelILj128ELj16ELj256ELj137ELj32EllfEEvT5_PKS1_S3_NS_24const_host_device_scalarIT6_EEPKT4_S3_PKS5_S9_S3_SB_S6_S9_S3_SB_S9_S3_PS5_21rocsparse_index_base_SD_SD_SD_bbb
	.p2align	8
	.type	_ZN9rocsparseL41csrgemm_numeric_fill_block_per_row_kernelILj128ELj16ELj256ELj137ELj32EllfEEvT5_PKS1_S3_NS_24const_host_device_scalarIT6_EEPKT4_S3_PKS5_S9_S3_SB_S6_S9_S3_SB_S9_S3_PS5_21rocsparse_index_base_SD_SD_SD_bbb,@function
_ZN9rocsparseL41csrgemm_numeric_fill_block_per_row_kernelILj128ELj16ELj256ELj137ELj32EllfEEvT5_PKS1_S3_NS_24const_host_device_scalarIT6_EEPKT4_S3_PKS5_S9_S3_SB_S6_S9_S3_SB_S9_S3_PS5_21rocsparse_index_base_SD_SD_SD_bbb: ; @_ZN9rocsparseL41csrgemm_numeric_fill_block_per_row_kernelILj128ELj16ELj256ELj137ELj32EllfEEvT5_PKS1_S3_NS_24const_host_device_scalarIT6_EEPKT4_S3_PKS5_S9_S3_SB_S6_S9_S3_SB_S9_S3_PS5_21rocsparse_index_base_SD_SD_SD_bbb
; %bb.0:
	s_load_dword s3, s[0:1], 0x98
	s_load_dwordx2 s[4:5], s[0:1], 0x18
	s_load_dwordx2 s[8:9], s[0:1], 0x50
	s_waitcnt lgkmcnt(0)
	s_bitcmp1_b32 s3, 0
	s_cselect_b64 s[6:7], -1, 0
	s_bitcmp1_b32 s3, 16
	s_cselect_b64 s[10:11], -1, 0
	s_xor_b64 s[12:13], s[6:7], -1
	s_or_b64 s[12:13], s[10:11], s[12:13]
	s_and_b64 vcc, exec, s[12:13]
	s_cbranch_vccnz .LBB82_2
; %bb.1:
	s_load_dword s4, s[4:5], 0x0
	s_waitcnt lgkmcnt(0)
	v_mov_b32_e32 v20, s4
	s_branch .LBB82_3
.LBB82_2:
	v_mov_b32_e32 v1, s4
	v_cndmask_b32_e64 v20, 0, v1, s[6:7]
.LBB82_3:
	s_load_dwordx4 s[24:27], s[0:1], 0x88
	s_bitcmp1_b32 s3, 8
	s_cselect_b64 s[4:5], -1, 0
	s_xor_b64 s[12:13], s[4:5], -1
	s_or_b64 s[10:11], s[10:11], s[12:13]
	s_and_b64 vcc, exec, s[10:11]
	s_cbranch_vccnz .LBB82_5
; %bb.4:
	s_load_dword s3, s[8:9], 0x0
	s_waitcnt lgkmcnt(0)
	v_mov_b32_e32 v19, s3
	s_branch .LBB82_6
.LBB82_5:
	v_mov_b32_e32 v1, s8
	v_cndmask_b32_e64 v19, 0, v1, s[4:5]
.LBB82_6:
	s_load_dwordx2 s[34:35], s[0:1], 0x80
	s_load_dwordx8 s[8:15], s[0:1], 0x58
	s_load_dwordx4 s[36:39], s[0:1], 0x40
	s_load_dwordx4 s[28:31], s[0:1], 0x0
	s_load_dwordx2 s[40:41], s[0:1], 0x10
	s_load_dwordx8 s[16:23], s[0:1], 0x20
	s_movk_i32 s0, 0x100
	v_cmp_gt_u32_e64 s[0:1], s0, v0
	v_lshl_add_u32 v18, v0, 2, 0
	v_lshl_add_u32 v1, v0, 3, 0
	s_and_saveexec_b64 s[42:43], s[0:1]
	s_cbranch_execz .LBB82_9
; %bb.7:
	v_add_u32_e32 v2, 0x800, v18
	v_or_b32_e32 v3, 0xffffff80, v0
	v_lshl_add_u32 v4, v0, 3, 0
	s_mov_b64 s[44:45], 0
	s_waitcnt lgkmcnt(0)
	v_mov_b64_e32 v[6:7], s[28:29]
	v_mov_b32_e32 v5, 0
.LBB82_8:                               ; =>This Inner Loop Header: Depth=1
	v_add_co_u32_e32 v3, vcc, 0x80, v3
	s_xor_b64 s[46:47], vcc, -1
	s_and_b64 s[46:47], exec, s[46:47]
	ds_write_b64 v4, v[6:7]
	ds_write_b32 v2, v5
	v_add_u32_e32 v2, 0x200, v2
	s_or_b64 s[44:45], s[46:47], s[44:45]
	v_add_u32_e32 v4, 0x400, v4
	s_andn2_b64 exec, exec, s[44:45]
	s_cbranch_execnz .LBB82_8
.LBB82_9:
	s_or_b64 exec, exec, s[42:43]
	s_waitcnt lgkmcnt(0)
	s_barrier
	s_load_dwordx2 s[30:31], s[30:31], 0x0
	s_mov_b32 s3, 0
	s_waitcnt lgkmcnt(0)
	s_lshl_b64 s[30:31], s[30:31], 3
	s_add_u32 s30, s40, s30
	s_addc_u32 s31, s41, s31
	s_lshl_b64 s[2:3], s[2:3], 3
	s_add_u32 s2, s30, s2
	s_addc_u32 s3, s31, s3
	s_load_dwordx2 s[30:31], s[2:3], 0x0
	s_and_b64 vcc, exec, s[6:7]
	s_cbranch_vccz .LBB82_29
; %bb.10:
	s_waitcnt lgkmcnt(0)
	s_lshl_b64 s[2:3], s[30:31], 3
	s_add_u32 s2, s16, s2
	s_addc_u32 s3, s17, s3
	s_load_dwordx4 s[40:43], s[2:3], 0x0
	v_lshrrev_b32_e32 v2, 4, v0
	v_subrev_co_u32_e32 v2, vcc, s24, v2
	s_waitcnt lgkmcnt(0)
	s_sub_u32 s2, s42, s24
	v_subb_co_u32_e64 v3, s[6:7], 0, 0, vcc
	s_subb_u32 s3, s43, 0
	v_lshl_add_u64 v[2:3], s[40:41], 0, v[2:3]
	v_cmp_gt_i64_e32 vcc, s[2:3], v[2:3]
	s_and_saveexec_b64 s[6:7], vcc
	s_cbranch_execz .LBB82_28
; %bb.11:
	v_and_b32_e32 v4, 15, v0
	v_subrev_co_u32_e32 v4, vcc, s25, v4
	s_mov_b32 s33, s25
	s_nop 0
	v_subb_co_u32_e64 v5, s[16:17], 0, 0, vcc
	s_mov_b64 s[16:17], 0
	s_movk_i32 s25, 0x89
	s_branch .LBB82_13
.LBB82_12:                              ;   in Loop: Header=BB82_13 Depth=1
	s_or_b64 exec, exec, s[40:41]
	v_lshl_add_u64 v[2:3], v[2:3], 0, 8
	v_cmp_le_i64_e32 vcc, s[2:3], v[2:3]
	s_or_b64 s[16:17], vcc, s[16:17]
	s_andn2_b64 exec, exec, s[16:17]
	s_cbranch_execz .LBB82_28
.LBB82_13:                              ; =>This Loop Header: Depth=1
                                        ;     Child Loop BB82_17 Depth 2
                                        ;       Child Loop BB82_20 Depth 3
	v_lshl_add_u64 v[6:7], v[2:3], 3, s[18:19]
	global_load_dwordx2 v[6:7], v[6:7], off
	s_waitcnt vmcnt(0)
	v_subrev_co_u32_e32 v6, vcc, s24, v6
	s_nop 1
	v_subbrev_co_u32_e32 v7, vcc, 0, v7, vcc
	v_lshl_add_u64 v[6:7], v[6:7], 3, s[22:23]
	global_load_dwordx4 v[8:11], v[6:7], off
	s_waitcnt vmcnt(0)
	v_subrev_co_u32_e32 v6, vcc, s33, v10
	s_nop 1
	v_subbrev_co_u32_e32 v7, vcc, 0, v11, vcc
	v_lshl_add_u64 v[8:9], v[8:9], 0, v[4:5]
	v_cmp_lt_i64_e32 vcc, v[8:9], v[6:7]
	s_and_saveexec_b64 s[40:41], vcc
	s_cbranch_execz .LBB82_12
; %bb.14:                               ;   in Loop: Header=BB82_13 Depth=1
	v_lshl_add_u64 v[10:11], v[2:3], 2, s[20:21]
	global_load_dword v10, v[10:11], off
	s_mov_b64 s[42:43], 0
	s_waitcnt vmcnt(0)
	v_mul_f32_e32 v21, v20, v10
	s_branch .LBB82_17
.LBB82_15:                              ;   in Loop: Header=BB82_17 Depth=2
	s_or_b64 exec, exec, s[46:47]
.LBB82_16:                              ;   in Loop: Header=BB82_17 Depth=2
	s_or_b64 exec, exec, s[44:45]
	s_waitcnt vmcnt(0)
	v_mul_f32_e32 v10, v21, v22
	v_lshl_add_u32 v11, v12, 2, 0
	ds_add_f32 v11, v10 offset:2048
	v_lshl_add_u64 v[8:9], v[8:9], 0, 16
	v_cmp_ge_i64_e32 vcc, v[8:9], v[6:7]
	s_or_b64 s[42:43], vcc, s[42:43]
	s_andn2_b64 exec, exec, s[42:43]
	s_cbranch_execz .LBB82_12
.LBB82_17:                              ;   Parent Loop BB82_13 Depth=1
                                        ; =>  This Loop Header: Depth=2
                                        ;       Child Loop BB82_20 Depth 3
	v_lshl_add_u64 v[10:11], v[8:9], 3, s[36:37]
	global_load_dwordx2 v[10:11], v[10:11], off
	v_lshl_add_u64 v[12:13], v[8:9], 2, s[38:39]
	global_load_dword v22, v[12:13], off
	s_waitcnt vmcnt(1)
	v_subrev_co_u32_e32 v10, vcc, s33, v10
	v_mul_lo_u32 v12, v10, s25
	v_and_b32_e32 v12, 0xff, v12
	v_lshl_add_u32 v23, v12, 3, 0
	ds_read_b64 v[16:17], v23
	v_subbrev_co_u32_e32 v11, vcc, 0, v11, vcc
	s_waitcnt lgkmcnt(0)
	v_cmp_ne_u64_e32 vcc, v[16:17], v[10:11]
	s_and_saveexec_b64 s[44:45], vcc
	s_cbranch_execz .LBB82_16
; %bb.18:                               ;   in Loop: Header=BB82_17 Depth=2
	s_mov_b64 s[46:47], 0
                                        ; implicit-def: $sgpr48_sgpr49
                                        ; implicit-def: $sgpr50_sgpr51
	s_branch .LBB82_20
.LBB82_19:                              ;   in Loop: Header=BB82_20 Depth=3
	s_or_b64 exec, exec, s[56:57]
	s_and_b64 s[52:53], exec, s[54:55]
	s_or_b64 s[46:47], s[52:53], s[46:47]
	s_andn2_b64 s[48:49], s[48:49], exec
	s_and_b64 s[52:53], s[50:51], exec
	s_or_b64 s[48:49], s[48:49], s[52:53]
	s_andn2_b64 exec, exec, s[46:47]
	s_cbranch_execz .LBB82_26
.LBB82_20:                              ;   Parent Loop BB82_13 Depth=1
                                        ;     Parent Loop BB82_17 Depth=2
                                        ; =>    This Inner Loop Header: Depth=3
	v_mov_b64_e32 v[14:15], v[12:13]
	v_cmp_ne_u64_e32 vcc, s[28:29], v[16:17]
	s_mov_b64 s[52:53], 0
                                        ; implicit-def: $vgpr12_vgpr13
	s_and_saveexec_b64 s[54:55], vcc
	s_xor_b64 s[54:55], exec, s[54:55]
; %bb.21:                               ;   in Loop: Header=BB82_20 Depth=3
	v_add_u32_e32 v12, 1, v14
	s_mov_b64 s[52:53], exec
	v_and_b32_e32 v12, 0xff, v12
                                        ; implicit-def: $vgpr23
; %bb.22:                               ;   in Loop: Header=BB82_20 Depth=3
	s_andn2_saveexec_b64 s[54:55], s[54:55]
	s_cbranch_execz .LBB82_24
; %bb.23:                               ;   in Loop: Header=BB82_20 Depth=3
	v_mov_b64_e32 v[12:13], s[28:29]
	ds_cmpst_rtn_b64 v[12:13], v23, v[12:13], v[10:11]
	s_andn2_b64 s[52:53], s[52:53], exec
	s_waitcnt lgkmcnt(0)
	v_cmp_ne_u64_e32 vcc, s[28:29], v[12:13]
	s_and_b64 s[56:57], vcc, exec
	s_or_b64 s[52:53], s[52:53], s[56:57]
	v_mov_b64_e32 v[12:13], v[14:15]
.LBB82_24:                              ;   in Loop: Header=BB82_20 Depth=3
	s_or_b64 exec, exec, s[54:55]
	s_mov_b64 s[54:55], -1
	s_or_b64 s[50:51], s[50:51], exec
                                        ; implicit-def: $vgpr23
                                        ; implicit-def: $vgpr16_vgpr17
	s_and_saveexec_b64 s[56:57], s[52:53]
	s_cbranch_execz .LBB82_19
; %bb.25:                               ;   in Loop: Header=BB82_20 Depth=3
	v_lshl_add_u32 v23, v12, 3, 0
	ds_read_b64 v[16:17], v23
	s_andn2_b64 s[50:51], s[50:51], exec
	s_waitcnt lgkmcnt(0)
	v_cmp_eq_u64_e32 vcc, v[16:17], v[10:11]
	s_orn2_b64 s[54:55], vcc, exec
	s_branch .LBB82_19
.LBB82_26:                              ;   in Loop: Header=BB82_17 Depth=2
	s_or_b64 exec, exec, s[46:47]
	s_and_saveexec_b64 s[46:47], s[48:49]
	s_xor_b64 s[46:47], exec, s[46:47]
	s_cbranch_execz .LBB82_15
; %bb.27:                               ;   in Loop: Header=BB82_17 Depth=2
	v_mov_b32_e32 v12, v14
	s_branch .LBB82_15
.LBB82_28:
	s_or_b64 exec, exec, s[6:7]
.LBB82_29:
	s_andn2_b64 vcc, exec, s[4:5]
	s_cbranch_vccnz .LBB82_46
; %bb.30:
	s_waitcnt lgkmcnt(0)
	s_lshl_b64 s[2:3], s[30:31], 3
	s_add_u32 s2, s8, s2
	s_addc_u32 s3, s9, s3
	s_load_dwordx4 s[4:7], s[2:3], 0x0
	v_subrev_co_u32_e32 v2, vcc, s27, v0
	s_waitcnt lgkmcnt(0)
	s_sub_u32 s2, s6, s27
	s_subb_u32 s3, s7, 0
	v_subb_co_u32_e64 v3, s[6:7], 0, 0, vcc
	v_lshl_add_u64 v[2:3], s[4:5], 0, v[2:3]
	v_cmp_gt_i64_e32 vcc, s[2:3], v[2:3]
	s_and_saveexec_b64 s[4:5], vcc
	s_cbranch_execz .LBB82_45
; %bb.31:
	s_mov_b32 s33, s27
	s_mov_b64 s[6:7], 0
	s_movk_i32 s27, 0x89
	s_mov_b64 s[8:9], 0x80
	s_branch .LBB82_34
.LBB82_32:                              ;   in Loop: Header=BB82_34 Depth=1
	s_or_b64 exec, exec, s[18:19]
.LBB82_33:                              ;   in Loop: Header=BB82_34 Depth=1
	s_or_b64 exec, exec, s[16:17]
	s_waitcnt vmcnt(0)
	v_mul_f32_e32 v4, v19, v12
	v_lshl_add_u32 v5, v6, 2, 0
	ds_add_f32 v5, v4 offset:2048
	v_lshl_add_u64 v[2:3], v[2:3], 0, s[8:9]
	v_cmp_le_i64_e32 vcc, s[2:3], v[2:3]
	s_or_b64 s[6:7], vcc, s[6:7]
	s_andn2_b64 exec, exec, s[6:7]
	s_cbranch_execz .LBB82_45
.LBB82_34:                              ; =>This Loop Header: Depth=1
                                        ;     Child Loop BB82_37 Depth 2
	v_lshl_add_u64 v[4:5], v[2:3], 3, s[10:11]
	global_load_dwordx2 v[4:5], v[4:5], off
	v_lshl_add_u64 v[6:7], v[2:3], 2, s[12:13]
	global_load_dword v12, v[6:7], off
	s_waitcnt vmcnt(1)
	v_subrev_co_u32_e32 v4, vcc, s33, v4
	v_mul_lo_u32 v6, v4, s27
	v_and_b32_e32 v6, 0xff, v6
	v_lshl_add_u32 v13, v6, 3, 0
	ds_read_b64 v[10:11], v13
	v_subbrev_co_u32_e32 v5, vcc, 0, v5, vcc
	s_waitcnt lgkmcnt(0)
	v_cmp_ne_u64_e32 vcc, v[10:11], v[4:5]
	s_and_saveexec_b64 s[16:17], vcc
	s_cbranch_execz .LBB82_33
; %bb.35:                               ;   in Loop: Header=BB82_34 Depth=1
	s_mov_b64 s[18:19], 0
                                        ; implicit-def: $sgpr20_sgpr21
                                        ; implicit-def: $sgpr22_sgpr23
	s_branch .LBB82_37
.LBB82_36:                              ;   in Loop: Header=BB82_37 Depth=2
	s_or_b64 exec, exec, s[38:39]
	s_and_b64 s[24:25], exec, s[36:37]
	s_or_b64 s[18:19], s[24:25], s[18:19]
	s_andn2_b64 s[20:21], s[20:21], exec
	s_and_b64 s[24:25], s[22:23], exec
	s_or_b64 s[20:21], s[20:21], s[24:25]
	s_andn2_b64 exec, exec, s[18:19]
	s_cbranch_execz .LBB82_43
.LBB82_37:                              ;   Parent Loop BB82_34 Depth=1
                                        ; =>  This Inner Loop Header: Depth=2
	v_mov_b64_e32 v[8:9], v[6:7]
	v_cmp_ne_u64_e32 vcc, s[28:29], v[10:11]
	s_mov_b64 s[24:25], 0
                                        ; implicit-def: $vgpr6_vgpr7
	s_and_saveexec_b64 s[36:37], vcc
	s_xor_b64 s[36:37], exec, s[36:37]
; %bb.38:                               ;   in Loop: Header=BB82_37 Depth=2
	v_add_u32_e32 v6, 1, v8
	s_mov_b64 s[24:25], exec
	v_and_b32_e32 v6, 0xff, v6
                                        ; implicit-def: $vgpr13
; %bb.39:                               ;   in Loop: Header=BB82_37 Depth=2
	s_andn2_saveexec_b64 s[36:37], s[36:37]
	s_cbranch_execz .LBB82_41
; %bb.40:                               ;   in Loop: Header=BB82_37 Depth=2
	v_mov_b64_e32 v[6:7], s[28:29]
	ds_cmpst_rtn_b64 v[6:7], v13, v[6:7], v[4:5]
	s_andn2_b64 s[24:25], s[24:25], exec
	s_waitcnt lgkmcnt(0)
	v_cmp_ne_u64_e32 vcc, s[28:29], v[6:7]
	s_and_b64 s[38:39], vcc, exec
	s_or_b64 s[24:25], s[24:25], s[38:39]
	v_mov_b64_e32 v[6:7], v[8:9]
.LBB82_41:                              ;   in Loop: Header=BB82_37 Depth=2
	s_or_b64 exec, exec, s[36:37]
	s_mov_b64 s[36:37], -1
	s_or_b64 s[22:23], s[22:23], exec
                                        ; implicit-def: $vgpr13
                                        ; implicit-def: $vgpr10_vgpr11
	s_and_saveexec_b64 s[38:39], s[24:25]
	s_cbranch_execz .LBB82_36
; %bb.42:                               ;   in Loop: Header=BB82_37 Depth=2
	v_lshl_add_u32 v13, v6, 3, 0
	ds_read_b64 v[10:11], v13
	s_andn2_b64 s[22:23], s[22:23], exec
	s_waitcnt lgkmcnt(0)
	v_cmp_eq_u64_e32 vcc, v[10:11], v[4:5]
	s_orn2_b64 s[36:37], vcc, exec
	s_branch .LBB82_36
.LBB82_43:                              ;   in Loop: Header=BB82_34 Depth=1
	s_or_b64 exec, exec, s[18:19]
	s_and_saveexec_b64 s[18:19], s[20:21]
	s_xor_b64 s[18:19], exec, s[18:19]
	s_cbranch_execz .LBB82_32
; %bb.44:                               ;   in Loop: Header=BB82_34 Depth=1
	v_mov_b32_e32 v6, v8
	s_branch .LBB82_32
.LBB82_45:
	s_or_b64 exec, exec, s[4:5]
.LBB82_46:
	s_waitcnt lgkmcnt(0)
	s_barrier
	s_and_saveexec_b64 s[8:9], s[0:1]
	s_cbranch_execz .LBB82_59
; %bb.47:
	v_mbcnt_lo_u32_b32 v2, -1, 0
	v_mbcnt_hi_u32_b32 v2, -1, v2
	v_sub_u32_e32 v2, 63, v2
	v_lshrrev_b64 v[4:5], v2, -1
	v_lshrrev_b32_e32 v2, 2, v0
	v_and_b32_e32 v2, 24, v2
	s_movk_i32 s0, 0x7f
	s_movk_i32 s6, 0x5f
	v_mov_b32_e32 v3, 0
	v_add_u32_e32 v12, 0, v2
	v_cmp_eq_u32_e64 s[0:1], s0, v0
	v_cmp_lt_u32_e64 s[2:3], 31, v0
	v_cmp_lt_u32_e64 s[4:5], 63, v0
	;; [unrolled: 1-line block ×3, first 2 shown]
	v_add_u32_e32 v13, 0x800, v18
	v_or_b32_e32 v14, 0xffffff80, v0
	s_mov_b64 s[10:11], 0
	v_mov_b64_e32 v[6:7], 0
	s_branch .LBB82_49
.LBB82_48:                              ;   in Loop: Header=BB82_49 Depth=1
	s_or_b64 exec, exec, s[12:13]
	s_waitcnt lgkmcnt(0)
	s_barrier
	ds_read_b64 v[8:9], v3 offset:3096
	v_add_co_u32_e32 v14, vcc, 0x80, v14
	s_xor_b64 s[12:13], vcc, -1
	s_and_b64 s[12:13], exec, s[12:13]
	v_add_u32_e32 v13, 0x200, v13
	s_waitcnt lgkmcnt(0)
	v_lshl_add_u64 v[6:7], v[8:9], 0, v[6:7]
	s_or_b64 s[10:11], s[12:13], s[10:11]
	v_add_u32_e32 v1, 0x400, v1
	s_andn2_b64 exec, exec, s[10:11]
	s_cbranch_execz .LBB82_59
.LBB82_49:                              ; =>This Inner Loop Header: Depth=1
	ds_read_b64 v[8:9], v1
	ds_read_b32 v15, v13
	s_waitcnt lgkmcnt(0)
	s_barrier
	v_cmp_gt_i64_e32 vcc, s[28:29], v[8:9]
	s_bcnt1_i32_b64 s12, vcc
	v_mov_b32_e32 v2, s12
	v_and_b32_e32 v11, vcc_lo, v4
	v_and_b32_e32 v10, vcc_hi, v5
	v_bcnt_u32_b32 v11, v11, 0
	v_bcnt_u32_b32 v10, v10, v11
	ds_write_b64 v12, v[2:3] offset:3072
	s_waitcnt lgkmcnt(0)
	s_barrier
	s_and_saveexec_b64 s[12:13], s[2:3]
	s_cbranch_execnz .LBB82_54
; %bb.50:                               ;   in Loop: Header=BB82_49 Depth=1
	s_or_b64 exec, exec, s[12:13]
	s_and_saveexec_b64 s[12:13], s[4:5]
	s_cbranch_execnz .LBB82_55
.LBB82_51:                              ;   in Loop: Header=BB82_49 Depth=1
	s_or_b64 exec, exec, s[12:13]
	s_and_saveexec_b64 s[12:13], s[6:7]
	s_cbranch_execnz .LBB82_56
.LBB82_52:                              ;   in Loop: Header=BB82_49 Depth=1
	s_or_b64 exec, exec, s[12:13]
	v_ashrrev_i32_e32 v11, 31, v10
	s_and_saveexec_b64 s[12:13], vcc
	s_cbranch_execnz .LBB82_57
.LBB82_53:                              ;   in Loop: Header=BB82_49 Depth=1
	s_or_b64 exec, exec, s[12:13]
	s_and_saveexec_b64 s[12:13], s[0:1]
	s_cbranch_execz .LBB82_48
	s_branch .LBB82_58
.LBB82_54:                              ;   in Loop: Header=BB82_49 Depth=1
	ds_read_b32 v2, v3 offset:3072
	s_waitcnt lgkmcnt(0)
	v_add_u32_e32 v10, v2, v10
	s_or_b64 exec, exec, s[12:13]
	s_and_saveexec_b64 s[12:13], s[4:5]
	s_cbranch_execz .LBB82_51
.LBB82_55:                              ;   in Loop: Header=BB82_49 Depth=1
	ds_read_b32 v2, v3 offset:3080
	s_waitcnt lgkmcnt(0)
	v_add_u32_e32 v10, v10, v2
	s_or_b64 exec, exec, s[12:13]
	s_and_saveexec_b64 s[12:13], s[6:7]
	s_cbranch_execz .LBB82_52
.LBB82_56:                              ;   in Loop: Header=BB82_49 Depth=1
	ds_read_b32 v2, v3 offset:3088
	s_waitcnt lgkmcnt(0)
	v_add_u32_e32 v10, v10, v2
	s_or_b64 exec, exec, s[12:13]
	v_ashrrev_i32_e32 v11, 31, v10
	s_and_saveexec_b64 s[12:13], vcc
	s_cbranch_execz .LBB82_53
.LBB82_57:                              ;   in Loop: Header=BB82_49 Depth=1
	v_add3_u32 v2, v6, -1, v10
	v_lshl_add_u32 v2, v2, 3, 0
	v_add_u32_e32 v16, v6, v10
	v_lshl_add_u32 v16, v16, 2, 0
	ds_write_b64 v2, v[8:9]
	ds_write_b32 v16, v15 offset:2044
	s_or_b64 exec, exec, s[12:13]
	s_and_saveexec_b64 s[12:13], s[0:1]
	s_cbranch_execz .LBB82_48
.LBB82_58:                              ;   in Loop: Header=BB82_49 Depth=1
	ds_write_b64 v3, v[10:11] offset:3096
	s_branch .LBB82_48
.LBB82_59:
	s_or_b64 exec, exec, s[8:9]
	s_lshl_b64 s[0:1], s[30:31], 3
	s_add_u32 s4, s14, s0
	s_addc_u32 s5, s15, s1
	s_load_dwordx4 s[0:3], s[4:5], 0x0
	v_mov_b32_e32 v1, 0
	s_waitcnt lgkmcnt(0)
	s_sub_u32 s4, s2, s0
	s_subb_u32 s5, s3, s1
	v_cmp_gt_i64_e32 vcc, s[4:5], v[0:1]
	s_and_saveexec_b64 s[6:7], vcc
	s_cbranch_execz .LBB82_69
; %bb.60:
	s_sub_u32 s8, s0, s26
	s_subb_u32 s9, s1, 0
	s_and_b32 s6, s4, 7
	s_sub_u32 s0, s0, s2
	s_mov_b32 s7, 0
	s_subb_u32 s1, s1, s3
	s_and_b32 s10, s4, -8
	s_cmp_lg_u64 s[6:7], 0
	v_cmp_lt_u64_e64 s[0:1], s[0:1], -7
	s_cselect_b64 s[2:3], -1, 0
	s_mov_b32 s11, s5
	v_cndmask_b32_e64 v2, 0, 1, s[0:1]
	v_cmp_ne_u32_e64 s[0:1], 1, v2
	v_cndmask_b32_e64 v2, 0, 1, s[2:3]
	s_mov_b64 s[12:13], 0
	v_cmp_ne_u32_e64 s[2:3], 1, v2
	s_mov_b64 s[14:15], 0x80
	s_branch .LBB82_62
.LBB82_61:                              ;   in Loop: Header=BB82_62 Depth=1
	v_lshl_add_u64 v[0:1], v[0:1], 0, s[14:15]
	v_cmp_le_i64_e32 vcc, s[4:5], v[0:1]
	s_waitcnt lgkmcnt(1)
	v_lshl_add_u64 v[2:3], v[4:5], 2, s[34:35]
	s_or_b64 s[12:13], vcc, s[12:13]
	s_waitcnt lgkmcnt(0)
	global_store_dword v[2:3], v6, off
	s_andn2_b64 exec, exec, s[12:13]
	s_cbranch_execz .LBB82_69
.LBB82_62:                              ; =>This Loop Header: Depth=1
                                        ;     Child Loop BB82_64 Depth 2
                                        ;     Child Loop BB82_68 Depth 2
	v_lshl_add_u32 v2, v0, 3, 0
	v_lshlrev_b32_e32 v3, 2, v0
	v_sub_u32_e32 v4, v2, v3
	ds_read_b64 v[2:3], v2
	ds_read_b32 v6, v4 offset:2048
	s_and_b64 vcc, exec, s[0:1]
	v_mov_b64_e32 v[4:5], s[8:9]
	s_mov_b64 s[16:17], 0
	s_cbranch_vccnz .LBB82_66
; %bb.63:                               ;   in Loop: Header=BB82_62 Depth=1
	s_mov_b32 s18, 0
	v_mov_b64_e32 v[4:5], s[8:9]
.LBB82_64:                              ;   Parent Loop BB82_62 Depth=1
                                        ; =>  This Inner Loop Header: Depth=2
	v_mov_b32_e32 v7, s18
	ds_read2_b64 v[8:11], v7 offset1:1
	ds_read2_b64 v[12:15], v7 offset0:2 offset1:3
	ds_read2_b64 v[16:19], v7 offset0:4 offset1:5
	;; [unrolled: 1-line block ×3, first 2 shown]
	v_mov_b32_e32 v25, s7
	s_waitcnt lgkmcnt(3)
	v_cmp_gt_i64_e32 vcc, v[2:3], v[8:9]
	v_mov_b32_e32 v27, s7
	v_mov_b32_e32 v29, s7
	v_cndmask_b32_e64 v24, 0, 1, vcc
	v_cmp_gt_i64_e32 vcc, v[2:3], v[10:11]
	v_lshl_add_u64 v[4:5], v[4:5], 0, v[24:25]
	v_mov_b32_e32 v31, s7
	v_cndmask_b32_e64 v26, 0, 1, vcc
	s_waitcnt lgkmcnt(2)
	v_cmp_gt_i64_e32 vcc, v[2:3], v[12:13]
	v_lshl_add_u64 v[4:5], v[4:5], 0, v[26:27]
	v_mov_b32_e32 v33, s7
	v_cndmask_b32_e64 v28, 0, 1, vcc
	v_cmp_gt_i64_e32 vcc, v[2:3], v[14:15]
	v_lshl_add_u64 v[4:5], v[4:5], 0, v[28:29]
	v_mov_b32_e32 v35, s7
	v_cndmask_b32_e64 v30, 0, 1, vcc
	s_waitcnt lgkmcnt(1)
	v_cmp_gt_i64_e32 vcc, v[2:3], v[16:17]
	v_lshl_add_u64 v[4:5], v[4:5], 0, v[30:31]
	v_mov_b32_e32 v37, s7
	v_cndmask_b32_e64 v32, 0, 1, vcc
	v_cmp_gt_i64_e32 vcc, v[2:3], v[18:19]
	v_lshl_add_u64 v[4:5], v[4:5], 0, v[32:33]
	s_add_u32 s16, s16, 8
	v_cndmask_b32_e64 v34, 0, 1, vcc
	s_waitcnt lgkmcnt(0)
	v_cmp_gt_i64_e32 vcc, v[2:3], v[20:21]
	v_lshl_add_u64 v[4:5], v[4:5], 0, v[34:35]
	v_mov_b32_e32 v39, s7
	v_cndmask_b32_e64 v36, 0, 1, vcc
	v_cmp_gt_i64_e32 vcc, v[2:3], v[22:23]
	s_addc_u32 s17, s17, 0
	s_add_i32 s18, s18, 64
	v_cndmask_b32_e64 v38, 0, 1, vcc
	v_lshl_add_u64 v[4:5], v[4:5], 0, v[36:37]
	s_cmp_eq_u64 s[10:11], s[16:17]
	v_lshl_add_u64 v[4:5], v[4:5], 0, v[38:39]
	s_cbranch_scc0 .LBB82_64
; %bb.65:                               ;   in Loop: Header=BB82_62 Depth=1
	s_mov_b64 s[16:17], s[10:11]
.LBB82_66:                              ;   in Loop: Header=BB82_62 Depth=1
	s_and_b64 vcc, exec, s[2:3]
	s_cbranch_vccnz .LBB82_61
; %bb.67:                               ;   in Loop: Header=BB82_62 Depth=1
	s_lshl_b32 s16, s16, 3
	s_add_i32 s18, s16, 0
	s_mov_b64 s[16:17], s[6:7]
.LBB82_68:                              ;   Parent Loop BB82_62 Depth=1
                                        ; =>  This Inner Loop Header: Depth=2
	v_mov_b32_e32 v7, s18
	ds_read_b64 v[10:11], v7
	s_add_i32 s18, s18, 8
	s_add_u32 s16, s16, -1
	v_mov_b32_e32 v9, s7
	s_addc_u32 s17, s17, -1
	s_waitcnt lgkmcnt(0)
	v_cmp_gt_i64_e32 vcc, v[2:3], v[10:11]
	s_cmp_lg_u64 s[16:17], 0
	s_nop 0
	v_cndmask_b32_e64 v8, 0, 1, vcc
	v_lshl_add_u64 v[4:5], v[4:5], 0, v[8:9]
	s_cbranch_scc1 .LBB82_68
	s_branch .LBB82_61
.LBB82_69:
	s_endpgm
	.section	.rodata,"a",@progbits
	.p2align	6, 0x0
	.amdhsa_kernel _ZN9rocsparseL41csrgemm_numeric_fill_block_per_row_kernelILj128ELj16ELj256ELj137ELj32EllfEEvT5_PKS1_S3_NS_24const_host_device_scalarIT6_EEPKT4_S3_PKS5_S9_S3_SB_S6_S9_S3_SB_S9_S3_PS5_21rocsparse_index_base_SD_SD_SD_bbb
		.amdhsa_group_segment_fixed_size 0
		.amdhsa_private_segment_fixed_size 0
		.amdhsa_kernarg_size 156
		.amdhsa_user_sgpr_count 2
		.amdhsa_user_sgpr_dispatch_ptr 0
		.amdhsa_user_sgpr_queue_ptr 0
		.amdhsa_user_sgpr_kernarg_segment_ptr 1
		.amdhsa_user_sgpr_dispatch_id 0
		.amdhsa_user_sgpr_kernarg_preload_length 0
		.amdhsa_user_sgpr_kernarg_preload_offset 0
		.amdhsa_user_sgpr_private_segment_size 0
		.amdhsa_uses_dynamic_stack 0
		.amdhsa_enable_private_segment 0
		.amdhsa_system_sgpr_workgroup_id_x 1
		.amdhsa_system_sgpr_workgroup_id_y 0
		.amdhsa_system_sgpr_workgroup_id_z 0
		.amdhsa_system_sgpr_workgroup_info 0
		.amdhsa_system_vgpr_workitem_id 0
		.amdhsa_next_free_vgpr 40
		.amdhsa_next_free_sgpr 58
		.amdhsa_accum_offset 40
		.amdhsa_reserve_vcc 1
		.amdhsa_float_round_mode_32 0
		.amdhsa_float_round_mode_16_64 0
		.amdhsa_float_denorm_mode_32 3
		.amdhsa_float_denorm_mode_16_64 3
		.amdhsa_dx10_clamp 1
		.amdhsa_ieee_mode 1
		.amdhsa_fp16_overflow 0
		.amdhsa_tg_split 0
		.amdhsa_exception_fp_ieee_invalid_op 0
		.amdhsa_exception_fp_denorm_src 0
		.amdhsa_exception_fp_ieee_div_zero 0
		.amdhsa_exception_fp_ieee_overflow 0
		.amdhsa_exception_fp_ieee_underflow 0
		.amdhsa_exception_fp_ieee_inexact 0
		.amdhsa_exception_int_div_zero 0
	.end_amdhsa_kernel
	.section	.text._ZN9rocsparseL41csrgemm_numeric_fill_block_per_row_kernelILj128ELj16ELj256ELj137ELj32EllfEEvT5_PKS1_S3_NS_24const_host_device_scalarIT6_EEPKT4_S3_PKS5_S9_S3_SB_S6_S9_S3_SB_S9_S3_PS5_21rocsparse_index_base_SD_SD_SD_bbb,"axG",@progbits,_ZN9rocsparseL41csrgemm_numeric_fill_block_per_row_kernelILj128ELj16ELj256ELj137ELj32EllfEEvT5_PKS1_S3_NS_24const_host_device_scalarIT6_EEPKT4_S3_PKS5_S9_S3_SB_S6_S9_S3_SB_S9_S3_PS5_21rocsparse_index_base_SD_SD_SD_bbb,comdat
.Lfunc_end82:
	.size	_ZN9rocsparseL41csrgemm_numeric_fill_block_per_row_kernelILj128ELj16ELj256ELj137ELj32EllfEEvT5_PKS1_S3_NS_24const_host_device_scalarIT6_EEPKT4_S3_PKS5_S9_S3_SB_S6_S9_S3_SB_S9_S3_PS5_21rocsparse_index_base_SD_SD_SD_bbb, .Lfunc_end82-_ZN9rocsparseL41csrgemm_numeric_fill_block_per_row_kernelILj128ELj16ELj256ELj137ELj32EllfEEvT5_PKS1_S3_NS_24const_host_device_scalarIT6_EEPKT4_S3_PKS5_S9_S3_SB_S6_S9_S3_SB_S9_S3_PS5_21rocsparse_index_base_SD_SD_SD_bbb
                                        ; -- End function
	.set _ZN9rocsparseL41csrgemm_numeric_fill_block_per_row_kernelILj128ELj16ELj256ELj137ELj32EllfEEvT5_PKS1_S3_NS_24const_host_device_scalarIT6_EEPKT4_S3_PKS5_S9_S3_SB_S6_S9_S3_SB_S9_S3_PS5_21rocsparse_index_base_SD_SD_SD_bbb.num_vgpr, 40
	.set _ZN9rocsparseL41csrgemm_numeric_fill_block_per_row_kernelILj128ELj16ELj256ELj137ELj32EllfEEvT5_PKS1_S3_NS_24const_host_device_scalarIT6_EEPKT4_S3_PKS5_S9_S3_SB_S6_S9_S3_SB_S9_S3_PS5_21rocsparse_index_base_SD_SD_SD_bbb.num_agpr, 0
	.set _ZN9rocsparseL41csrgemm_numeric_fill_block_per_row_kernelILj128ELj16ELj256ELj137ELj32EllfEEvT5_PKS1_S3_NS_24const_host_device_scalarIT6_EEPKT4_S3_PKS5_S9_S3_SB_S6_S9_S3_SB_S9_S3_PS5_21rocsparse_index_base_SD_SD_SD_bbb.numbered_sgpr, 58
	.set _ZN9rocsparseL41csrgemm_numeric_fill_block_per_row_kernelILj128ELj16ELj256ELj137ELj32EllfEEvT5_PKS1_S3_NS_24const_host_device_scalarIT6_EEPKT4_S3_PKS5_S9_S3_SB_S6_S9_S3_SB_S9_S3_PS5_21rocsparse_index_base_SD_SD_SD_bbb.num_named_barrier, 0
	.set _ZN9rocsparseL41csrgemm_numeric_fill_block_per_row_kernelILj128ELj16ELj256ELj137ELj32EllfEEvT5_PKS1_S3_NS_24const_host_device_scalarIT6_EEPKT4_S3_PKS5_S9_S3_SB_S6_S9_S3_SB_S9_S3_PS5_21rocsparse_index_base_SD_SD_SD_bbb.private_seg_size, 0
	.set _ZN9rocsparseL41csrgemm_numeric_fill_block_per_row_kernelILj128ELj16ELj256ELj137ELj32EllfEEvT5_PKS1_S3_NS_24const_host_device_scalarIT6_EEPKT4_S3_PKS5_S9_S3_SB_S6_S9_S3_SB_S9_S3_PS5_21rocsparse_index_base_SD_SD_SD_bbb.uses_vcc, 1
	.set _ZN9rocsparseL41csrgemm_numeric_fill_block_per_row_kernelILj128ELj16ELj256ELj137ELj32EllfEEvT5_PKS1_S3_NS_24const_host_device_scalarIT6_EEPKT4_S3_PKS5_S9_S3_SB_S6_S9_S3_SB_S9_S3_PS5_21rocsparse_index_base_SD_SD_SD_bbb.uses_flat_scratch, 0
	.set _ZN9rocsparseL41csrgemm_numeric_fill_block_per_row_kernelILj128ELj16ELj256ELj137ELj32EllfEEvT5_PKS1_S3_NS_24const_host_device_scalarIT6_EEPKT4_S3_PKS5_S9_S3_SB_S6_S9_S3_SB_S9_S3_PS5_21rocsparse_index_base_SD_SD_SD_bbb.has_dyn_sized_stack, 0
	.set _ZN9rocsparseL41csrgemm_numeric_fill_block_per_row_kernelILj128ELj16ELj256ELj137ELj32EllfEEvT5_PKS1_S3_NS_24const_host_device_scalarIT6_EEPKT4_S3_PKS5_S9_S3_SB_S6_S9_S3_SB_S9_S3_PS5_21rocsparse_index_base_SD_SD_SD_bbb.has_recursion, 0
	.set _ZN9rocsparseL41csrgemm_numeric_fill_block_per_row_kernelILj128ELj16ELj256ELj137ELj32EllfEEvT5_PKS1_S3_NS_24const_host_device_scalarIT6_EEPKT4_S3_PKS5_S9_S3_SB_S6_S9_S3_SB_S9_S3_PS5_21rocsparse_index_base_SD_SD_SD_bbb.has_indirect_call, 0
	.section	.AMDGPU.csdata,"",@progbits
; Kernel info:
; codeLenInByte = 2576
; TotalNumSgprs: 64
; NumVgprs: 40
; NumAgprs: 0
; TotalNumVgprs: 40
; ScratchSize: 0
; MemoryBound: 0
; FloatMode: 240
; IeeeMode: 1
; LDSByteSize: 0 bytes/workgroup (compile time only)
; SGPRBlocks: 7
; VGPRBlocks: 4
; NumSGPRsForWavesPerEU: 64
; NumVGPRsForWavesPerEU: 40
; AccumOffset: 40
; Occupancy: 8
; WaveLimiterHint : 1
; COMPUTE_PGM_RSRC2:SCRATCH_EN: 0
; COMPUTE_PGM_RSRC2:USER_SGPR: 2
; COMPUTE_PGM_RSRC2:TRAP_HANDLER: 0
; COMPUTE_PGM_RSRC2:TGID_X_EN: 1
; COMPUTE_PGM_RSRC2:TGID_Y_EN: 0
; COMPUTE_PGM_RSRC2:TGID_Z_EN: 0
; COMPUTE_PGM_RSRC2:TIDIG_COMP_CNT: 0
; COMPUTE_PGM_RSRC3_GFX90A:ACCUM_OFFSET: 9
; COMPUTE_PGM_RSRC3_GFX90A:TG_SPLIT: 0
	.section	.text._ZN9rocsparseL41csrgemm_numeric_fill_block_per_row_kernelILj128ELj16ELj256ELj137ELj64EllfEEvT5_PKS1_S3_NS_24const_host_device_scalarIT6_EEPKT4_S3_PKS5_S9_S3_SB_S6_S9_S3_SB_S9_S3_PS5_21rocsparse_index_base_SD_SD_SD_bbb,"axG",@progbits,_ZN9rocsparseL41csrgemm_numeric_fill_block_per_row_kernelILj128ELj16ELj256ELj137ELj64EllfEEvT5_PKS1_S3_NS_24const_host_device_scalarIT6_EEPKT4_S3_PKS5_S9_S3_SB_S6_S9_S3_SB_S9_S3_PS5_21rocsparse_index_base_SD_SD_SD_bbb,comdat
	.globl	_ZN9rocsparseL41csrgemm_numeric_fill_block_per_row_kernelILj128ELj16ELj256ELj137ELj64EllfEEvT5_PKS1_S3_NS_24const_host_device_scalarIT6_EEPKT4_S3_PKS5_S9_S3_SB_S6_S9_S3_SB_S9_S3_PS5_21rocsparse_index_base_SD_SD_SD_bbb ; -- Begin function _ZN9rocsparseL41csrgemm_numeric_fill_block_per_row_kernelILj128ELj16ELj256ELj137ELj64EllfEEvT5_PKS1_S3_NS_24const_host_device_scalarIT6_EEPKT4_S3_PKS5_S9_S3_SB_S6_S9_S3_SB_S9_S3_PS5_21rocsparse_index_base_SD_SD_SD_bbb
	.p2align	8
	.type	_ZN9rocsparseL41csrgemm_numeric_fill_block_per_row_kernelILj128ELj16ELj256ELj137ELj64EllfEEvT5_PKS1_S3_NS_24const_host_device_scalarIT6_EEPKT4_S3_PKS5_S9_S3_SB_S6_S9_S3_SB_S9_S3_PS5_21rocsparse_index_base_SD_SD_SD_bbb,@function
_ZN9rocsparseL41csrgemm_numeric_fill_block_per_row_kernelILj128ELj16ELj256ELj137ELj64EllfEEvT5_PKS1_S3_NS_24const_host_device_scalarIT6_EEPKT4_S3_PKS5_S9_S3_SB_S6_S9_S3_SB_S9_S3_PS5_21rocsparse_index_base_SD_SD_SD_bbb: ; @_ZN9rocsparseL41csrgemm_numeric_fill_block_per_row_kernelILj128ELj16ELj256ELj137ELj64EllfEEvT5_PKS1_S3_NS_24const_host_device_scalarIT6_EEPKT4_S3_PKS5_S9_S3_SB_S6_S9_S3_SB_S9_S3_PS5_21rocsparse_index_base_SD_SD_SD_bbb
; %bb.0:
	s_load_dword s3, s[0:1], 0x98
	s_load_dwordx2 s[4:5], s[0:1], 0x18
	s_load_dwordx2 s[8:9], s[0:1], 0x50
	s_waitcnt lgkmcnt(0)
	s_bitcmp1_b32 s3, 0
	s_cselect_b64 s[6:7], -1, 0
	s_bitcmp1_b32 s3, 16
	s_cselect_b64 s[10:11], -1, 0
	s_xor_b64 s[12:13], s[6:7], -1
	s_or_b64 s[12:13], s[10:11], s[12:13]
	s_and_b64 vcc, exec, s[12:13]
	s_cbranch_vccnz .LBB83_2
; %bb.1:
	s_load_dword s4, s[4:5], 0x0
	s_waitcnt lgkmcnt(0)
	v_mov_b32_e32 v20, s4
	s_branch .LBB83_3
.LBB83_2:
	v_mov_b32_e32 v1, s4
	v_cndmask_b32_e64 v20, 0, v1, s[6:7]
.LBB83_3:
	s_load_dwordx4 s[24:27], s[0:1], 0x88
	s_bitcmp1_b32 s3, 8
	s_cselect_b64 s[4:5], -1, 0
	s_xor_b64 s[12:13], s[4:5], -1
	s_or_b64 s[10:11], s[10:11], s[12:13]
	s_and_b64 vcc, exec, s[10:11]
	s_cbranch_vccnz .LBB83_5
; %bb.4:
	s_load_dword s3, s[8:9], 0x0
	s_waitcnt lgkmcnt(0)
	v_mov_b32_e32 v19, s3
	s_branch .LBB83_6
.LBB83_5:
	v_mov_b32_e32 v1, s8
	v_cndmask_b32_e64 v19, 0, v1, s[4:5]
.LBB83_6:
	s_load_dwordx2 s[34:35], s[0:1], 0x80
	s_load_dwordx8 s[8:15], s[0:1], 0x58
	s_load_dwordx4 s[36:39], s[0:1], 0x40
	s_load_dwordx4 s[28:31], s[0:1], 0x0
	s_load_dwordx2 s[40:41], s[0:1], 0x10
	s_load_dwordx8 s[16:23], s[0:1], 0x20
	s_movk_i32 s0, 0x100
	v_cmp_gt_u32_e64 s[0:1], s0, v0
	v_lshl_add_u32 v18, v0, 2, 0
	v_lshl_add_u32 v1, v0, 3, 0
	s_and_saveexec_b64 s[42:43], s[0:1]
	s_cbranch_execz .LBB83_9
; %bb.7:
	v_add_u32_e32 v2, 0x800, v18
	v_or_b32_e32 v3, 0xffffff80, v0
	v_lshl_add_u32 v4, v0, 3, 0
	s_mov_b64 s[44:45], 0
	s_waitcnt lgkmcnt(0)
	v_mov_b64_e32 v[6:7], s[28:29]
	v_mov_b32_e32 v5, 0
.LBB83_8:                               ; =>This Inner Loop Header: Depth=1
	v_add_co_u32_e32 v3, vcc, 0x80, v3
	s_xor_b64 s[46:47], vcc, -1
	s_and_b64 s[46:47], exec, s[46:47]
	ds_write_b64 v4, v[6:7]
	ds_write_b32 v2, v5
	v_add_u32_e32 v2, 0x200, v2
	s_or_b64 s[44:45], s[46:47], s[44:45]
	v_add_u32_e32 v4, 0x400, v4
	s_andn2_b64 exec, exec, s[44:45]
	s_cbranch_execnz .LBB83_8
.LBB83_9:
	s_or_b64 exec, exec, s[42:43]
	s_waitcnt lgkmcnt(0)
	s_barrier
	s_load_dwordx2 s[30:31], s[30:31], 0x0
	s_mov_b32 s3, 0
	s_waitcnt lgkmcnt(0)
	s_lshl_b64 s[30:31], s[30:31], 3
	s_add_u32 s30, s40, s30
	s_addc_u32 s31, s41, s31
	s_lshl_b64 s[2:3], s[2:3], 3
	s_add_u32 s2, s30, s2
	s_addc_u32 s3, s31, s3
	s_load_dwordx2 s[30:31], s[2:3], 0x0
	s_and_b64 vcc, exec, s[6:7]
	s_cbranch_vccz .LBB83_29
; %bb.10:
	s_waitcnt lgkmcnt(0)
	s_lshl_b64 s[2:3], s[30:31], 3
	s_add_u32 s2, s16, s2
	s_addc_u32 s3, s17, s3
	s_load_dwordx4 s[40:43], s[2:3], 0x0
	v_lshrrev_b32_e32 v2, 4, v0
	v_subrev_co_u32_e32 v2, vcc, s24, v2
	s_waitcnt lgkmcnt(0)
	s_sub_u32 s2, s42, s24
	v_subb_co_u32_e64 v3, s[6:7], 0, 0, vcc
	s_subb_u32 s3, s43, 0
	v_lshl_add_u64 v[2:3], s[40:41], 0, v[2:3]
	v_cmp_gt_i64_e32 vcc, s[2:3], v[2:3]
	s_and_saveexec_b64 s[6:7], vcc
	s_cbranch_execz .LBB83_28
; %bb.11:
	v_and_b32_e32 v4, 15, v0
	v_subrev_co_u32_e32 v4, vcc, s25, v4
	s_mov_b32 s33, s25
	s_nop 0
	v_subb_co_u32_e64 v5, s[16:17], 0, 0, vcc
	s_mov_b64 s[16:17], 0
	s_movk_i32 s25, 0x89
	s_branch .LBB83_13
.LBB83_12:                              ;   in Loop: Header=BB83_13 Depth=1
	s_or_b64 exec, exec, s[40:41]
	v_lshl_add_u64 v[2:3], v[2:3], 0, 8
	v_cmp_le_i64_e32 vcc, s[2:3], v[2:3]
	s_or_b64 s[16:17], vcc, s[16:17]
	s_andn2_b64 exec, exec, s[16:17]
	s_cbranch_execz .LBB83_28
.LBB83_13:                              ; =>This Loop Header: Depth=1
                                        ;     Child Loop BB83_17 Depth 2
                                        ;       Child Loop BB83_20 Depth 3
	v_lshl_add_u64 v[6:7], v[2:3], 3, s[18:19]
	global_load_dwordx2 v[6:7], v[6:7], off
	s_waitcnt vmcnt(0)
	v_subrev_co_u32_e32 v6, vcc, s24, v6
	s_nop 1
	v_subbrev_co_u32_e32 v7, vcc, 0, v7, vcc
	v_lshl_add_u64 v[6:7], v[6:7], 3, s[22:23]
	global_load_dwordx4 v[8:11], v[6:7], off
	s_waitcnt vmcnt(0)
	v_subrev_co_u32_e32 v6, vcc, s33, v10
	s_nop 1
	v_subbrev_co_u32_e32 v7, vcc, 0, v11, vcc
	v_lshl_add_u64 v[8:9], v[8:9], 0, v[4:5]
	v_cmp_lt_i64_e32 vcc, v[8:9], v[6:7]
	s_and_saveexec_b64 s[40:41], vcc
	s_cbranch_execz .LBB83_12
; %bb.14:                               ;   in Loop: Header=BB83_13 Depth=1
	v_lshl_add_u64 v[10:11], v[2:3], 2, s[20:21]
	global_load_dword v10, v[10:11], off
	s_mov_b64 s[42:43], 0
	s_waitcnt vmcnt(0)
	v_mul_f32_e32 v21, v20, v10
	s_branch .LBB83_17
.LBB83_15:                              ;   in Loop: Header=BB83_17 Depth=2
	s_or_b64 exec, exec, s[46:47]
.LBB83_16:                              ;   in Loop: Header=BB83_17 Depth=2
	s_or_b64 exec, exec, s[44:45]
	s_waitcnt vmcnt(0)
	v_mul_f32_e32 v10, v21, v22
	v_lshl_add_u32 v11, v12, 2, 0
	ds_add_f32 v11, v10 offset:2048
	v_lshl_add_u64 v[8:9], v[8:9], 0, 16
	v_cmp_ge_i64_e32 vcc, v[8:9], v[6:7]
	s_or_b64 s[42:43], vcc, s[42:43]
	s_andn2_b64 exec, exec, s[42:43]
	s_cbranch_execz .LBB83_12
.LBB83_17:                              ;   Parent Loop BB83_13 Depth=1
                                        ; =>  This Loop Header: Depth=2
                                        ;       Child Loop BB83_20 Depth 3
	v_lshl_add_u64 v[10:11], v[8:9], 3, s[36:37]
	global_load_dwordx2 v[10:11], v[10:11], off
	v_lshl_add_u64 v[12:13], v[8:9], 2, s[38:39]
	global_load_dword v22, v[12:13], off
	s_waitcnt vmcnt(1)
	v_subrev_co_u32_e32 v10, vcc, s33, v10
	v_mul_lo_u32 v12, v10, s25
	v_and_b32_e32 v12, 0xff, v12
	v_lshl_add_u32 v23, v12, 3, 0
	ds_read_b64 v[16:17], v23
	v_subbrev_co_u32_e32 v11, vcc, 0, v11, vcc
	s_waitcnt lgkmcnt(0)
	v_cmp_ne_u64_e32 vcc, v[16:17], v[10:11]
	s_and_saveexec_b64 s[44:45], vcc
	s_cbranch_execz .LBB83_16
; %bb.18:                               ;   in Loop: Header=BB83_17 Depth=2
	s_mov_b64 s[46:47], 0
                                        ; implicit-def: $sgpr48_sgpr49
                                        ; implicit-def: $sgpr50_sgpr51
	s_branch .LBB83_20
.LBB83_19:                              ;   in Loop: Header=BB83_20 Depth=3
	s_or_b64 exec, exec, s[56:57]
	s_and_b64 s[52:53], exec, s[54:55]
	s_or_b64 s[46:47], s[52:53], s[46:47]
	s_andn2_b64 s[48:49], s[48:49], exec
	s_and_b64 s[52:53], s[50:51], exec
	s_or_b64 s[48:49], s[48:49], s[52:53]
	s_andn2_b64 exec, exec, s[46:47]
	s_cbranch_execz .LBB83_26
.LBB83_20:                              ;   Parent Loop BB83_13 Depth=1
                                        ;     Parent Loop BB83_17 Depth=2
                                        ; =>    This Inner Loop Header: Depth=3
	v_mov_b64_e32 v[14:15], v[12:13]
	v_cmp_ne_u64_e32 vcc, s[28:29], v[16:17]
	s_mov_b64 s[52:53], 0
                                        ; implicit-def: $vgpr12_vgpr13
	s_and_saveexec_b64 s[54:55], vcc
	s_xor_b64 s[54:55], exec, s[54:55]
; %bb.21:                               ;   in Loop: Header=BB83_20 Depth=3
	v_add_u32_e32 v12, 1, v14
	s_mov_b64 s[52:53], exec
	v_and_b32_e32 v12, 0xff, v12
                                        ; implicit-def: $vgpr23
; %bb.22:                               ;   in Loop: Header=BB83_20 Depth=3
	s_andn2_saveexec_b64 s[54:55], s[54:55]
	s_cbranch_execz .LBB83_24
; %bb.23:                               ;   in Loop: Header=BB83_20 Depth=3
	v_mov_b64_e32 v[12:13], s[28:29]
	ds_cmpst_rtn_b64 v[12:13], v23, v[12:13], v[10:11]
	s_andn2_b64 s[52:53], s[52:53], exec
	s_waitcnt lgkmcnt(0)
	v_cmp_ne_u64_e32 vcc, s[28:29], v[12:13]
	s_and_b64 s[56:57], vcc, exec
	s_or_b64 s[52:53], s[52:53], s[56:57]
	v_mov_b64_e32 v[12:13], v[14:15]
.LBB83_24:                              ;   in Loop: Header=BB83_20 Depth=3
	s_or_b64 exec, exec, s[54:55]
	s_mov_b64 s[54:55], -1
	s_or_b64 s[50:51], s[50:51], exec
                                        ; implicit-def: $vgpr23
                                        ; implicit-def: $vgpr16_vgpr17
	s_and_saveexec_b64 s[56:57], s[52:53]
	s_cbranch_execz .LBB83_19
; %bb.25:                               ;   in Loop: Header=BB83_20 Depth=3
	v_lshl_add_u32 v23, v12, 3, 0
	ds_read_b64 v[16:17], v23
	s_andn2_b64 s[50:51], s[50:51], exec
	s_waitcnt lgkmcnt(0)
	v_cmp_eq_u64_e32 vcc, v[16:17], v[10:11]
	s_orn2_b64 s[54:55], vcc, exec
	s_branch .LBB83_19
.LBB83_26:                              ;   in Loop: Header=BB83_17 Depth=2
	s_or_b64 exec, exec, s[46:47]
	s_and_saveexec_b64 s[46:47], s[48:49]
	s_xor_b64 s[46:47], exec, s[46:47]
	s_cbranch_execz .LBB83_15
; %bb.27:                               ;   in Loop: Header=BB83_17 Depth=2
	v_mov_b32_e32 v12, v14
	s_branch .LBB83_15
.LBB83_28:
	s_or_b64 exec, exec, s[6:7]
.LBB83_29:
	s_andn2_b64 vcc, exec, s[4:5]
	s_cbranch_vccnz .LBB83_46
; %bb.30:
	s_waitcnt lgkmcnt(0)
	s_lshl_b64 s[2:3], s[30:31], 3
	s_add_u32 s2, s8, s2
	s_addc_u32 s3, s9, s3
	s_load_dwordx4 s[4:7], s[2:3], 0x0
	v_subrev_co_u32_e32 v2, vcc, s27, v0
	s_waitcnt lgkmcnt(0)
	s_sub_u32 s2, s6, s27
	s_subb_u32 s3, s7, 0
	v_subb_co_u32_e64 v3, s[6:7], 0, 0, vcc
	v_lshl_add_u64 v[2:3], s[4:5], 0, v[2:3]
	v_cmp_gt_i64_e32 vcc, s[2:3], v[2:3]
	s_and_saveexec_b64 s[4:5], vcc
	s_cbranch_execz .LBB83_45
; %bb.31:
	s_mov_b32 s33, s27
	s_mov_b64 s[6:7], 0
	s_movk_i32 s27, 0x89
	s_mov_b64 s[8:9], 0x80
	s_branch .LBB83_34
.LBB83_32:                              ;   in Loop: Header=BB83_34 Depth=1
	s_or_b64 exec, exec, s[18:19]
.LBB83_33:                              ;   in Loop: Header=BB83_34 Depth=1
	s_or_b64 exec, exec, s[16:17]
	s_waitcnt vmcnt(0)
	v_mul_f32_e32 v4, v19, v12
	v_lshl_add_u32 v5, v6, 2, 0
	ds_add_f32 v5, v4 offset:2048
	v_lshl_add_u64 v[2:3], v[2:3], 0, s[8:9]
	v_cmp_le_i64_e32 vcc, s[2:3], v[2:3]
	s_or_b64 s[6:7], vcc, s[6:7]
	s_andn2_b64 exec, exec, s[6:7]
	s_cbranch_execz .LBB83_45
.LBB83_34:                              ; =>This Loop Header: Depth=1
                                        ;     Child Loop BB83_37 Depth 2
	v_lshl_add_u64 v[4:5], v[2:3], 3, s[10:11]
	global_load_dwordx2 v[4:5], v[4:5], off
	v_lshl_add_u64 v[6:7], v[2:3], 2, s[12:13]
	global_load_dword v12, v[6:7], off
	s_waitcnt vmcnt(1)
	v_subrev_co_u32_e32 v4, vcc, s33, v4
	v_mul_lo_u32 v6, v4, s27
	v_and_b32_e32 v6, 0xff, v6
	v_lshl_add_u32 v13, v6, 3, 0
	ds_read_b64 v[10:11], v13
	v_subbrev_co_u32_e32 v5, vcc, 0, v5, vcc
	s_waitcnt lgkmcnt(0)
	v_cmp_ne_u64_e32 vcc, v[10:11], v[4:5]
	s_and_saveexec_b64 s[16:17], vcc
	s_cbranch_execz .LBB83_33
; %bb.35:                               ;   in Loop: Header=BB83_34 Depth=1
	s_mov_b64 s[18:19], 0
                                        ; implicit-def: $sgpr20_sgpr21
                                        ; implicit-def: $sgpr22_sgpr23
	s_branch .LBB83_37
.LBB83_36:                              ;   in Loop: Header=BB83_37 Depth=2
	s_or_b64 exec, exec, s[38:39]
	s_and_b64 s[24:25], exec, s[36:37]
	s_or_b64 s[18:19], s[24:25], s[18:19]
	s_andn2_b64 s[20:21], s[20:21], exec
	s_and_b64 s[24:25], s[22:23], exec
	s_or_b64 s[20:21], s[20:21], s[24:25]
	s_andn2_b64 exec, exec, s[18:19]
	s_cbranch_execz .LBB83_43
.LBB83_37:                              ;   Parent Loop BB83_34 Depth=1
                                        ; =>  This Inner Loop Header: Depth=2
	v_mov_b64_e32 v[8:9], v[6:7]
	v_cmp_ne_u64_e32 vcc, s[28:29], v[10:11]
	s_mov_b64 s[24:25], 0
                                        ; implicit-def: $vgpr6_vgpr7
	s_and_saveexec_b64 s[36:37], vcc
	s_xor_b64 s[36:37], exec, s[36:37]
; %bb.38:                               ;   in Loop: Header=BB83_37 Depth=2
	v_add_u32_e32 v6, 1, v8
	s_mov_b64 s[24:25], exec
	v_and_b32_e32 v6, 0xff, v6
                                        ; implicit-def: $vgpr13
; %bb.39:                               ;   in Loop: Header=BB83_37 Depth=2
	s_andn2_saveexec_b64 s[36:37], s[36:37]
	s_cbranch_execz .LBB83_41
; %bb.40:                               ;   in Loop: Header=BB83_37 Depth=2
	v_mov_b64_e32 v[6:7], s[28:29]
	ds_cmpst_rtn_b64 v[6:7], v13, v[6:7], v[4:5]
	s_andn2_b64 s[24:25], s[24:25], exec
	s_waitcnt lgkmcnt(0)
	v_cmp_ne_u64_e32 vcc, s[28:29], v[6:7]
	s_and_b64 s[38:39], vcc, exec
	s_or_b64 s[24:25], s[24:25], s[38:39]
	v_mov_b64_e32 v[6:7], v[8:9]
.LBB83_41:                              ;   in Loop: Header=BB83_37 Depth=2
	s_or_b64 exec, exec, s[36:37]
	s_mov_b64 s[36:37], -1
	s_or_b64 s[22:23], s[22:23], exec
                                        ; implicit-def: $vgpr13
                                        ; implicit-def: $vgpr10_vgpr11
	s_and_saveexec_b64 s[38:39], s[24:25]
	s_cbranch_execz .LBB83_36
; %bb.42:                               ;   in Loop: Header=BB83_37 Depth=2
	v_lshl_add_u32 v13, v6, 3, 0
	ds_read_b64 v[10:11], v13
	s_andn2_b64 s[22:23], s[22:23], exec
	s_waitcnt lgkmcnt(0)
	v_cmp_eq_u64_e32 vcc, v[10:11], v[4:5]
	s_orn2_b64 s[36:37], vcc, exec
	s_branch .LBB83_36
.LBB83_43:                              ;   in Loop: Header=BB83_34 Depth=1
	s_or_b64 exec, exec, s[18:19]
	s_and_saveexec_b64 s[18:19], s[20:21]
	s_xor_b64 s[18:19], exec, s[18:19]
	s_cbranch_execz .LBB83_32
; %bb.44:                               ;   in Loop: Header=BB83_34 Depth=1
	v_mov_b32_e32 v6, v8
	s_branch .LBB83_32
.LBB83_45:
	s_or_b64 exec, exec, s[4:5]
.LBB83_46:
	s_waitcnt lgkmcnt(0)
	s_barrier
	s_and_saveexec_b64 s[4:5], s[0:1]
	s_cbranch_execz .LBB83_55
; %bb.47:
	v_mbcnt_lo_u32_b32 v2, -1, 0
	v_mbcnt_hi_u32_b32 v2, -1, v2
	v_sub_u32_e32 v2, 63, v2
	v_lshrrev_b64 v[4:5], v2, -1
	v_lshrrev_b32_e32 v2, 3, v0
	v_and_b32_e32 v2, 8, v2
	s_movk_i32 s2, 0x7f
	v_mov_b32_e32 v3, 0
	v_add_u32_e32 v12, 0, v2
	v_cmp_lt_u32_e64 s[0:1], 63, v0
	v_cmp_eq_u32_e64 s[2:3], s2, v0
	v_add_u32_e32 v13, 0x800, v18
	v_or_b32_e32 v14, 0xffffff80, v0
	s_mov_b64 s[6:7], 0
	v_mov_b64_e32 v[6:7], 0
	s_branch .LBB83_49
.LBB83_48:                              ;   in Loop: Header=BB83_49 Depth=1
	s_or_b64 exec, exec, s[8:9]
	s_waitcnt lgkmcnt(0)
	s_barrier
	ds_read_b64 v[8:9], v3 offset:3080
	v_add_co_u32_e32 v14, vcc, 0x80, v14
	s_xor_b64 s[8:9], vcc, -1
	s_and_b64 s[8:9], exec, s[8:9]
	v_add_u32_e32 v13, 0x200, v13
	s_waitcnt lgkmcnt(0)
	v_lshl_add_u64 v[6:7], v[8:9], 0, v[6:7]
	s_or_b64 s[6:7], s[8:9], s[6:7]
	v_add_u32_e32 v1, 0x400, v1
	s_andn2_b64 exec, exec, s[6:7]
	s_cbranch_execz .LBB83_55
.LBB83_49:                              ; =>This Inner Loop Header: Depth=1
	ds_read_b64 v[8:9], v1
	ds_read_b32 v15, v13
	v_mov_b32_e32 v17, v3
	s_waitcnt lgkmcnt(0)
	s_barrier
	v_cmp_gt_i64_e32 vcc, s[28:29], v[8:9]
	s_bcnt1_i32_b64 s8, vcc
	v_mov_b32_e32 v16, s8
	v_and_b32_e32 v10, vcc_lo, v4
	v_and_b32_e32 v2, vcc_hi, v5
	v_bcnt_u32_b32 v10, v10, 0
	v_bcnt_u32_b32 v2, v2, v10
	v_mov_b64_e32 v[10:11], v[2:3]
	ds_write_b64 v12, v[16:17] offset:3072
	s_waitcnt lgkmcnt(0)
	s_barrier
	s_and_saveexec_b64 s[8:9], s[0:1]
	s_cbranch_execnz .LBB83_52
; %bb.50:                               ;   in Loop: Header=BB83_49 Depth=1
	s_or_b64 exec, exec, s[8:9]
	s_and_saveexec_b64 s[8:9], vcc
	s_cbranch_execnz .LBB83_53
.LBB83_51:                              ;   in Loop: Header=BB83_49 Depth=1
	s_or_b64 exec, exec, s[8:9]
	s_and_saveexec_b64 s[8:9], s[2:3]
	s_cbranch_execz .LBB83_48
	s_branch .LBB83_54
.LBB83_52:                              ;   in Loop: Header=BB83_49 Depth=1
	ds_read_b64 v[10:11], v3 offset:3072
	s_waitcnt lgkmcnt(0)
	v_lshl_add_u64 v[10:11], v[10:11], 0, v[2:3]
	s_or_b64 exec, exec, s[8:9]
	s_and_saveexec_b64 s[8:9], vcc
	s_cbranch_execz .LBB83_51
.LBB83_53:                              ;   in Loop: Header=BB83_49 Depth=1
	v_add3_u32 v2, v6, -1, v10
	v_lshl_add_u32 v2, v2, 3, 0
	v_add_u32_e32 v11, v6, v10
	v_lshl_add_u32 v11, v11, 2, 0
	ds_write_b64 v2, v[8:9]
	ds_write_b32 v11, v15 offset:2044
	s_or_b64 exec, exec, s[8:9]
	s_and_saveexec_b64 s[8:9], s[2:3]
	s_cbranch_execz .LBB83_48
.LBB83_54:                              ;   in Loop: Header=BB83_49 Depth=1
	v_ashrrev_i32_e32 v11, 31, v10
	ds_write_b64 v3, v[10:11] offset:3080
	s_branch .LBB83_48
.LBB83_55:
	s_or_b64 exec, exec, s[4:5]
	s_lshl_b64 s[0:1], s[30:31], 3
	s_add_u32 s4, s14, s0
	s_addc_u32 s5, s15, s1
	s_load_dwordx4 s[0:3], s[4:5], 0x0
	v_mov_b32_e32 v1, 0
	s_waitcnt lgkmcnt(0)
	s_sub_u32 s4, s2, s0
	s_subb_u32 s5, s3, s1
	v_cmp_gt_i64_e32 vcc, s[4:5], v[0:1]
	s_and_saveexec_b64 s[6:7], vcc
	s_cbranch_execz .LBB83_65
; %bb.56:
	s_sub_u32 s8, s0, s26
	s_subb_u32 s9, s1, 0
	s_and_b32 s6, s4, 7
	s_sub_u32 s0, s0, s2
	s_mov_b32 s7, 0
	s_subb_u32 s1, s1, s3
	s_and_b32 s10, s4, -8
	s_cmp_lg_u64 s[6:7], 0
	v_cmp_lt_u64_e64 s[0:1], s[0:1], -7
	s_cselect_b64 s[2:3], -1, 0
	s_mov_b32 s11, s5
	v_cndmask_b32_e64 v2, 0, 1, s[0:1]
	v_cmp_ne_u32_e64 s[0:1], 1, v2
	v_cndmask_b32_e64 v2, 0, 1, s[2:3]
	s_mov_b64 s[12:13], 0
	v_cmp_ne_u32_e64 s[2:3], 1, v2
	s_mov_b64 s[14:15], 0x80
	s_branch .LBB83_58
.LBB83_57:                              ;   in Loop: Header=BB83_58 Depth=1
	v_lshl_add_u64 v[0:1], v[0:1], 0, s[14:15]
	v_cmp_le_i64_e32 vcc, s[4:5], v[0:1]
	s_waitcnt lgkmcnt(1)
	v_lshl_add_u64 v[2:3], v[4:5], 2, s[34:35]
	s_or_b64 s[12:13], vcc, s[12:13]
	s_waitcnt lgkmcnt(0)
	global_store_dword v[2:3], v6, off
	s_andn2_b64 exec, exec, s[12:13]
	s_cbranch_execz .LBB83_65
.LBB83_58:                              ; =>This Loop Header: Depth=1
                                        ;     Child Loop BB83_60 Depth 2
                                        ;     Child Loop BB83_64 Depth 2
	v_lshl_add_u32 v2, v0, 3, 0
	v_lshlrev_b32_e32 v3, 2, v0
	v_sub_u32_e32 v4, v2, v3
	ds_read_b64 v[2:3], v2
	ds_read_b32 v6, v4 offset:2048
	s_and_b64 vcc, exec, s[0:1]
	v_mov_b64_e32 v[4:5], s[8:9]
	s_mov_b64 s[16:17], 0
	s_cbranch_vccnz .LBB83_62
; %bb.59:                               ;   in Loop: Header=BB83_58 Depth=1
	s_mov_b32 s18, 0
	v_mov_b64_e32 v[4:5], s[8:9]
.LBB83_60:                              ;   Parent Loop BB83_58 Depth=1
                                        ; =>  This Inner Loop Header: Depth=2
	v_mov_b32_e32 v7, s18
	ds_read2_b64 v[8:11], v7 offset1:1
	ds_read2_b64 v[12:15], v7 offset0:2 offset1:3
	ds_read2_b64 v[16:19], v7 offset0:4 offset1:5
	ds_read2_b64 v[20:23], v7 offset0:6 offset1:7
	v_mov_b32_e32 v25, s7
	s_waitcnt lgkmcnt(3)
	v_cmp_gt_i64_e32 vcc, v[2:3], v[8:9]
	v_mov_b32_e32 v27, s7
	v_mov_b32_e32 v29, s7
	v_cndmask_b32_e64 v24, 0, 1, vcc
	v_cmp_gt_i64_e32 vcc, v[2:3], v[10:11]
	v_lshl_add_u64 v[4:5], v[4:5], 0, v[24:25]
	v_mov_b32_e32 v31, s7
	v_cndmask_b32_e64 v26, 0, 1, vcc
	s_waitcnt lgkmcnt(2)
	v_cmp_gt_i64_e32 vcc, v[2:3], v[12:13]
	v_lshl_add_u64 v[4:5], v[4:5], 0, v[26:27]
	v_mov_b32_e32 v33, s7
	v_cndmask_b32_e64 v28, 0, 1, vcc
	v_cmp_gt_i64_e32 vcc, v[2:3], v[14:15]
	v_lshl_add_u64 v[4:5], v[4:5], 0, v[28:29]
	v_mov_b32_e32 v35, s7
	v_cndmask_b32_e64 v30, 0, 1, vcc
	s_waitcnt lgkmcnt(1)
	v_cmp_gt_i64_e32 vcc, v[2:3], v[16:17]
	v_lshl_add_u64 v[4:5], v[4:5], 0, v[30:31]
	v_mov_b32_e32 v37, s7
	v_cndmask_b32_e64 v32, 0, 1, vcc
	v_cmp_gt_i64_e32 vcc, v[2:3], v[18:19]
	v_lshl_add_u64 v[4:5], v[4:5], 0, v[32:33]
	s_add_u32 s16, s16, 8
	v_cndmask_b32_e64 v34, 0, 1, vcc
	s_waitcnt lgkmcnt(0)
	v_cmp_gt_i64_e32 vcc, v[2:3], v[20:21]
	v_lshl_add_u64 v[4:5], v[4:5], 0, v[34:35]
	v_mov_b32_e32 v39, s7
	v_cndmask_b32_e64 v36, 0, 1, vcc
	v_cmp_gt_i64_e32 vcc, v[2:3], v[22:23]
	s_addc_u32 s17, s17, 0
	s_add_i32 s18, s18, 64
	v_cndmask_b32_e64 v38, 0, 1, vcc
	v_lshl_add_u64 v[4:5], v[4:5], 0, v[36:37]
	s_cmp_eq_u64 s[10:11], s[16:17]
	v_lshl_add_u64 v[4:5], v[4:5], 0, v[38:39]
	s_cbranch_scc0 .LBB83_60
; %bb.61:                               ;   in Loop: Header=BB83_58 Depth=1
	s_mov_b64 s[16:17], s[10:11]
.LBB83_62:                              ;   in Loop: Header=BB83_58 Depth=1
	s_and_b64 vcc, exec, s[2:3]
	s_cbranch_vccnz .LBB83_57
; %bb.63:                               ;   in Loop: Header=BB83_58 Depth=1
	s_lshl_b32 s16, s16, 3
	s_add_i32 s18, s16, 0
	s_mov_b64 s[16:17], s[6:7]
.LBB83_64:                              ;   Parent Loop BB83_58 Depth=1
                                        ; =>  This Inner Loop Header: Depth=2
	v_mov_b32_e32 v7, s18
	ds_read_b64 v[10:11], v7
	s_add_i32 s18, s18, 8
	s_add_u32 s16, s16, -1
	v_mov_b32_e32 v9, s7
	s_addc_u32 s17, s17, -1
	s_waitcnt lgkmcnt(0)
	v_cmp_gt_i64_e32 vcc, v[2:3], v[10:11]
	s_cmp_lg_u64 s[16:17], 0
	s_nop 0
	v_cndmask_b32_e64 v8, 0, 1, vcc
	v_lshl_add_u64 v[4:5], v[4:5], 0, v[8:9]
	s_cbranch_scc1 .LBB83_64
	s_branch .LBB83_57
.LBB83_65:
	s_endpgm
	.section	.rodata,"a",@progbits
	.p2align	6, 0x0
	.amdhsa_kernel _ZN9rocsparseL41csrgemm_numeric_fill_block_per_row_kernelILj128ELj16ELj256ELj137ELj64EllfEEvT5_PKS1_S3_NS_24const_host_device_scalarIT6_EEPKT4_S3_PKS5_S9_S3_SB_S6_S9_S3_SB_S9_S3_PS5_21rocsparse_index_base_SD_SD_SD_bbb
		.amdhsa_group_segment_fixed_size 0
		.amdhsa_private_segment_fixed_size 0
		.amdhsa_kernarg_size 156
		.amdhsa_user_sgpr_count 2
		.amdhsa_user_sgpr_dispatch_ptr 0
		.amdhsa_user_sgpr_queue_ptr 0
		.amdhsa_user_sgpr_kernarg_segment_ptr 1
		.amdhsa_user_sgpr_dispatch_id 0
		.amdhsa_user_sgpr_kernarg_preload_length 0
		.amdhsa_user_sgpr_kernarg_preload_offset 0
		.amdhsa_user_sgpr_private_segment_size 0
		.amdhsa_uses_dynamic_stack 0
		.amdhsa_enable_private_segment 0
		.amdhsa_system_sgpr_workgroup_id_x 1
		.amdhsa_system_sgpr_workgroup_id_y 0
		.amdhsa_system_sgpr_workgroup_id_z 0
		.amdhsa_system_sgpr_workgroup_info 0
		.amdhsa_system_vgpr_workitem_id 0
		.amdhsa_next_free_vgpr 40
		.amdhsa_next_free_sgpr 58
		.amdhsa_accum_offset 40
		.amdhsa_reserve_vcc 1
		.amdhsa_float_round_mode_32 0
		.amdhsa_float_round_mode_16_64 0
		.amdhsa_float_denorm_mode_32 3
		.amdhsa_float_denorm_mode_16_64 3
		.amdhsa_dx10_clamp 1
		.amdhsa_ieee_mode 1
		.amdhsa_fp16_overflow 0
		.amdhsa_tg_split 0
		.amdhsa_exception_fp_ieee_invalid_op 0
		.amdhsa_exception_fp_denorm_src 0
		.amdhsa_exception_fp_ieee_div_zero 0
		.amdhsa_exception_fp_ieee_overflow 0
		.amdhsa_exception_fp_ieee_underflow 0
		.amdhsa_exception_fp_ieee_inexact 0
		.amdhsa_exception_int_div_zero 0
	.end_amdhsa_kernel
	.section	.text._ZN9rocsparseL41csrgemm_numeric_fill_block_per_row_kernelILj128ELj16ELj256ELj137ELj64EllfEEvT5_PKS1_S3_NS_24const_host_device_scalarIT6_EEPKT4_S3_PKS5_S9_S3_SB_S6_S9_S3_SB_S9_S3_PS5_21rocsparse_index_base_SD_SD_SD_bbb,"axG",@progbits,_ZN9rocsparseL41csrgemm_numeric_fill_block_per_row_kernelILj128ELj16ELj256ELj137ELj64EllfEEvT5_PKS1_S3_NS_24const_host_device_scalarIT6_EEPKT4_S3_PKS5_S9_S3_SB_S6_S9_S3_SB_S9_S3_PS5_21rocsparse_index_base_SD_SD_SD_bbb,comdat
.Lfunc_end83:
	.size	_ZN9rocsparseL41csrgemm_numeric_fill_block_per_row_kernelILj128ELj16ELj256ELj137ELj64EllfEEvT5_PKS1_S3_NS_24const_host_device_scalarIT6_EEPKT4_S3_PKS5_S9_S3_SB_S6_S9_S3_SB_S9_S3_PS5_21rocsparse_index_base_SD_SD_SD_bbb, .Lfunc_end83-_ZN9rocsparseL41csrgemm_numeric_fill_block_per_row_kernelILj128ELj16ELj256ELj137ELj64EllfEEvT5_PKS1_S3_NS_24const_host_device_scalarIT6_EEPKT4_S3_PKS5_S9_S3_SB_S6_S9_S3_SB_S9_S3_PS5_21rocsparse_index_base_SD_SD_SD_bbb
                                        ; -- End function
	.set _ZN9rocsparseL41csrgemm_numeric_fill_block_per_row_kernelILj128ELj16ELj256ELj137ELj64EllfEEvT5_PKS1_S3_NS_24const_host_device_scalarIT6_EEPKT4_S3_PKS5_S9_S3_SB_S6_S9_S3_SB_S9_S3_PS5_21rocsparse_index_base_SD_SD_SD_bbb.num_vgpr, 40
	.set _ZN9rocsparseL41csrgemm_numeric_fill_block_per_row_kernelILj128ELj16ELj256ELj137ELj64EllfEEvT5_PKS1_S3_NS_24const_host_device_scalarIT6_EEPKT4_S3_PKS5_S9_S3_SB_S6_S9_S3_SB_S9_S3_PS5_21rocsparse_index_base_SD_SD_SD_bbb.num_agpr, 0
	.set _ZN9rocsparseL41csrgemm_numeric_fill_block_per_row_kernelILj128ELj16ELj256ELj137ELj64EllfEEvT5_PKS1_S3_NS_24const_host_device_scalarIT6_EEPKT4_S3_PKS5_S9_S3_SB_S6_S9_S3_SB_S9_S3_PS5_21rocsparse_index_base_SD_SD_SD_bbb.numbered_sgpr, 58
	.set _ZN9rocsparseL41csrgemm_numeric_fill_block_per_row_kernelILj128ELj16ELj256ELj137ELj64EllfEEvT5_PKS1_S3_NS_24const_host_device_scalarIT6_EEPKT4_S3_PKS5_S9_S3_SB_S6_S9_S3_SB_S9_S3_PS5_21rocsparse_index_base_SD_SD_SD_bbb.num_named_barrier, 0
	.set _ZN9rocsparseL41csrgemm_numeric_fill_block_per_row_kernelILj128ELj16ELj256ELj137ELj64EllfEEvT5_PKS1_S3_NS_24const_host_device_scalarIT6_EEPKT4_S3_PKS5_S9_S3_SB_S6_S9_S3_SB_S9_S3_PS5_21rocsparse_index_base_SD_SD_SD_bbb.private_seg_size, 0
	.set _ZN9rocsparseL41csrgemm_numeric_fill_block_per_row_kernelILj128ELj16ELj256ELj137ELj64EllfEEvT5_PKS1_S3_NS_24const_host_device_scalarIT6_EEPKT4_S3_PKS5_S9_S3_SB_S6_S9_S3_SB_S9_S3_PS5_21rocsparse_index_base_SD_SD_SD_bbb.uses_vcc, 1
	.set _ZN9rocsparseL41csrgemm_numeric_fill_block_per_row_kernelILj128ELj16ELj256ELj137ELj64EllfEEvT5_PKS1_S3_NS_24const_host_device_scalarIT6_EEPKT4_S3_PKS5_S9_S3_SB_S6_S9_S3_SB_S9_S3_PS5_21rocsparse_index_base_SD_SD_SD_bbb.uses_flat_scratch, 0
	.set _ZN9rocsparseL41csrgemm_numeric_fill_block_per_row_kernelILj128ELj16ELj256ELj137ELj64EllfEEvT5_PKS1_S3_NS_24const_host_device_scalarIT6_EEPKT4_S3_PKS5_S9_S3_SB_S6_S9_S3_SB_S9_S3_PS5_21rocsparse_index_base_SD_SD_SD_bbb.has_dyn_sized_stack, 0
	.set _ZN9rocsparseL41csrgemm_numeric_fill_block_per_row_kernelILj128ELj16ELj256ELj137ELj64EllfEEvT5_PKS1_S3_NS_24const_host_device_scalarIT6_EEPKT4_S3_PKS5_S9_S3_SB_S6_S9_S3_SB_S9_S3_PS5_21rocsparse_index_base_SD_SD_SD_bbb.has_recursion, 0
	.set _ZN9rocsparseL41csrgemm_numeric_fill_block_per_row_kernelILj128ELj16ELj256ELj137ELj64EllfEEvT5_PKS1_S3_NS_24const_host_device_scalarIT6_EEPKT4_S3_PKS5_S9_S3_SB_S6_S9_S3_SB_S9_S3_PS5_21rocsparse_index_base_SD_SD_SD_bbb.has_indirect_call, 0
	.section	.AMDGPU.csdata,"",@progbits
; Kernel info:
; codeLenInByte = 2484
; TotalNumSgprs: 64
; NumVgprs: 40
; NumAgprs: 0
; TotalNumVgprs: 40
; ScratchSize: 0
; MemoryBound: 0
; FloatMode: 240
; IeeeMode: 1
; LDSByteSize: 0 bytes/workgroup (compile time only)
; SGPRBlocks: 7
; VGPRBlocks: 4
; NumSGPRsForWavesPerEU: 64
; NumVGPRsForWavesPerEU: 40
; AccumOffset: 40
; Occupancy: 8
; WaveLimiterHint : 1
; COMPUTE_PGM_RSRC2:SCRATCH_EN: 0
; COMPUTE_PGM_RSRC2:USER_SGPR: 2
; COMPUTE_PGM_RSRC2:TRAP_HANDLER: 0
; COMPUTE_PGM_RSRC2:TGID_X_EN: 1
; COMPUTE_PGM_RSRC2:TGID_Y_EN: 0
; COMPUTE_PGM_RSRC2:TGID_Z_EN: 0
; COMPUTE_PGM_RSRC2:TIDIG_COMP_CNT: 0
; COMPUTE_PGM_RSRC3_GFX90A:ACCUM_OFFSET: 9
; COMPUTE_PGM_RSRC3_GFX90A:TG_SPLIT: 0
	.section	.text._ZN9rocsparseL41csrgemm_numeric_fill_block_per_row_kernelILj256ELj32ELj512ELj137ELj32EllfEEvT5_PKS1_S3_NS_24const_host_device_scalarIT6_EEPKT4_S3_PKS5_S9_S3_SB_S6_S9_S3_SB_S9_S3_PS5_21rocsparse_index_base_SD_SD_SD_bbb,"axG",@progbits,_ZN9rocsparseL41csrgemm_numeric_fill_block_per_row_kernelILj256ELj32ELj512ELj137ELj32EllfEEvT5_PKS1_S3_NS_24const_host_device_scalarIT6_EEPKT4_S3_PKS5_S9_S3_SB_S6_S9_S3_SB_S9_S3_PS5_21rocsparse_index_base_SD_SD_SD_bbb,comdat
	.globl	_ZN9rocsparseL41csrgemm_numeric_fill_block_per_row_kernelILj256ELj32ELj512ELj137ELj32EllfEEvT5_PKS1_S3_NS_24const_host_device_scalarIT6_EEPKT4_S3_PKS5_S9_S3_SB_S6_S9_S3_SB_S9_S3_PS5_21rocsparse_index_base_SD_SD_SD_bbb ; -- Begin function _ZN9rocsparseL41csrgemm_numeric_fill_block_per_row_kernelILj256ELj32ELj512ELj137ELj32EllfEEvT5_PKS1_S3_NS_24const_host_device_scalarIT6_EEPKT4_S3_PKS5_S9_S3_SB_S6_S9_S3_SB_S9_S3_PS5_21rocsparse_index_base_SD_SD_SD_bbb
	.p2align	8
	.type	_ZN9rocsparseL41csrgemm_numeric_fill_block_per_row_kernelILj256ELj32ELj512ELj137ELj32EllfEEvT5_PKS1_S3_NS_24const_host_device_scalarIT6_EEPKT4_S3_PKS5_S9_S3_SB_S6_S9_S3_SB_S9_S3_PS5_21rocsparse_index_base_SD_SD_SD_bbb,@function
_ZN9rocsparseL41csrgemm_numeric_fill_block_per_row_kernelILj256ELj32ELj512ELj137ELj32EllfEEvT5_PKS1_S3_NS_24const_host_device_scalarIT6_EEPKT4_S3_PKS5_S9_S3_SB_S6_S9_S3_SB_S9_S3_PS5_21rocsparse_index_base_SD_SD_SD_bbb: ; @_ZN9rocsparseL41csrgemm_numeric_fill_block_per_row_kernelILj256ELj32ELj512ELj137ELj32EllfEEvT5_PKS1_S3_NS_24const_host_device_scalarIT6_EEPKT4_S3_PKS5_S9_S3_SB_S6_S9_S3_SB_S9_S3_PS5_21rocsparse_index_base_SD_SD_SD_bbb
; %bb.0:
	s_load_dword s3, s[0:1], 0x98
	s_load_dwordx2 s[4:5], s[0:1], 0x18
	s_load_dwordx2 s[8:9], s[0:1], 0x50
	s_waitcnt lgkmcnt(0)
	s_bitcmp1_b32 s3, 0
	s_cselect_b64 s[6:7], -1, 0
	s_bitcmp1_b32 s3, 16
	s_cselect_b64 s[10:11], -1, 0
	s_xor_b64 s[12:13], s[6:7], -1
	s_or_b64 s[12:13], s[10:11], s[12:13]
	s_and_b64 vcc, exec, s[12:13]
	s_cbranch_vccnz .LBB84_2
; %bb.1:
	s_load_dword s4, s[4:5], 0x0
	s_waitcnt lgkmcnt(0)
	v_mov_b32_e32 v21, s4
	s_branch .LBB84_3
.LBB84_2:
	v_mov_b32_e32 v1, s4
	v_cndmask_b32_e64 v21, 0, v1, s[6:7]
.LBB84_3:
	s_load_dwordx4 s[28:31], s[0:1], 0x88
	s_bitcmp1_b32 s3, 8
	s_cselect_b64 s[4:5], -1, 0
	s_xor_b64 s[12:13], s[4:5], -1
	s_or_b64 s[10:11], s[10:11], s[12:13]
	s_and_b64 vcc, exec, s[10:11]
	s_cbranch_vccnz .LBB84_5
; %bb.4:
	s_load_dword s3, s[8:9], 0x0
	s_waitcnt lgkmcnt(0)
	v_mov_b32_e32 v19, s3
	s_branch .LBB84_6
.LBB84_5:
	v_mov_b32_e32 v1, s8
	v_cndmask_b32_e64 v19, 0, v1, s[4:5]
.LBB84_6:
	s_load_dwordx2 s[34:35], s[0:1], 0x80
	s_load_dwordx8 s[12:19], s[0:1], 0x58
	s_load_dwordx4 s[8:11], s[0:1], 0x40
	s_load_dwordx4 s[36:39], s[0:1], 0x0
	s_load_dwordx2 s[40:41], s[0:1], 0x10
	s_load_dwordx8 s[20:27], s[0:1], 0x20
	s_movk_i32 s0, 0x200
	v_cmp_gt_u32_e64 s[0:1], s0, v0
	v_lshl_add_u32 v18, v0, 2, 0
	v_lshl_add_u32 v1, v0, 3, 0
	s_and_saveexec_b64 s[42:43], s[0:1]
	s_cbranch_execz .LBB84_9
; %bb.7:
	v_add_u32_e32 v2, 0x1000, v18
	v_or_b32_e32 v3, 0xffffff00, v0
	v_lshl_add_u32 v4, v0, 3, 0
	s_mov_b64 s[44:45], 0
	s_waitcnt lgkmcnt(0)
	v_mov_b64_e32 v[6:7], s[36:37]
	v_mov_b32_e32 v5, 0
.LBB84_8:                               ; =>This Inner Loop Header: Depth=1
	v_add_co_u32_e32 v3, vcc, 0x100, v3
	s_xor_b64 s[46:47], vcc, -1
	s_and_b64 s[46:47], exec, s[46:47]
	ds_write_b64 v4, v[6:7]
	ds_write_b32 v2, v5
	v_add_u32_e32 v2, 0x400, v2
	s_or_b64 s[44:45], s[46:47], s[44:45]
	v_add_u32_e32 v4, 0x800, v4
	s_andn2_b64 exec, exec, s[44:45]
	s_cbranch_execnz .LBB84_8
.LBB84_9:
	s_or_b64 exec, exec, s[42:43]
	s_waitcnt lgkmcnt(0)
	s_barrier
	s_load_dwordx2 s[38:39], s[38:39], 0x0
	s_mov_b32 s3, 0
	v_lshrrev_b32_e32 v20, 5, v0
	s_waitcnt lgkmcnt(0)
	s_lshl_b64 s[38:39], s[38:39], 3
	s_add_u32 s33, s40, s38
	s_addc_u32 s38, s41, s39
	s_lshl_b64 s[2:3], s[2:3], 3
	s_add_u32 s2, s33, s2
	s_addc_u32 s3, s38, s3
	s_load_dwordx2 s[38:39], s[2:3], 0x0
	s_and_b64 vcc, exec, s[6:7]
	s_cbranch_vccz .LBB84_29
; %bb.10:
	s_waitcnt lgkmcnt(0)
	s_lshl_b64 s[2:3], s[38:39], 3
	s_add_u32 s2, s20, s2
	s_addc_u32 s3, s21, s3
	s_load_dwordx4 s[40:43], s[2:3], 0x0
	v_subrev_co_u32_e32 v2, vcc, s28, v20
	s_nop 1
	v_subb_co_u32_e64 v3, s[2:3], 0, 0, vcc
	s_waitcnt lgkmcnt(0)
	s_sub_u32 s2, s42, s28
	s_subb_u32 s3, s43, 0
	v_lshl_add_u64 v[2:3], s[40:41], 0, v[2:3]
	v_cmp_gt_i64_e32 vcc, s[2:3], v[2:3]
	s_and_saveexec_b64 s[6:7], vcc
	s_cbranch_execz .LBB84_28
; %bb.11:
	v_and_b32_e32 v4, 31, v0
	v_subrev_co_u32_e32 v4, vcc, s29, v4
	s_mov_b32 s33, s29
	s_nop 0
	v_subb_co_u32_e64 v5, s[20:21], 0, 0, vcc
	s_mov_b64 s[20:21], 0
	s_movk_i32 s29, 0x89
	s_branch .LBB84_13
.LBB84_12:                              ;   in Loop: Header=BB84_13 Depth=1
	s_or_b64 exec, exec, s[40:41]
	v_lshl_add_u64 v[2:3], v[2:3], 0, 8
	v_cmp_le_i64_e32 vcc, s[2:3], v[2:3]
	s_or_b64 s[20:21], vcc, s[20:21]
	s_andn2_b64 exec, exec, s[20:21]
	s_cbranch_execz .LBB84_28
.LBB84_13:                              ; =>This Loop Header: Depth=1
                                        ;     Child Loop BB84_17 Depth 2
                                        ;       Child Loop BB84_20 Depth 3
	v_lshl_add_u64 v[6:7], v[2:3], 3, s[22:23]
	global_load_dwordx2 v[6:7], v[6:7], off
	s_waitcnt vmcnt(0)
	v_subrev_co_u32_e32 v6, vcc, s28, v6
	s_nop 1
	v_subbrev_co_u32_e32 v7, vcc, 0, v7, vcc
	v_lshl_add_u64 v[6:7], v[6:7], 3, s[26:27]
	global_load_dwordx4 v[8:11], v[6:7], off
	s_waitcnt vmcnt(0)
	v_subrev_co_u32_e32 v6, vcc, s33, v10
	s_nop 1
	v_subbrev_co_u32_e32 v7, vcc, 0, v11, vcc
	v_lshl_add_u64 v[8:9], v[8:9], 0, v[4:5]
	v_cmp_lt_i64_e32 vcc, v[8:9], v[6:7]
	s_and_saveexec_b64 s[40:41], vcc
	s_cbranch_execz .LBB84_12
; %bb.14:                               ;   in Loop: Header=BB84_13 Depth=1
	v_lshl_add_u64 v[10:11], v[2:3], 2, s[24:25]
	global_load_dword v10, v[10:11], off
	s_mov_b64 s[42:43], 0
	s_waitcnt vmcnt(0)
	v_mul_f32_e32 v22, v21, v10
	s_branch .LBB84_17
.LBB84_15:                              ;   in Loop: Header=BB84_17 Depth=2
	s_or_b64 exec, exec, s[46:47]
.LBB84_16:                              ;   in Loop: Header=BB84_17 Depth=2
	s_or_b64 exec, exec, s[44:45]
	s_waitcnt vmcnt(0)
	v_mul_f32_e32 v10, v22, v23
	v_lshl_add_u32 v11, v12, 2, 0
	ds_add_f32 v11, v10 offset:4096
	v_lshl_add_u64 v[8:9], v[8:9], 0, 32
	v_cmp_ge_i64_e32 vcc, v[8:9], v[6:7]
	s_or_b64 s[42:43], vcc, s[42:43]
	s_andn2_b64 exec, exec, s[42:43]
	s_cbranch_execz .LBB84_12
.LBB84_17:                              ;   Parent Loop BB84_13 Depth=1
                                        ; =>  This Loop Header: Depth=2
                                        ;       Child Loop BB84_20 Depth 3
	v_lshl_add_u64 v[10:11], v[8:9], 3, s[8:9]
	global_load_dwordx2 v[10:11], v[10:11], off
	v_lshl_add_u64 v[12:13], v[8:9], 2, s[10:11]
	global_load_dword v23, v[12:13], off
	s_waitcnt vmcnt(1)
	v_subrev_co_u32_e32 v10, vcc, s33, v10
	v_mul_lo_u32 v12, v10, s29
	v_and_b32_e32 v12, 0x1ff, v12
	v_lshl_add_u32 v24, v12, 3, 0
	ds_read_b64 v[16:17], v24
	v_subbrev_co_u32_e32 v11, vcc, 0, v11, vcc
	s_waitcnt lgkmcnt(0)
	v_cmp_ne_u64_e32 vcc, v[16:17], v[10:11]
	s_and_saveexec_b64 s[44:45], vcc
	s_cbranch_execz .LBB84_16
; %bb.18:                               ;   in Loop: Header=BB84_17 Depth=2
	s_mov_b64 s[46:47], 0
                                        ; implicit-def: $sgpr48_sgpr49
                                        ; implicit-def: $sgpr50_sgpr51
	s_branch .LBB84_20
.LBB84_19:                              ;   in Loop: Header=BB84_20 Depth=3
	s_or_b64 exec, exec, s[56:57]
	s_and_b64 s[52:53], exec, s[54:55]
	s_or_b64 s[46:47], s[52:53], s[46:47]
	s_andn2_b64 s[48:49], s[48:49], exec
	s_and_b64 s[52:53], s[50:51], exec
	s_or_b64 s[48:49], s[48:49], s[52:53]
	s_andn2_b64 exec, exec, s[46:47]
	s_cbranch_execz .LBB84_26
.LBB84_20:                              ;   Parent Loop BB84_13 Depth=1
                                        ;     Parent Loop BB84_17 Depth=2
                                        ; =>    This Inner Loop Header: Depth=3
	v_mov_b64_e32 v[14:15], v[12:13]
	v_cmp_ne_u64_e32 vcc, s[36:37], v[16:17]
	s_mov_b64 s[52:53], 0
                                        ; implicit-def: $vgpr12_vgpr13
	s_and_saveexec_b64 s[54:55], vcc
	s_xor_b64 s[54:55], exec, s[54:55]
; %bb.21:                               ;   in Loop: Header=BB84_20 Depth=3
	v_add_u32_e32 v12, 1, v14
	s_mov_b64 s[52:53], exec
	v_and_b32_e32 v12, 0x1ff, v12
                                        ; implicit-def: $vgpr24
; %bb.22:                               ;   in Loop: Header=BB84_20 Depth=3
	s_andn2_saveexec_b64 s[54:55], s[54:55]
	s_cbranch_execz .LBB84_24
; %bb.23:                               ;   in Loop: Header=BB84_20 Depth=3
	v_mov_b64_e32 v[12:13], s[36:37]
	ds_cmpst_rtn_b64 v[12:13], v24, v[12:13], v[10:11]
	s_andn2_b64 s[52:53], s[52:53], exec
	s_waitcnt lgkmcnt(0)
	v_cmp_ne_u64_e32 vcc, s[36:37], v[12:13]
	s_and_b64 s[56:57], vcc, exec
	s_or_b64 s[52:53], s[52:53], s[56:57]
	v_mov_b64_e32 v[12:13], v[14:15]
.LBB84_24:                              ;   in Loop: Header=BB84_20 Depth=3
	s_or_b64 exec, exec, s[54:55]
	s_mov_b64 s[54:55], -1
	s_or_b64 s[50:51], s[50:51], exec
                                        ; implicit-def: $vgpr24
                                        ; implicit-def: $vgpr16_vgpr17
	s_and_saveexec_b64 s[56:57], s[52:53]
	s_cbranch_execz .LBB84_19
; %bb.25:                               ;   in Loop: Header=BB84_20 Depth=3
	v_lshl_add_u32 v24, v12, 3, 0
	ds_read_b64 v[16:17], v24
	s_andn2_b64 s[50:51], s[50:51], exec
	s_waitcnt lgkmcnt(0)
	v_cmp_eq_u64_e32 vcc, v[16:17], v[10:11]
	s_orn2_b64 s[54:55], vcc, exec
	s_branch .LBB84_19
.LBB84_26:                              ;   in Loop: Header=BB84_17 Depth=2
	s_or_b64 exec, exec, s[46:47]
	s_and_saveexec_b64 s[46:47], s[48:49]
	s_xor_b64 s[46:47], exec, s[46:47]
	s_cbranch_execz .LBB84_15
; %bb.27:                               ;   in Loop: Header=BB84_17 Depth=2
	v_mov_b32_e32 v12, v14
	s_branch .LBB84_15
.LBB84_28:
	s_or_b64 exec, exec, s[6:7]
.LBB84_29:
	s_andn2_b64 vcc, exec, s[4:5]
	s_cbranch_vccnz .LBB84_46
; %bb.30:
	s_waitcnt lgkmcnt(0)
	s_lshl_b64 s[2:3], s[38:39], 3
	s_add_u32 s2, s12, s2
	s_addc_u32 s3, s13, s3
	s_load_dwordx4 s[4:7], s[2:3], 0x0
	v_subrev_co_u32_e32 v2, vcc, s31, v0
	s_waitcnt lgkmcnt(0)
	s_sub_u32 s2, s6, s31
	s_subb_u32 s3, s7, 0
	v_subb_co_u32_e64 v3, s[6:7], 0, 0, vcc
	v_lshl_add_u64 v[2:3], s[4:5], 0, v[2:3]
	v_cmp_gt_i64_e32 vcc, s[2:3], v[2:3]
	s_and_saveexec_b64 s[4:5], vcc
	s_cbranch_execz .LBB84_45
; %bb.31:
	s_mov_b32 s33, s31
	s_mov_b64 s[6:7], 0
	s_movk_i32 s31, 0x89
	s_mov_b64 s[8:9], 0x100
	s_branch .LBB84_34
.LBB84_32:                              ;   in Loop: Header=BB84_34 Depth=1
	s_or_b64 exec, exec, s[12:13]
.LBB84_33:                              ;   in Loop: Header=BB84_34 Depth=1
	s_or_b64 exec, exec, s[10:11]
	s_waitcnt vmcnt(0)
	v_mul_f32_e32 v4, v19, v12
	v_lshl_add_u32 v5, v6, 2, 0
	ds_add_f32 v5, v4 offset:4096
	v_lshl_add_u64 v[2:3], v[2:3], 0, s[8:9]
	v_cmp_le_i64_e32 vcc, s[2:3], v[2:3]
	s_or_b64 s[6:7], vcc, s[6:7]
	s_andn2_b64 exec, exec, s[6:7]
	s_cbranch_execz .LBB84_45
.LBB84_34:                              ; =>This Loop Header: Depth=1
                                        ;     Child Loop BB84_37 Depth 2
	v_lshl_add_u64 v[4:5], v[2:3], 3, s[14:15]
	global_load_dwordx2 v[4:5], v[4:5], off
	v_lshl_add_u64 v[6:7], v[2:3], 2, s[16:17]
	global_load_dword v12, v[6:7], off
	s_waitcnt vmcnt(1)
	v_subrev_co_u32_e32 v4, vcc, s33, v4
	v_mul_lo_u32 v6, v4, s31
	v_and_b32_e32 v6, 0x1ff, v6
	v_lshl_add_u32 v13, v6, 3, 0
	ds_read_b64 v[10:11], v13
	v_subbrev_co_u32_e32 v5, vcc, 0, v5, vcc
	s_waitcnt lgkmcnt(0)
	v_cmp_ne_u64_e32 vcc, v[10:11], v[4:5]
	s_and_saveexec_b64 s[10:11], vcc
	s_cbranch_execz .LBB84_33
; %bb.35:                               ;   in Loop: Header=BB84_34 Depth=1
	s_mov_b64 s[12:13], 0
                                        ; implicit-def: $sgpr20_sgpr21
                                        ; implicit-def: $sgpr22_sgpr23
	s_branch .LBB84_37
.LBB84_36:                              ;   in Loop: Header=BB84_37 Depth=2
	s_or_b64 exec, exec, s[28:29]
	s_and_b64 s[24:25], exec, s[26:27]
	s_or_b64 s[12:13], s[24:25], s[12:13]
	s_andn2_b64 s[20:21], s[20:21], exec
	s_and_b64 s[24:25], s[22:23], exec
	s_or_b64 s[20:21], s[20:21], s[24:25]
	s_andn2_b64 exec, exec, s[12:13]
	s_cbranch_execz .LBB84_43
.LBB84_37:                              ;   Parent Loop BB84_34 Depth=1
                                        ; =>  This Inner Loop Header: Depth=2
	v_mov_b64_e32 v[8:9], v[6:7]
	v_cmp_ne_u64_e32 vcc, s[36:37], v[10:11]
	s_mov_b64 s[24:25], 0
                                        ; implicit-def: $vgpr6_vgpr7
	s_and_saveexec_b64 s[26:27], vcc
	s_xor_b64 s[26:27], exec, s[26:27]
; %bb.38:                               ;   in Loop: Header=BB84_37 Depth=2
	v_add_u32_e32 v6, 1, v8
	s_mov_b64 s[24:25], exec
	v_and_b32_e32 v6, 0x1ff, v6
                                        ; implicit-def: $vgpr13
; %bb.39:                               ;   in Loop: Header=BB84_37 Depth=2
	s_andn2_saveexec_b64 s[26:27], s[26:27]
	s_cbranch_execz .LBB84_41
; %bb.40:                               ;   in Loop: Header=BB84_37 Depth=2
	v_mov_b64_e32 v[6:7], s[36:37]
	ds_cmpst_rtn_b64 v[6:7], v13, v[6:7], v[4:5]
	s_andn2_b64 s[24:25], s[24:25], exec
	s_waitcnt lgkmcnt(0)
	v_cmp_ne_u64_e32 vcc, s[36:37], v[6:7]
	s_and_b64 s[28:29], vcc, exec
	s_or_b64 s[24:25], s[24:25], s[28:29]
	v_mov_b64_e32 v[6:7], v[8:9]
.LBB84_41:                              ;   in Loop: Header=BB84_37 Depth=2
	s_or_b64 exec, exec, s[26:27]
	s_mov_b64 s[26:27], -1
	s_or_b64 s[22:23], s[22:23], exec
                                        ; implicit-def: $vgpr13
                                        ; implicit-def: $vgpr10_vgpr11
	s_and_saveexec_b64 s[28:29], s[24:25]
	s_cbranch_execz .LBB84_36
; %bb.42:                               ;   in Loop: Header=BB84_37 Depth=2
	v_lshl_add_u32 v13, v6, 3, 0
	ds_read_b64 v[10:11], v13
	s_andn2_b64 s[22:23], s[22:23], exec
	s_waitcnt lgkmcnt(0)
	v_cmp_eq_u64_e32 vcc, v[10:11], v[4:5]
	s_orn2_b64 s[26:27], vcc, exec
	s_branch .LBB84_36
.LBB84_43:                              ;   in Loop: Header=BB84_34 Depth=1
	s_or_b64 exec, exec, s[12:13]
	s_and_saveexec_b64 s[12:13], s[20:21]
	s_xor_b64 s[12:13], exec, s[12:13]
	s_cbranch_execz .LBB84_32
; %bb.44:                               ;   in Loop: Header=BB84_34 Depth=1
	v_mov_b32_e32 v6, v8
	s_branch .LBB84_32
.LBB84_45:
	s_or_b64 exec, exec, s[4:5]
.LBB84_46:
	s_waitcnt lgkmcnt(0)
	s_barrier
	s_and_saveexec_b64 s[16:17], s[0:1]
	s_cbranch_execz .LBB84_67
; %bb.47:
	v_mbcnt_lo_u32_b32 v2, -1, 0
	v_mbcnt_hi_u32_b32 v2, -1, v2
	v_sub_u32_e32 v2, 63, v2
	s_movk_i32 s0, 0xff
	s_movk_i32 s6, 0x5f
	;; [unrolled: 1-line block ×6, first 2 shown]
	v_mov_b32_e32 v3, 0
	v_lshrrev_b64 v[4:5], v2, -1
	v_lshl_add_u32 v12, v20, 3, 0
	v_cmp_eq_u32_e64 s[0:1], s0, v0
	v_cmp_lt_u32_e64 s[2:3], 31, v0
	v_cmp_lt_u32_e64 s[4:5], 63, v0
	;; [unrolled: 1-line block ×7, first 2 shown]
	v_add_u32_e32 v13, 0x1000, v18
	v_or_b32_e32 v14, 0xffffff00, v0
	s_mov_b64 s[20:21], 0
	v_mov_b64_e32 v[6:7], 0
	s_branch .LBB84_49
.LBB84_48:                              ;   in Loop: Header=BB84_49 Depth=1
	s_or_b64 exec, exec, s[22:23]
	s_waitcnt lgkmcnt(0)
	s_barrier
	ds_read_b64 v[8:9], v3 offset:6200
	v_add_co_u32_e32 v14, vcc, 0x100, v14
	s_xor_b64 s[22:23], vcc, -1
	s_and_b64 s[22:23], exec, s[22:23]
	v_add_u32_e32 v13, 0x400, v13
	s_waitcnt lgkmcnt(0)
	v_lshl_add_u64 v[6:7], v[8:9], 0, v[6:7]
	s_or_b64 s[20:21], s[22:23], s[20:21]
	v_add_u32_e32 v1, 0x800, v1
	s_andn2_b64 exec, exec, s[20:21]
	s_cbranch_execz .LBB84_67
.LBB84_49:                              ; =>This Inner Loop Header: Depth=1
	ds_read_b64 v[8:9], v1
	ds_read_b32 v15, v13
	s_waitcnt lgkmcnt(0)
	s_barrier
	v_cmp_gt_i64_e32 vcc, s[36:37], v[8:9]
	s_bcnt1_i32_b64 s22, vcc
	v_mov_b32_e32 v2, s22
	v_and_b32_e32 v11, vcc_lo, v4
	v_and_b32_e32 v10, vcc_hi, v5
	v_bcnt_u32_b32 v11, v11, 0
	v_bcnt_u32_b32 v10, v10, v11
	ds_write_b64 v12, v[2:3] offset:6144
	s_waitcnt lgkmcnt(0)
	s_barrier
	s_and_saveexec_b64 s[22:23], s[2:3]
	s_cbranch_execnz .LBB84_58
; %bb.50:                               ;   in Loop: Header=BB84_49 Depth=1
	s_or_b64 exec, exec, s[22:23]
	s_and_saveexec_b64 s[22:23], s[4:5]
	s_cbranch_execnz .LBB84_59
.LBB84_51:                              ;   in Loop: Header=BB84_49 Depth=1
	s_or_b64 exec, exec, s[22:23]
	s_and_saveexec_b64 s[22:23], s[6:7]
	s_cbranch_execnz .LBB84_60
.LBB84_52:                              ;   in Loop: Header=BB84_49 Depth=1
	s_or_b64 exec, exec, s[22:23]
	s_and_saveexec_b64 s[22:23], s[8:9]
	s_cbranch_execnz .LBB84_61
.LBB84_53:                              ;   in Loop: Header=BB84_49 Depth=1
	s_or_b64 exec, exec, s[22:23]
	s_and_saveexec_b64 s[22:23], s[10:11]
	s_cbranch_execnz .LBB84_62
.LBB84_54:                              ;   in Loop: Header=BB84_49 Depth=1
	s_or_b64 exec, exec, s[22:23]
	s_and_saveexec_b64 s[22:23], s[12:13]
	s_cbranch_execnz .LBB84_63
.LBB84_55:                              ;   in Loop: Header=BB84_49 Depth=1
	s_or_b64 exec, exec, s[22:23]
	s_and_saveexec_b64 s[22:23], s[14:15]
	s_cbranch_execnz .LBB84_64
.LBB84_56:                              ;   in Loop: Header=BB84_49 Depth=1
	s_or_b64 exec, exec, s[22:23]
	v_ashrrev_i32_e32 v11, 31, v10
	s_and_saveexec_b64 s[22:23], vcc
	s_cbranch_execnz .LBB84_65
.LBB84_57:                              ;   in Loop: Header=BB84_49 Depth=1
	s_or_b64 exec, exec, s[22:23]
	s_and_saveexec_b64 s[22:23], s[0:1]
	s_cbranch_execz .LBB84_48
	s_branch .LBB84_66
.LBB84_58:                              ;   in Loop: Header=BB84_49 Depth=1
	ds_read_b32 v2, v3 offset:6144
	s_waitcnt lgkmcnt(0)
	v_add_u32_e32 v10, v2, v10
	s_or_b64 exec, exec, s[22:23]
	s_and_saveexec_b64 s[22:23], s[4:5]
	s_cbranch_execz .LBB84_51
.LBB84_59:                              ;   in Loop: Header=BB84_49 Depth=1
	ds_read_b32 v2, v3 offset:6152
	s_waitcnt lgkmcnt(0)
	v_add_u32_e32 v10, v10, v2
	s_or_b64 exec, exec, s[22:23]
	s_and_saveexec_b64 s[22:23], s[6:7]
	s_cbranch_execz .LBB84_52
.LBB84_60:                              ;   in Loop: Header=BB84_49 Depth=1
	ds_read_b32 v2, v3 offset:6160
	s_waitcnt lgkmcnt(0)
	v_add_u32_e32 v10, v10, v2
	s_or_b64 exec, exec, s[22:23]
	s_and_saveexec_b64 s[22:23], s[8:9]
	s_cbranch_execz .LBB84_53
.LBB84_61:                              ;   in Loop: Header=BB84_49 Depth=1
	ds_read_b32 v2, v3 offset:6168
	s_waitcnt lgkmcnt(0)
	v_add_u32_e32 v10, v10, v2
	s_or_b64 exec, exec, s[22:23]
	s_and_saveexec_b64 s[22:23], s[10:11]
	s_cbranch_execz .LBB84_54
.LBB84_62:                              ;   in Loop: Header=BB84_49 Depth=1
	ds_read_b32 v2, v3 offset:6176
	s_waitcnt lgkmcnt(0)
	v_add_u32_e32 v10, v10, v2
	s_or_b64 exec, exec, s[22:23]
	s_and_saveexec_b64 s[22:23], s[12:13]
	s_cbranch_execz .LBB84_55
.LBB84_63:                              ;   in Loop: Header=BB84_49 Depth=1
	ds_read_b32 v2, v3 offset:6184
	s_waitcnt lgkmcnt(0)
	v_add_u32_e32 v10, v10, v2
	s_or_b64 exec, exec, s[22:23]
	s_and_saveexec_b64 s[22:23], s[14:15]
	s_cbranch_execz .LBB84_56
.LBB84_64:                              ;   in Loop: Header=BB84_49 Depth=1
	ds_read_b32 v2, v3 offset:6192
	s_waitcnt lgkmcnt(0)
	v_add_u32_e32 v10, v10, v2
	s_or_b64 exec, exec, s[22:23]
	v_ashrrev_i32_e32 v11, 31, v10
	s_and_saveexec_b64 s[22:23], vcc
	s_cbranch_execz .LBB84_57
.LBB84_65:                              ;   in Loop: Header=BB84_49 Depth=1
	v_add3_u32 v2, v6, -1, v10
	v_lshl_add_u32 v2, v2, 3, 0
	v_add_u32_e32 v16, v6, v10
	v_lshl_add_u32 v16, v16, 2, 0
	ds_write_b64 v2, v[8:9]
	ds_write_b32 v16, v15 offset:4092
	s_or_b64 exec, exec, s[22:23]
	s_and_saveexec_b64 s[22:23], s[0:1]
	s_cbranch_execz .LBB84_48
.LBB84_66:                              ;   in Loop: Header=BB84_49 Depth=1
	ds_write_b64 v3, v[10:11] offset:6200
	s_branch .LBB84_48
.LBB84_67:
	s_or_b64 exec, exec, s[16:17]
	s_lshl_b64 s[0:1], s[38:39], 3
	s_add_u32 s4, s18, s0
	s_addc_u32 s5, s19, s1
	s_load_dwordx4 s[0:3], s[4:5], 0x0
	v_mov_b32_e32 v1, 0
	s_waitcnt lgkmcnt(0)
	s_sub_u32 s4, s2, s0
	s_subb_u32 s5, s3, s1
	v_cmp_gt_i64_e32 vcc, s[4:5], v[0:1]
	s_and_saveexec_b64 s[6:7], vcc
	s_cbranch_execz .LBB84_77
; %bb.68:
	s_sub_u32 s8, s0, s30
	s_subb_u32 s9, s1, 0
	s_and_b32 s6, s4, 7
	s_sub_u32 s0, s0, s2
	s_mov_b32 s7, 0
	s_subb_u32 s1, s1, s3
	s_and_b32 s10, s4, -8
	s_cmp_lg_u64 s[6:7], 0
	v_cmp_lt_u64_e64 s[0:1], s[0:1], -7
	s_cselect_b64 s[2:3], -1, 0
	s_mov_b32 s11, s5
	v_cndmask_b32_e64 v2, 0, 1, s[0:1]
	v_cmp_ne_u32_e64 s[0:1], 1, v2
	v_cndmask_b32_e64 v2, 0, 1, s[2:3]
	s_mov_b64 s[12:13], 0
	v_cmp_ne_u32_e64 s[2:3], 1, v2
	s_mov_b64 s[14:15], 0x100
	s_branch .LBB84_70
.LBB84_69:                              ;   in Loop: Header=BB84_70 Depth=1
	v_lshl_add_u64 v[0:1], v[0:1], 0, s[14:15]
	v_cmp_le_i64_e32 vcc, s[4:5], v[0:1]
	s_waitcnt lgkmcnt(1)
	v_lshl_add_u64 v[2:3], v[4:5], 2, s[34:35]
	s_or_b64 s[12:13], vcc, s[12:13]
	s_waitcnt lgkmcnt(0)
	global_store_dword v[2:3], v6, off
	s_andn2_b64 exec, exec, s[12:13]
	s_cbranch_execz .LBB84_77
.LBB84_70:                              ; =>This Loop Header: Depth=1
                                        ;     Child Loop BB84_72 Depth 2
                                        ;     Child Loop BB84_76 Depth 2
	v_lshl_add_u32 v2, v0, 3, 0
	v_lshlrev_b32_e32 v3, 2, v0
	v_sub_u32_e32 v4, v2, v3
	ds_read_b64 v[2:3], v2
	ds_read_b32 v6, v4 offset:4096
	s_and_b64 vcc, exec, s[0:1]
	v_mov_b64_e32 v[4:5], s[8:9]
	s_mov_b64 s[16:17], 0
	s_cbranch_vccnz .LBB84_74
; %bb.71:                               ;   in Loop: Header=BB84_70 Depth=1
	s_mov_b32 s18, 0
	v_mov_b64_e32 v[4:5], s[8:9]
.LBB84_72:                              ;   Parent Loop BB84_70 Depth=1
                                        ; =>  This Inner Loop Header: Depth=2
	v_mov_b32_e32 v7, s18
	ds_read2_b64 v[8:11], v7 offset1:1
	ds_read2_b64 v[12:15], v7 offset0:2 offset1:3
	ds_read2_b64 v[16:19], v7 offset0:4 offset1:5
	;; [unrolled: 1-line block ×3, first 2 shown]
	v_mov_b32_e32 v25, s7
	s_waitcnt lgkmcnt(3)
	v_cmp_gt_i64_e32 vcc, v[2:3], v[8:9]
	v_mov_b32_e32 v27, s7
	v_mov_b32_e32 v29, s7
	v_cndmask_b32_e64 v24, 0, 1, vcc
	v_cmp_gt_i64_e32 vcc, v[2:3], v[10:11]
	v_lshl_add_u64 v[4:5], v[4:5], 0, v[24:25]
	v_mov_b32_e32 v31, s7
	v_cndmask_b32_e64 v26, 0, 1, vcc
	s_waitcnt lgkmcnt(2)
	v_cmp_gt_i64_e32 vcc, v[2:3], v[12:13]
	v_lshl_add_u64 v[4:5], v[4:5], 0, v[26:27]
	v_mov_b32_e32 v33, s7
	v_cndmask_b32_e64 v28, 0, 1, vcc
	v_cmp_gt_i64_e32 vcc, v[2:3], v[14:15]
	v_lshl_add_u64 v[4:5], v[4:5], 0, v[28:29]
	v_mov_b32_e32 v35, s7
	v_cndmask_b32_e64 v30, 0, 1, vcc
	s_waitcnt lgkmcnt(1)
	v_cmp_gt_i64_e32 vcc, v[2:3], v[16:17]
	v_lshl_add_u64 v[4:5], v[4:5], 0, v[30:31]
	v_mov_b32_e32 v37, s7
	v_cndmask_b32_e64 v32, 0, 1, vcc
	v_cmp_gt_i64_e32 vcc, v[2:3], v[18:19]
	v_lshl_add_u64 v[4:5], v[4:5], 0, v[32:33]
	s_add_u32 s16, s16, 8
	v_cndmask_b32_e64 v34, 0, 1, vcc
	s_waitcnt lgkmcnt(0)
	v_cmp_gt_i64_e32 vcc, v[2:3], v[20:21]
	v_lshl_add_u64 v[4:5], v[4:5], 0, v[34:35]
	v_mov_b32_e32 v39, s7
	v_cndmask_b32_e64 v36, 0, 1, vcc
	v_cmp_gt_i64_e32 vcc, v[2:3], v[22:23]
	s_addc_u32 s17, s17, 0
	s_add_i32 s18, s18, 64
	v_cndmask_b32_e64 v38, 0, 1, vcc
	v_lshl_add_u64 v[4:5], v[4:5], 0, v[36:37]
	s_cmp_eq_u64 s[10:11], s[16:17]
	v_lshl_add_u64 v[4:5], v[4:5], 0, v[38:39]
	s_cbranch_scc0 .LBB84_72
; %bb.73:                               ;   in Loop: Header=BB84_70 Depth=1
	s_mov_b64 s[16:17], s[10:11]
.LBB84_74:                              ;   in Loop: Header=BB84_70 Depth=1
	s_and_b64 vcc, exec, s[2:3]
	s_cbranch_vccnz .LBB84_69
; %bb.75:                               ;   in Loop: Header=BB84_70 Depth=1
	s_lshl_b32 s16, s16, 3
	s_add_i32 s18, s16, 0
	s_mov_b64 s[16:17], s[6:7]
.LBB84_76:                              ;   Parent Loop BB84_70 Depth=1
                                        ; =>  This Inner Loop Header: Depth=2
	v_mov_b32_e32 v7, s18
	ds_read_b64 v[10:11], v7
	s_add_i32 s18, s18, 8
	s_add_u32 s16, s16, -1
	v_mov_b32_e32 v9, s7
	s_addc_u32 s17, s17, -1
	s_waitcnt lgkmcnt(0)
	v_cmp_gt_i64_e32 vcc, v[2:3], v[10:11]
	s_cmp_lg_u64 s[16:17], 0
	s_nop 0
	v_cndmask_b32_e64 v8, 0, 1, vcc
	v_lshl_add_u64 v[4:5], v[4:5], 0, v[8:9]
	s_cbranch_scc1 .LBB84_76
	s_branch .LBB84_69
.LBB84_77:
	s_endpgm
	.section	.rodata,"a",@progbits
	.p2align	6, 0x0
	.amdhsa_kernel _ZN9rocsparseL41csrgemm_numeric_fill_block_per_row_kernelILj256ELj32ELj512ELj137ELj32EllfEEvT5_PKS1_S3_NS_24const_host_device_scalarIT6_EEPKT4_S3_PKS5_S9_S3_SB_S6_S9_S3_SB_S9_S3_PS5_21rocsparse_index_base_SD_SD_SD_bbb
		.amdhsa_group_segment_fixed_size 0
		.amdhsa_private_segment_fixed_size 0
		.amdhsa_kernarg_size 156
		.amdhsa_user_sgpr_count 2
		.amdhsa_user_sgpr_dispatch_ptr 0
		.amdhsa_user_sgpr_queue_ptr 0
		.amdhsa_user_sgpr_kernarg_segment_ptr 1
		.amdhsa_user_sgpr_dispatch_id 0
		.amdhsa_user_sgpr_kernarg_preload_length 0
		.amdhsa_user_sgpr_kernarg_preload_offset 0
		.amdhsa_user_sgpr_private_segment_size 0
		.amdhsa_uses_dynamic_stack 0
		.amdhsa_enable_private_segment 0
		.amdhsa_system_sgpr_workgroup_id_x 1
		.amdhsa_system_sgpr_workgroup_id_y 0
		.amdhsa_system_sgpr_workgroup_id_z 0
		.amdhsa_system_sgpr_workgroup_info 0
		.amdhsa_system_vgpr_workitem_id 0
		.amdhsa_next_free_vgpr 40
		.amdhsa_next_free_sgpr 58
		.amdhsa_accum_offset 40
		.amdhsa_reserve_vcc 1
		.amdhsa_float_round_mode_32 0
		.amdhsa_float_round_mode_16_64 0
		.amdhsa_float_denorm_mode_32 3
		.amdhsa_float_denorm_mode_16_64 3
		.amdhsa_dx10_clamp 1
		.amdhsa_ieee_mode 1
		.amdhsa_fp16_overflow 0
		.amdhsa_tg_split 0
		.amdhsa_exception_fp_ieee_invalid_op 0
		.amdhsa_exception_fp_denorm_src 0
		.amdhsa_exception_fp_ieee_div_zero 0
		.amdhsa_exception_fp_ieee_overflow 0
		.amdhsa_exception_fp_ieee_underflow 0
		.amdhsa_exception_fp_ieee_inexact 0
		.amdhsa_exception_int_div_zero 0
	.end_amdhsa_kernel
	.section	.text._ZN9rocsparseL41csrgemm_numeric_fill_block_per_row_kernelILj256ELj32ELj512ELj137ELj32EllfEEvT5_PKS1_S3_NS_24const_host_device_scalarIT6_EEPKT4_S3_PKS5_S9_S3_SB_S6_S9_S3_SB_S9_S3_PS5_21rocsparse_index_base_SD_SD_SD_bbb,"axG",@progbits,_ZN9rocsparseL41csrgemm_numeric_fill_block_per_row_kernelILj256ELj32ELj512ELj137ELj32EllfEEvT5_PKS1_S3_NS_24const_host_device_scalarIT6_EEPKT4_S3_PKS5_S9_S3_SB_S6_S9_S3_SB_S9_S3_PS5_21rocsparse_index_base_SD_SD_SD_bbb,comdat
.Lfunc_end84:
	.size	_ZN9rocsparseL41csrgemm_numeric_fill_block_per_row_kernelILj256ELj32ELj512ELj137ELj32EllfEEvT5_PKS1_S3_NS_24const_host_device_scalarIT6_EEPKT4_S3_PKS5_S9_S3_SB_S6_S9_S3_SB_S9_S3_PS5_21rocsparse_index_base_SD_SD_SD_bbb, .Lfunc_end84-_ZN9rocsparseL41csrgemm_numeric_fill_block_per_row_kernelILj256ELj32ELj512ELj137ELj32EllfEEvT5_PKS1_S3_NS_24const_host_device_scalarIT6_EEPKT4_S3_PKS5_S9_S3_SB_S6_S9_S3_SB_S9_S3_PS5_21rocsparse_index_base_SD_SD_SD_bbb
                                        ; -- End function
	.set _ZN9rocsparseL41csrgemm_numeric_fill_block_per_row_kernelILj256ELj32ELj512ELj137ELj32EllfEEvT5_PKS1_S3_NS_24const_host_device_scalarIT6_EEPKT4_S3_PKS5_S9_S3_SB_S6_S9_S3_SB_S9_S3_PS5_21rocsparse_index_base_SD_SD_SD_bbb.num_vgpr, 40
	.set _ZN9rocsparseL41csrgemm_numeric_fill_block_per_row_kernelILj256ELj32ELj512ELj137ELj32EllfEEvT5_PKS1_S3_NS_24const_host_device_scalarIT6_EEPKT4_S3_PKS5_S9_S3_SB_S6_S9_S3_SB_S9_S3_PS5_21rocsparse_index_base_SD_SD_SD_bbb.num_agpr, 0
	.set _ZN9rocsparseL41csrgemm_numeric_fill_block_per_row_kernelILj256ELj32ELj512ELj137ELj32EllfEEvT5_PKS1_S3_NS_24const_host_device_scalarIT6_EEPKT4_S3_PKS5_S9_S3_SB_S6_S9_S3_SB_S9_S3_PS5_21rocsparse_index_base_SD_SD_SD_bbb.numbered_sgpr, 58
	.set _ZN9rocsparseL41csrgemm_numeric_fill_block_per_row_kernelILj256ELj32ELj512ELj137ELj32EllfEEvT5_PKS1_S3_NS_24const_host_device_scalarIT6_EEPKT4_S3_PKS5_S9_S3_SB_S6_S9_S3_SB_S9_S3_PS5_21rocsparse_index_base_SD_SD_SD_bbb.num_named_barrier, 0
	.set _ZN9rocsparseL41csrgemm_numeric_fill_block_per_row_kernelILj256ELj32ELj512ELj137ELj32EllfEEvT5_PKS1_S3_NS_24const_host_device_scalarIT6_EEPKT4_S3_PKS5_S9_S3_SB_S6_S9_S3_SB_S9_S3_PS5_21rocsparse_index_base_SD_SD_SD_bbb.private_seg_size, 0
	.set _ZN9rocsparseL41csrgemm_numeric_fill_block_per_row_kernelILj256ELj32ELj512ELj137ELj32EllfEEvT5_PKS1_S3_NS_24const_host_device_scalarIT6_EEPKT4_S3_PKS5_S9_S3_SB_S6_S9_S3_SB_S9_S3_PS5_21rocsparse_index_base_SD_SD_SD_bbb.uses_vcc, 1
	.set _ZN9rocsparseL41csrgemm_numeric_fill_block_per_row_kernelILj256ELj32ELj512ELj137ELj32EllfEEvT5_PKS1_S3_NS_24const_host_device_scalarIT6_EEPKT4_S3_PKS5_S9_S3_SB_S6_S9_S3_SB_S9_S3_PS5_21rocsparse_index_base_SD_SD_SD_bbb.uses_flat_scratch, 0
	.set _ZN9rocsparseL41csrgemm_numeric_fill_block_per_row_kernelILj256ELj32ELj512ELj137ELj32EllfEEvT5_PKS1_S3_NS_24const_host_device_scalarIT6_EEPKT4_S3_PKS5_S9_S3_SB_S6_S9_S3_SB_S9_S3_PS5_21rocsparse_index_base_SD_SD_SD_bbb.has_dyn_sized_stack, 0
	.set _ZN9rocsparseL41csrgemm_numeric_fill_block_per_row_kernelILj256ELj32ELj512ELj137ELj32EllfEEvT5_PKS1_S3_NS_24const_host_device_scalarIT6_EEPKT4_S3_PKS5_S9_S3_SB_S6_S9_S3_SB_S9_S3_PS5_21rocsparse_index_base_SD_SD_SD_bbb.has_recursion, 0
	.set _ZN9rocsparseL41csrgemm_numeric_fill_block_per_row_kernelILj256ELj32ELj512ELj137ELj32EllfEEvT5_PKS1_S3_NS_24const_host_device_scalarIT6_EEPKT4_S3_PKS5_S9_S3_SB_S6_S9_S3_SB_S9_S3_PS5_21rocsparse_index_base_SD_SD_SD_bbb.has_indirect_call, 0
	.section	.AMDGPU.csdata,"",@progbits
; Kernel info:
; codeLenInByte = 2784
; TotalNumSgprs: 64
; NumVgprs: 40
; NumAgprs: 0
; TotalNumVgprs: 40
; ScratchSize: 0
; MemoryBound: 0
; FloatMode: 240
; IeeeMode: 1
; LDSByteSize: 0 bytes/workgroup (compile time only)
; SGPRBlocks: 7
; VGPRBlocks: 4
; NumSGPRsForWavesPerEU: 64
; NumVGPRsForWavesPerEU: 40
; AccumOffset: 40
; Occupancy: 8
; WaveLimiterHint : 1
; COMPUTE_PGM_RSRC2:SCRATCH_EN: 0
; COMPUTE_PGM_RSRC2:USER_SGPR: 2
; COMPUTE_PGM_RSRC2:TRAP_HANDLER: 0
; COMPUTE_PGM_RSRC2:TGID_X_EN: 1
; COMPUTE_PGM_RSRC2:TGID_Y_EN: 0
; COMPUTE_PGM_RSRC2:TGID_Z_EN: 0
; COMPUTE_PGM_RSRC2:TIDIG_COMP_CNT: 0
; COMPUTE_PGM_RSRC3_GFX90A:ACCUM_OFFSET: 9
; COMPUTE_PGM_RSRC3_GFX90A:TG_SPLIT: 0
	.section	.text._ZN9rocsparseL41csrgemm_numeric_fill_block_per_row_kernelILj256ELj32ELj512ELj137ELj64EllfEEvT5_PKS1_S3_NS_24const_host_device_scalarIT6_EEPKT4_S3_PKS5_S9_S3_SB_S6_S9_S3_SB_S9_S3_PS5_21rocsparse_index_base_SD_SD_SD_bbb,"axG",@progbits,_ZN9rocsparseL41csrgemm_numeric_fill_block_per_row_kernelILj256ELj32ELj512ELj137ELj64EllfEEvT5_PKS1_S3_NS_24const_host_device_scalarIT6_EEPKT4_S3_PKS5_S9_S3_SB_S6_S9_S3_SB_S9_S3_PS5_21rocsparse_index_base_SD_SD_SD_bbb,comdat
	.globl	_ZN9rocsparseL41csrgemm_numeric_fill_block_per_row_kernelILj256ELj32ELj512ELj137ELj64EllfEEvT5_PKS1_S3_NS_24const_host_device_scalarIT6_EEPKT4_S3_PKS5_S9_S3_SB_S6_S9_S3_SB_S9_S3_PS5_21rocsparse_index_base_SD_SD_SD_bbb ; -- Begin function _ZN9rocsparseL41csrgemm_numeric_fill_block_per_row_kernelILj256ELj32ELj512ELj137ELj64EllfEEvT5_PKS1_S3_NS_24const_host_device_scalarIT6_EEPKT4_S3_PKS5_S9_S3_SB_S6_S9_S3_SB_S9_S3_PS5_21rocsparse_index_base_SD_SD_SD_bbb
	.p2align	8
	.type	_ZN9rocsparseL41csrgemm_numeric_fill_block_per_row_kernelILj256ELj32ELj512ELj137ELj64EllfEEvT5_PKS1_S3_NS_24const_host_device_scalarIT6_EEPKT4_S3_PKS5_S9_S3_SB_S6_S9_S3_SB_S9_S3_PS5_21rocsparse_index_base_SD_SD_SD_bbb,@function
_ZN9rocsparseL41csrgemm_numeric_fill_block_per_row_kernelILj256ELj32ELj512ELj137ELj64EllfEEvT5_PKS1_S3_NS_24const_host_device_scalarIT6_EEPKT4_S3_PKS5_S9_S3_SB_S6_S9_S3_SB_S9_S3_PS5_21rocsparse_index_base_SD_SD_SD_bbb: ; @_ZN9rocsparseL41csrgemm_numeric_fill_block_per_row_kernelILj256ELj32ELj512ELj137ELj64EllfEEvT5_PKS1_S3_NS_24const_host_device_scalarIT6_EEPKT4_S3_PKS5_S9_S3_SB_S6_S9_S3_SB_S9_S3_PS5_21rocsparse_index_base_SD_SD_SD_bbb
; %bb.0:
	s_load_dword s3, s[0:1], 0x98
	s_load_dwordx2 s[4:5], s[0:1], 0x18
	s_load_dwordx2 s[8:9], s[0:1], 0x50
	s_waitcnt lgkmcnt(0)
	s_bitcmp1_b32 s3, 0
	s_cselect_b64 s[6:7], -1, 0
	s_bitcmp1_b32 s3, 16
	s_cselect_b64 s[10:11], -1, 0
	s_xor_b64 s[12:13], s[6:7], -1
	s_or_b64 s[12:13], s[10:11], s[12:13]
	s_and_b64 vcc, exec, s[12:13]
	s_cbranch_vccnz .LBB85_2
; %bb.1:
	s_load_dword s4, s[4:5], 0x0
	s_waitcnt lgkmcnt(0)
	v_mov_b32_e32 v20, s4
	s_branch .LBB85_3
.LBB85_2:
	v_mov_b32_e32 v1, s4
	v_cndmask_b32_e64 v20, 0, v1, s[6:7]
.LBB85_3:
	s_load_dwordx4 s[24:27], s[0:1], 0x88
	s_bitcmp1_b32 s3, 8
	s_cselect_b64 s[4:5], -1, 0
	s_xor_b64 s[12:13], s[4:5], -1
	s_or_b64 s[10:11], s[10:11], s[12:13]
	s_and_b64 vcc, exec, s[10:11]
	s_cbranch_vccnz .LBB85_5
; %bb.4:
	s_load_dword s3, s[8:9], 0x0
	s_waitcnt lgkmcnt(0)
	v_mov_b32_e32 v19, s3
	s_branch .LBB85_6
.LBB85_5:
	v_mov_b32_e32 v1, s8
	v_cndmask_b32_e64 v19, 0, v1, s[4:5]
.LBB85_6:
	s_load_dwordx2 s[34:35], s[0:1], 0x80
	s_load_dwordx8 s[8:15], s[0:1], 0x58
	s_load_dwordx4 s[36:39], s[0:1], 0x40
	s_load_dwordx4 s[28:31], s[0:1], 0x0
	s_load_dwordx2 s[40:41], s[0:1], 0x10
	s_load_dwordx8 s[16:23], s[0:1], 0x20
	s_movk_i32 s0, 0x200
	v_cmp_gt_u32_e64 s[0:1], s0, v0
	v_lshl_add_u32 v18, v0, 2, 0
	v_lshl_add_u32 v1, v0, 3, 0
	s_and_saveexec_b64 s[42:43], s[0:1]
	s_cbranch_execz .LBB85_9
; %bb.7:
	v_add_u32_e32 v2, 0x1000, v18
	v_or_b32_e32 v3, 0xffffff00, v0
	v_lshl_add_u32 v4, v0, 3, 0
	s_mov_b64 s[44:45], 0
	s_waitcnt lgkmcnt(0)
	v_mov_b64_e32 v[6:7], s[28:29]
	v_mov_b32_e32 v5, 0
.LBB85_8:                               ; =>This Inner Loop Header: Depth=1
	v_add_co_u32_e32 v3, vcc, 0x100, v3
	s_xor_b64 s[46:47], vcc, -1
	s_and_b64 s[46:47], exec, s[46:47]
	ds_write_b64 v4, v[6:7]
	ds_write_b32 v2, v5
	v_add_u32_e32 v2, 0x400, v2
	s_or_b64 s[44:45], s[46:47], s[44:45]
	v_add_u32_e32 v4, 0x800, v4
	s_andn2_b64 exec, exec, s[44:45]
	s_cbranch_execnz .LBB85_8
.LBB85_9:
	s_or_b64 exec, exec, s[42:43]
	s_waitcnt lgkmcnt(0)
	s_barrier
	s_load_dwordx2 s[30:31], s[30:31], 0x0
	s_mov_b32 s3, 0
	s_waitcnt lgkmcnt(0)
	s_lshl_b64 s[30:31], s[30:31], 3
	s_add_u32 s30, s40, s30
	s_addc_u32 s31, s41, s31
	s_lshl_b64 s[2:3], s[2:3], 3
	s_add_u32 s2, s30, s2
	s_addc_u32 s3, s31, s3
	s_load_dwordx2 s[30:31], s[2:3], 0x0
	s_and_b64 vcc, exec, s[6:7]
	s_cbranch_vccz .LBB85_29
; %bb.10:
	s_waitcnt lgkmcnt(0)
	s_lshl_b64 s[2:3], s[30:31], 3
	s_add_u32 s2, s16, s2
	s_addc_u32 s3, s17, s3
	s_load_dwordx4 s[40:43], s[2:3], 0x0
	v_lshrrev_b32_e32 v2, 5, v0
	v_subrev_co_u32_e32 v2, vcc, s24, v2
	s_waitcnt lgkmcnt(0)
	s_sub_u32 s2, s42, s24
	v_subb_co_u32_e64 v3, s[6:7], 0, 0, vcc
	s_subb_u32 s3, s43, 0
	v_lshl_add_u64 v[2:3], s[40:41], 0, v[2:3]
	v_cmp_gt_i64_e32 vcc, s[2:3], v[2:3]
	s_and_saveexec_b64 s[6:7], vcc
	s_cbranch_execz .LBB85_28
; %bb.11:
	v_and_b32_e32 v4, 31, v0
	v_subrev_co_u32_e32 v4, vcc, s25, v4
	s_mov_b32 s33, s25
	s_nop 0
	v_subb_co_u32_e64 v5, s[16:17], 0, 0, vcc
	s_mov_b64 s[16:17], 0
	s_movk_i32 s25, 0x89
	s_branch .LBB85_13
.LBB85_12:                              ;   in Loop: Header=BB85_13 Depth=1
	s_or_b64 exec, exec, s[40:41]
	v_lshl_add_u64 v[2:3], v[2:3], 0, 8
	v_cmp_le_i64_e32 vcc, s[2:3], v[2:3]
	s_or_b64 s[16:17], vcc, s[16:17]
	s_andn2_b64 exec, exec, s[16:17]
	s_cbranch_execz .LBB85_28
.LBB85_13:                              ; =>This Loop Header: Depth=1
                                        ;     Child Loop BB85_17 Depth 2
                                        ;       Child Loop BB85_20 Depth 3
	v_lshl_add_u64 v[6:7], v[2:3], 3, s[18:19]
	global_load_dwordx2 v[6:7], v[6:7], off
	s_waitcnt vmcnt(0)
	v_subrev_co_u32_e32 v6, vcc, s24, v6
	s_nop 1
	v_subbrev_co_u32_e32 v7, vcc, 0, v7, vcc
	v_lshl_add_u64 v[6:7], v[6:7], 3, s[22:23]
	global_load_dwordx4 v[8:11], v[6:7], off
	s_waitcnt vmcnt(0)
	v_subrev_co_u32_e32 v6, vcc, s33, v10
	s_nop 1
	v_subbrev_co_u32_e32 v7, vcc, 0, v11, vcc
	v_lshl_add_u64 v[8:9], v[8:9], 0, v[4:5]
	v_cmp_lt_i64_e32 vcc, v[8:9], v[6:7]
	s_and_saveexec_b64 s[40:41], vcc
	s_cbranch_execz .LBB85_12
; %bb.14:                               ;   in Loop: Header=BB85_13 Depth=1
	v_lshl_add_u64 v[10:11], v[2:3], 2, s[20:21]
	global_load_dword v10, v[10:11], off
	s_mov_b64 s[42:43], 0
	s_waitcnt vmcnt(0)
	v_mul_f32_e32 v21, v20, v10
	s_branch .LBB85_17
.LBB85_15:                              ;   in Loop: Header=BB85_17 Depth=2
	s_or_b64 exec, exec, s[46:47]
.LBB85_16:                              ;   in Loop: Header=BB85_17 Depth=2
	s_or_b64 exec, exec, s[44:45]
	s_waitcnt vmcnt(0)
	v_mul_f32_e32 v10, v21, v22
	v_lshl_add_u32 v11, v12, 2, 0
	ds_add_f32 v11, v10 offset:4096
	v_lshl_add_u64 v[8:9], v[8:9], 0, 32
	v_cmp_ge_i64_e32 vcc, v[8:9], v[6:7]
	s_or_b64 s[42:43], vcc, s[42:43]
	s_andn2_b64 exec, exec, s[42:43]
	s_cbranch_execz .LBB85_12
.LBB85_17:                              ;   Parent Loop BB85_13 Depth=1
                                        ; =>  This Loop Header: Depth=2
                                        ;       Child Loop BB85_20 Depth 3
	v_lshl_add_u64 v[10:11], v[8:9], 3, s[36:37]
	global_load_dwordx2 v[10:11], v[10:11], off
	v_lshl_add_u64 v[12:13], v[8:9], 2, s[38:39]
	global_load_dword v22, v[12:13], off
	s_waitcnt vmcnt(1)
	v_subrev_co_u32_e32 v10, vcc, s33, v10
	v_mul_lo_u32 v12, v10, s25
	v_and_b32_e32 v12, 0x1ff, v12
	v_lshl_add_u32 v23, v12, 3, 0
	ds_read_b64 v[16:17], v23
	v_subbrev_co_u32_e32 v11, vcc, 0, v11, vcc
	s_waitcnt lgkmcnt(0)
	v_cmp_ne_u64_e32 vcc, v[16:17], v[10:11]
	s_and_saveexec_b64 s[44:45], vcc
	s_cbranch_execz .LBB85_16
; %bb.18:                               ;   in Loop: Header=BB85_17 Depth=2
	s_mov_b64 s[46:47], 0
                                        ; implicit-def: $sgpr48_sgpr49
                                        ; implicit-def: $sgpr50_sgpr51
	s_branch .LBB85_20
.LBB85_19:                              ;   in Loop: Header=BB85_20 Depth=3
	s_or_b64 exec, exec, s[56:57]
	s_and_b64 s[52:53], exec, s[54:55]
	s_or_b64 s[46:47], s[52:53], s[46:47]
	s_andn2_b64 s[48:49], s[48:49], exec
	s_and_b64 s[52:53], s[50:51], exec
	s_or_b64 s[48:49], s[48:49], s[52:53]
	s_andn2_b64 exec, exec, s[46:47]
	s_cbranch_execz .LBB85_26
.LBB85_20:                              ;   Parent Loop BB85_13 Depth=1
                                        ;     Parent Loop BB85_17 Depth=2
                                        ; =>    This Inner Loop Header: Depth=3
	v_mov_b64_e32 v[14:15], v[12:13]
	v_cmp_ne_u64_e32 vcc, s[28:29], v[16:17]
	s_mov_b64 s[52:53], 0
                                        ; implicit-def: $vgpr12_vgpr13
	s_and_saveexec_b64 s[54:55], vcc
	s_xor_b64 s[54:55], exec, s[54:55]
; %bb.21:                               ;   in Loop: Header=BB85_20 Depth=3
	v_add_u32_e32 v12, 1, v14
	s_mov_b64 s[52:53], exec
	v_and_b32_e32 v12, 0x1ff, v12
                                        ; implicit-def: $vgpr23
; %bb.22:                               ;   in Loop: Header=BB85_20 Depth=3
	s_andn2_saveexec_b64 s[54:55], s[54:55]
	s_cbranch_execz .LBB85_24
; %bb.23:                               ;   in Loop: Header=BB85_20 Depth=3
	v_mov_b64_e32 v[12:13], s[28:29]
	ds_cmpst_rtn_b64 v[12:13], v23, v[12:13], v[10:11]
	s_andn2_b64 s[52:53], s[52:53], exec
	s_waitcnt lgkmcnt(0)
	v_cmp_ne_u64_e32 vcc, s[28:29], v[12:13]
	s_and_b64 s[56:57], vcc, exec
	s_or_b64 s[52:53], s[52:53], s[56:57]
	v_mov_b64_e32 v[12:13], v[14:15]
.LBB85_24:                              ;   in Loop: Header=BB85_20 Depth=3
	s_or_b64 exec, exec, s[54:55]
	s_mov_b64 s[54:55], -1
	s_or_b64 s[50:51], s[50:51], exec
                                        ; implicit-def: $vgpr23
                                        ; implicit-def: $vgpr16_vgpr17
	s_and_saveexec_b64 s[56:57], s[52:53]
	s_cbranch_execz .LBB85_19
; %bb.25:                               ;   in Loop: Header=BB85_20 Depth=3
	v_lshl_add_u32 v23, v12, 3, 0
	ds_read_b64 v[16:17], v23
	s_andn2_b64 s[50:51], s[50:51], exec
	s_waitcnt lgkmcnt(0)
	v_cmp_eq_u64_e32 vcc, v[16:17], v[10:11]
	s_orn2_b64 s[54:55], vcc, exec
	s_branch .LBB85_19
.LBB85_26:                              ;   in Loop: Header=BB85_17 Depth=2
	s_or_b64 exec, exec, s[46:47]
	s_and_saveexec_b64 s[46:47], s[48:49]
	s_xor_b64 s[46:47], exec, s[46:47]
	s_cbranch_execz .LBB85_15
; %bb.27:                               ;   in Loop: Header=BB85_17 Depth=2
	v_mov_b32_e32 v12, v14
	s_branch .LBB85_15
.LBB85_28:
	s_or_b64 exec, exec, s[6:7]
.LBB85_29:
	s_andn2_b64 vcc, exec, s[4:5]
	s_cbranch_vccnz .LBB85_46
; %bb.30:
	s_waitcnt lgkmcnt(0)
	s_lshl_b64 s[2:3], s[30:31], 3
	s_add_u32 s2, s8, s2
	s_addc_u32 s3, s9, s3
	s_load_dwordx4 s[4:7], s[2:3], 0x0
	v_subrev_co_u32_e32 v2, vcc, s27, v0
	s_waitcnt lgkmcnt(0)
	s_sub_u32 s2, s6, s27
	s_subb_u32 s3, s7, 0
	v_subb_co_u32_e64 v3, s[6:7], 0, 0, vcc
	v_lshl_add_u64 v[2:3], s[4:5], 0, v[2:3]
	v_cmp_gt_i64_e32 vcc, s[2:3], v[2:3]
	s_and_saveexec_b64 s[4:5], vcc
	s_cbranch_execz .LBB85_45
; %bb.31:
	s_mov_b32 s33, s27
	s_mov_b64 s[6:7], 0
	s_movk_i32 s27, 0x89
	s_mov_b64 s[8:9], 0x100
	s_branch .LBB85_34
.LBB85_32:                              ;   in Loop: Header=BB85_34 Depth=1
	s_or_b64 exec, exec, s[18:19]
.LBB85_33:                              ;   in Loop: Header=BB85_34 Depth=1
	s_or_b64 exec, exec, s[16:17]
	s_waitcnt vmcnt(0)
	v_mul_f32_e32 v4, v19, v12
	v_lshl_add_u32 v5, v6, 2, 0
	ds_add_f32 v5, v4 offset:4096
	v_lshl_add_u64 v[2:3], v[2:3], 0, s[8:9]
	v_cmp_le_i64_e32 vcc, s[2:3], v[2:3]
	s_or_b64 s[6:7], vcc, s[6:7]
	s_andn2_b64 exec, exec, s[6:7]
	s_cbranch_execz .LBB85_45
.LBB85_34:                              ; =>This Loop Header: Depth=1
                                        ;     Child Loop BB85_37 Depth 2
	v_lshl_add_u64 v[4:5], v[2:3], 3, s[10:11]
	global_load_dwordx2 v[4:5], v[4:5], off
	v_lshl_add_u64 v[6:7], v[2:3], 2, s[12:13]
	global_load_dword v12, v[6:7], off
	s_waitcnt vmcnt(1)
	v_subrev_co_u32_e32 v4, vcc, s33, v4
	v_mul_lo_u32 v6, v4, s27
	v_and_b32_e32 v6, 0x1ff, v6
	v_lshl_add_u32 v13, v6, 3, 0
	ds_read_b64 v[10:11], v13
	v_subbrev_co_u32_e32 v5, vcc, 0, v5, vcc
	s_waitcnt lgkmcnt(0)
	v_cmp_ne_u64_e32 vcc, v[10:11], v[4:5]
	s_and_saveexec_b64 s[16:17], vcc
	s_cbranch_execz .LBB85_33
; %bb.35:                               ;   in Loop: Header=BB85_34 Depth=1
	s_mov_b64 s[18:19], 0
                                        ; implicit-def: $sgpr20_sgpr21
                                        ; implicit-def: $sgpr22_sgpr23
	s_branch .LBB85_37
.LBB85_36:                              ;   in Loop: Header=BB85_37 Depth=2
	s_or_b64 exec, exec, s[38:39]
	s_and_b64 s[24:25], exec, s[36:37]
	s_or_b64 s[18:19], s[24:25], s[18:19]
	s_andn2_b64 s[20:21], s[20:21], exec
	s_and_b64 s[24:25], s[22:23], exec
	s_or_b64 s[20:21], s[20:21], s[24:25]
	s_andn2_b64 exec, exec, s[18:19]
	s_cbranch_execz .LBB85_43
.LBB85_37:                              ;   Parent Loop BB85_34 Depth=1
                                        ; =>  This Inner Loop Header: Depth=2
	v_mov_b64_e32 v[8:9], v[6:7]
	v_cmp_ne_u64_e32 vcc, s[28:29], v[10:11]
	s_mov_b64 s[24:25], 0
                                        ; implicit-def: $vgpr6_vgpr7
	s_and_saveexec_b64 s[36:37], vcc
	s_xor_b64 s[36:37], exec, s[36:37]
; %bb.38:                               ;   in Loop: Header=BB85_37 Depth=2
	v_add_u32_e32 v6, 1, v8
	s_mov_b64 s[24:25], exec
	v_and_b32_e32 v6, 0x1ff, v6
                                        ; implicit-def: $vgpr13
; %bb.39:                               ;   in Loop: Header=BB85_37 Depth=2
	s_andn2_saveexec_b64 s[36:37], s[36:37]
	s_cbranch_execz .LBB85_41
; %bb.40:                               ;   in Loop: Header=BB85_37 Depth=2
	v_mov_b64_e32 v[6:7], s[28:29]
	ds_cmpst_rtn_b64 v[6:7], v13, v[6:7], v[4:5]
	s_andn2_b64 s[24:25], s[24:25], exec
	s_waitcnt lgkmcnt(0)
	v_cmp_ne_u64_e32 vcc, s[28:29], v[6:7]
	s_and_b64 s[38:39], vcc, exec
	s_or_b64 s[24:25], s[24:25], s[38:39]
	v_mov_b64_e32 v[6:7], v[8:9]
.LBB85_41:                              ;   in Loop: Header=BB85_37 Depth=2
	s_or_b64 exec, exec, s[36:37]
	s_mov_b64 s[36:37], -1
	s_or_b64 s[22:23], s[22:23], exec
                                        ; implicit-def: $vgpr13
                                        ; implicit-def: $vgpr10_vgpr11
	s_and_saveexec_b64 s[38:39], s[24:25]
	s_cbranch_execz .LBB85_36
; %bb.42:                               ;   in Loop: Header=BB85_37 Depth=2
	v_lshl_add_u32 v13, v6, 3, 0
	ds_read_b64 v[10:11], v13
	s_andn2_b64 s[22:23], s[22:23], exec
	s_waitcnt lgkmcnt(0)
	v_cmp_eq_u64_e32 vcc, v[10:11], v[4:5]
	s_orn2_b64 s[36:37], vcc, exec
	s_branch .LBB85_36
.LBB85_43:                              ;   in Loop: Header=BB85_34 Depth=1
	s_or_b64 exec, exec, s[18:19]
	s_and_saveexec_b64 s[18:19], s[20:21]
	s_xor_b64 s[18:19], exec, s[18:19]
	s_cbranch_execz .LBB85_32
; %bb.44:                               ;   in Loop: Header=BB85_34 Depth=1
	v_mov_b32_e32 v6, v8
	s_branch .LBB85_32
.LBB85_45:
	s_or_b64 exec, exec, s[4:5]
.LBB85_46:
	s_waitcnt lgkmcnt(0)
	s_barrier
	s_and_saveexec_b64 s[8:9], s[0:1]
	s_cbranch_execz .LBB85_59
; %bb.47:
	v_mbcnt_lo_u32_b32 v2, -1, 0
	v_mbcnt_hi_u32_b32 v2, -1, v2
	v_sub_u32_e32 v2, 63, v2
	v_lshrrev_b64 v[4:5], v2, -1
	v_lshrrev_b32_e32 v2, 3, v0
	v_and_b32_e32 v2, 24, v2
	s_movk_i32 s0, 0xff
	s_movk_i32 s4, 0x7f
	;; [unrolled: 1-line block ×3, first 2 shown]
	v_mov_b32_e32 v3, 0
	v_add_u32_e32 v12, 0, v2
	v_cmp_eq_u32_e64 s[0:1], s0, v0
	v_cmp_lt_u32_e64 s[2:3], 63, v0
	v_cmp_lt_u32_e64 s[4:5], s4, v0
	;; [unrolled: 1-line block ×3, first 2 shown]
	v_add_u32_e32 v13, 0x1000, v18
	v_or_b32_e32 v14, 0xffffff00, v0
	s_mov_b64 s[10:11], 0
	v_mov_b64_e32 v[6:7], 0
	s_branch .LBB85_49
.LBB85_48:                              ;   in Loop: Header=BB85_49 Depth=1
	s_or_b64 exec, exec, s[12:13]
	s_waitcnt lgkmcnt(0)
	s_barrier
	ds_read_b64 v[8:9], v3 offset:6168
	v_add_co_u32_e32 v14, vcc, 0x100, v14
	s_xor_b64 s[12:13], vcc, -1
	s_and_b64 s[12:13], exec, s[12:13]
	v_add_u32_e32 v13, 0x400, v13
	s_waitcnt lgkmcnt(0)
	v_lshl_add_u64 v[6:7], v[8:9], 0, v[6:7]
	s_or_b64 s[10:11], s[12:13], s[10:11]
	v_add_u32_e32 v1, 0x800, v1
	s_andn2_b64 exec, exec, s[10:11]
	s_cbranch_execz .LBB85_59
.LBB85_49:                              ; =>This Inner Loop Header: Depth=1
	ds_read_b64 v[8:9], v1
	ds_read_b32 v15, v13
	s_waitcnt lgkmcnt(0)
	s_barrier
	v_cmp_gt_i64_e32 vcc, s[28:29], v[8:9]
	s_bcnt1_i32_b64 s12, vcc
	v_mov_b32_e32 v2, s12
	v_and_b32_e32 v11, vcc_lo, v4
	v_and_b32_e32 v10, vcc_hi, v5
	v_bcnt_u32_b32 v11, v11, 0
	v_bcnt_u32_b32 v10, v10, v11
	ds_write_b64 v12, v[2:3] offset:6144
	s_waitcnt lgkmcnt(0)
	s_barrier
	s_and_saveexec_b64 s[12:13], s[2:3]
	s_cbranch_execnz .LBB85_54
; %bb.50:                               ;   in Loop: Header=BB85_49 Depth=1
	s_or_b64 exec, exec, s[12:13]
	s_and_saveexec_b64 s[12:13], s[4:5]
	s_cbranch_execnz .LBB85_55
.LBB85_51:                              ;   in Loop: Header=BB85_49 Depth=1
	s_or_b64 exec, exec, s[12:13]
	s_and_saveexec_b64 s[12:13], s[6:7]
	s_cbranch_execnz .LBB85_56
.LBB85_52:                              ;   in Loop: Header=BB85_49 Depth=1
	s_or_b64 exec, exec, s[12:13]
	v_ashrrev_i32_e32 v11, 31, v10
	s_and_saveexec_b64 s[12:13], vcc
	s_cbranch_execnz .LBB85_57
.LBB85_53:                              ;   in Loop: Header=BB85_49 Depth=1
	s_or_b64 exec, exec, s[12:13]
	s_and_saveexec_b64 s[12:13], s[0:1]
	s_cbranch_execz .LBB85_48
	s_branch .LBB85_58
.LBB85_54:                              ;   in Loop: Header=BB85_49 Depth=1
	ds_read_b32 v2, v3 offset:6144
	s_waitcnt lgkmcnt(0)
	v_add_u32_e32 v10, v2, v10
	s_or_b64 exec, exec, s[12:13]
	s_and_saveexec_b64 s[12:13], s[4:5]
	s_cbranch_execz .LBB85_51
.LBB85_55:                              ;   in Loop: Header=BB85_49 Depth=1
	ds_read_b32 v2, v3 offset:6152
	s_waitcnt lgkmcnt(0)
	v_add_u32_e32 v10, v10, v2
	s_or_b64 exec, exec, s[12:13]
	s_and_saveexec_b64 s[12:13], s[6:7]
	s_cbranch_execz .LBB85_52
.LBB85_56:                              ;   in Loop: Header=BB85_49 Depth=1
	ds_read_b32 v2, v3 offset:6160
	s_waitcnt lgkmcnt(0)
	v_add_u32_e32 v10, v10, v2
	s_or_b64 exec, exec, s[12:13]
	v_ashrrev_i32_e32 v11, 31, v10
	s_and_saveexec_b64 s[12:13], vcc
	s_cbranch_execz .LBB85_53
.LBB85_57:                              ;   in Loop: Header=BB85_49 Depth=1
	v_add3_u32 v2, v6, -1, v10
	v_lshl_add_u32 v2, v2, 3, 0
	v_add_u32_e32 v16, v6, v10
	v_lshl_add_u32 v16, v16, 2, 0
	ds_write_b64 v2, v[8:9]
	ds_write_b32 v16, v15 offset:4092
	s_or_b64 exec, exec, s[12:13]
	s_and_saveexec_b64 s[12:13], s[0:1]
	s_cbranch_execz .LBB85_48
.LBB85_58:                              ;   in Loop: Header=BB85_49 Depth=1
	ds_write_b64 v3, v[10:11] offset:6168
	s_branch .LBB85_48
.LBB85_59:
	s_or_b64 exec, exec, s[8:9]
	s_lshl_b64 s[0:1], s[30:31], 3
	s_add_u32 s4, s14, s0
	s_addc_u32 s5, s15, s1
	s_load_dwordx4 s[0:3], s[4:5], 0x0
	v_mov_b32_e32 v1, 0
	s_waitcnt lgkmcnt(0)
	s_sub_u32 s4, s2, s0
	s_subb_u32 s5, s3, s1
	v_cmp_gt_i64_e32 vcc, s[4:5], v[0:1]
	s_and_saveexec_b64 s[6:7], vcc
	s_cbranch_execz .LBB85_69
; %bb.60:
	s_sub_u32 s8, s0, s26
	s_subb_u32 s9, s1, 0
	s_and_b32 s6, s4, 7
	s_sub_u32 s0, s0, s2
	s_mov_b32 s7, 0
	s_subb_u32 s1, s1, s3
	s_and_b32 s10, s4, -8
	s_cmp_lg_u64 s[6:7], 0
	v_cmp_lt_u64_e64 s[0:1], s[0:1], -7
	s_cselect_b64 s[2:3], -1, 0
	s_mov_b32 s11, s5
	v_cndmask_b32_e64 v2, 0, 1, s[0:1]
	v_cmp_ne_u32_e64 s[0:1], 1, v2
	v_cndmask_b32_e64 v2, 0, 1, s[2:3]
	s_mov_b64 s[12:13], 0
	v_cmp_ne_u32_e64 s[2:3], 1, v2
	s_mov_b64 s[14:15], 0x100
	s_branch .LBB85_62
.LBB85_61:                              ;   in Loop: Header=BB85_62 Depth=1
	v_lshl_add_u64 v[0:1], v[0:1], 0, s[14:15]
	v_cmp_le_i64_e32 vcc, s[4:5], v[0:1]
	s_waitcnt lgkmcnt(1)
	v_lshl_add_u64 v[2:3], v[4:5], 2, s[34:35]
	s_or_b64 s[12:13], vcc, s[12:13]
	s_waitcnt lgkmcnt(0)
	global_store_dword v[2:3], v6, off
	s_andn2_b64 exec, exec, s[12:13]
	s_cbranch_execz .LBB85_69
.LBB85_62:                              ; =>This Loop Header: Depth=1
                                        ;     Child Loop BB85_64 Depth 2
                                        ;     Child Loop BB85_68 Depth 2
	v_lshl_add_u32 v2, v0, 3, 0
	v_lshlrev_b32_e32 v3, 2, v0
	v_sub_u32_e32 v4, v2, v3
	ds_read_b64 v[2:3], v2
	ds_read_b32 v6, v4 offset:4096
	s_and_b64 vcc, exec, s[0:1]
	v_mov_b64_e32 v[4:5], s[8:9]
	s_mov_b64 s[16:17], 0
	s_cbranch_vccnz .LBB85_66
; %bb.63:                               ;   in Loop: Header=BB85_62 Depth=1
	s_mov_b32 s18, 0
	v_mov_b64_e32 v[4:5], s[8:9]
.LBB85_64:                              ;   Parent Loop BB85_62 Depth=1
                                        ; =>  This Inner Loop Header: Depth=2
	v_mov_b32_e32 v7, s18
	ds_read2_b64 v[8:11], v7 offset1:1
	ds_read2_b64 v[12:15], v7 offset0:2 offset1:3
	ds_read2_b64 v[16:19], v7 offset0:4 offset1:5
	;; [unrolled: 1-line block ×3, first 2 shown]
	v_mov_b32_e32 v25, s7
	s_waitcnt lgkmcnt(3)
	v_cmp_gt_i64_e32 vcc, v[2:3], v[8:9]
	v_mov_b32_e32 v27, s7
	v_mov_b32_e32 v29, s7
	v_cndmask_b32_e64 v24, 0, 1, vcc
	v_cmp_gt_i64_e32 vcc, v[2:3], v[10:11]
	v_lshl_add_u64 v[4:5], v[4:5], 0, v[24:25]
	v_mov_b32_e32 v31, s7
	v_cndmask_b32_e64 v26, 0, 1, vcc
	s_waitcnt lgkmcnt(2)
	v_cmp_gt_i64_e32 vcc, v[2:3], v[12:13]
	v_lshl_add_u64 v[4:5], v[4:5], 0, v[26:27]
	v_mov_b32_e32 v33, s7
	v_cndmask_b32_e64 v28, 0, 1, vcc
	v_cmp_gt_i64_e32 vcc, v[2:3], v[14:15]
	v_lshl_add_u64 v[4:5], v[4:5], 0, v[28:29]
	v_mov_b32_e32 v35, s7
	v_cndmask_b32_e64 v30, 0, 1, vcc
	s_waitcnt lgkmcnt(1)
	v_cmp_gt_i64_e32 vcc, v[2:3], v[16:17]
	v_lshl_add_u64 v[4:5], v[4:5], 0, v[30:31]
	v_mov_b32_e32 v37, s7
	v_cndmask_b32_e64 v32, 0, 1, vcc
	v_cmp_gt_i64_e32 vcc, v[2:3], v[18:19]
	v_lshl_add_u64 v[4:5], v[4:5], 0, v[32:33]
	s_add_u32 s16, s16, 8
	v_cndmask_b32_e64 v34, 0, 1, vcc
	s_waitcnt lgkmcnt(0)
	v_cmp_gt_i64_e32 vcc, v[2:3], v[20:21]
	v_lshl_add_u64 v[4:5], v[4:5], 0, v[34:35]
	v_mov_b32_e32 v39, s7
	v_cndmask_b32_e64 v36, 0, 1, vcc
	v_cmp_gt_i64_e32 vcc, v[2:3], v[22:23]
	s_addc_u32 s17, s17, 0
	s_add_i32 s18, s18, 64
	v_cndmask_b32_e64 v38, 0, 1, vcc
	v_lshl_add_u64 v[4:5], v[4:5], 0, v[36:37]
	s_cmp_eq_u64 s[10:11], s[16:17]
	v_lshl_add_u64 v[4:5], v[4:5], 0, v[38:39]
	s_cbranch_scc0 .LBB85_64
; %bb.65:                               ;   in Loop: Header=BB85_62 Depth=1
	s_mov_b64 s[16:17], s[10:11]
.LBB85_66:                              ;   in Loop: Header=BB85_62 Depth=1
	s_and_b64 vcc, exec, s[2:3]
	s_cbranch_vccnz .LBB85_61
; %bb.67:                               ;   in Loop: Header=BB85_62 Depth=1
	s_lshl_b32 s16, s16, 3
	s_add_i32 s18, s16, 0
	s_mov_b64 s[16:17], s[6:7]
.LBB85_68:                              ;   Parent Loop BB85_62 Depth=1
                                        ; =>  This Inner Loop Header: Depth=2
	v_mov_b32_e32 v7, s18
	ds_read_b64 v[10:11], v7
	s_add_i32 s18, s18, 8
	s_add_u32 s16, s16, -1
	v_mov_b32_e32 v9, s7
	s_addc_u32 s17, s17, -1
	s_waitcnt lgkmcnt(0)
	v_cmp_gt_i64_e32 vcc, v[2:3], v[10:11]
	s_cmp_lg_u64 s[16:17], 0
	s_nop 0
	v_cndmask_b32_e64 v8, 0, 1, vcc
	v_lshl_add_u64 v[4:5], v[4:5], 0, v[8:9]
	s_cbranch_scc1 .LBB85_68
	s_branch .LBB85_61
.LBB85_69:
	s_endpgm
	.section	.rodata,"a",@progbits
	.p2align	6, 0x0
	.amdhsa_kernel _ZN9rocsparseL41csrgemm_numeric_fill_block_per_row_kernelILj256ELj32ELj512ELj137ELj64EllfEEvT5_PKS1_S3_NS_24const_host_device_scalarIT6_EEPKT4_S3_PKS5_S9_S3_SB_S6_S9_S3_SB_S9_S3_PS5_21rocsparse_index_base_SD_SD_SD_bbb
		.amdhsa_group_segment_fixed_size 0
		.amdhsa_private_segment_fixed_size 0
		.amdhsa_kernarg_size 156
		.amdhsa_user_sgpr_count 2
		.amdhsa_user_sgpr_dispatch_ptr 0
		.amdhsa_user_sgpr_queue_ptr 0
		.amdhsa_user_sgpr_kernarg_segment_ptr 1
		.amdhsa_user_sgpr_dispatch_id 0
		.amdhsa_user_sgpr_kernarg_preload_length 0
		.amdhsa_user_sgpr_kernarg_preload_offset 0
		.amdhsa_user_sgpr_private_segment_size 0
		.amdhsa_uses_dynamic_stack 0
		.amdhsa_enable_private_segment 0
		.amdhsa_system_sgpr_workgroup_id_x 1
		.amdhsa_system_sgpr_workgroup_id_y 0
		.amdhsa_system_sgpr_workgroup_id_z 0
		.amdhsa_system_sgpr_workgroup_info 0
		.amdhsa_system_vgpr_workitem_id 0
		.amdhsa_next_free_vgpr 40
		.amdhsa_next_free_sgpr 58
		.amdhsa_accum_offset 40
		.amdhsa_reserve_vcc 1
		.amdhsa_float_round_mode_32 0
		.amdhsa_float_round_mode_16_64 0
		.amdhsa_float_denorm_mode_32 3
		.amdhsa_float_denorm_mode_16_64 3
		.amdhsa_dx10_clamp 1
		.amdhsa_ieee_mode 1
		.amdhsa_fp16_overflow 0
		.amdhsa_tg_split 0
		.amdhsa_exception_fp_ieee_invalid_op 0
		.amdhsa_exception_fp_denorm_src 0
		.amdhsa_exception_fp_ieee_div_zero 0
		.amdhsa_exception_fp_ieee_overflow 0
		.amdhsa_exception_fp_ieee_underflow 0
		.amdhsa_exception_fp_ieee_inexact 0
		.amdhsa_exception_int_div_zero 0
	.end_amdhsa_kernel
	.section	.text._ZN9rocsparseL41csrgemm_numeric_fill_block_per_row_kernelILj256ELj32ELj512ELj137ELj64EllfEEvT5_PKS1_S3_NS_24const_host_device_scalarIT6_EEPKT4_S3_PKS5_S9_S3_SB_S6_S9_S3_SB_S9_S3_PS5_21rocsparse_index_base_SD_SD_SD_bbb,"axG",@progbits,_ZN9rocsparseL41csrgemm_numeric_fill_block_per_row_kernelILj256ELj32ELj512ELj137ELj64EllfEEvT5_PKS1_S3_NS_24const_host_device_scalarIT6_EEPKT4_S3_PKS5_S9_S3_SB_S6_S9_S3_SB_S9_S3_PS5_21rocsparse_index_base_SD_SD_SD_bbb,comdat
.Lfunc_end85:
	.size	_ZN9rocsparseL41csrgemm_numeric_fill_block_per_row_kernelILj256ELj32ELj512ELj137ELj64EllfEEvT5_PKS1_S3_NS_24const_host_device_scalarIT6_EEPKT4_S3_PKS5_S9_S3_SB_S6_S9_S3_SB_S9_S3_PS5_21rocsparse_index_base_SD_SD_SD_bbb, .Lfunc_end85-_ZN9rocsparseL41csrgemm_numeric_fill_block_per_row_kernelILj256ELj32ELj512ELj137ELj64EllfEEvT5_PKS1_S3_NS_24const_host_device_scalarIT6_EEPKT4_S3_PKS5_S9_S3_SB_S6_S9_S3_SB_S9_S3_PS5_21rocsparse_index_base_SD_SD_SD_bbb
                                        ; -- End function
	.set _ZN9rocsparseL41csrgemm_numeric_fill_block_per_row_kernelILj256ELj32ELj512ELj137ELj64EllfEEvT5_PKS1_S3_NS_24const_host_device_scalarIT6_EEPKT4_S3_PKS5_S9_S3_SB_S6_S9_S3_SB_S9_S3_PS5_21rocsparse_index_base_SD_SD_SD_bbb.num_vgpr, 40
	.set _ZN9rocsparseL41csrgemm_numeric_fill_block_per_row_kernelILj256ELj32ELj512ELj137ELj64EllfEEvT5_PKS1_S3_NS_24const_host_device_scalarIT6_EEPKT4_S3_PKS5_S9_S3_SB_S6_S9_S3_SB_S9_S3_PS5_21rocsparse_index_base_SD_SD_SD_bbb.num_agpr, 0
	.set _ZN9rocsparseL41csrgemm_numeric_fill_block_per_row_kernelILj256ELj32ELj512ELj137ELj64EllfEEvT5_PKS1_S3_NS_24const_host_device_scalarIT6_EEPKT4_S3_PKS5_S9_S3_SB_S6_S9_S3_SB_S9_S3_PS5_21rocsparse_index_base_SD_SD_SD_bbb.numbered_sgpr, 58
	.set _ZN9rocsparseL41csrgemm_numeric_fill_block_per_row_kernelILj256ELj32ELj512ELj137ELj64EllfEEvT5_PKS1_S3_NS_24const_host_device_scalarIT6_EEPKT4_S3_PKS5_S9_S3_SB_S6_S9_S3_SB_S9_S3_PS5_21rocsparse_index_base_SD_SD_SD_bbb.num_named_barrier, 0
	.set _ZN9rocsparseL41csrgemm_numeric_fill_block_per_row_kernelILj256ELj32ELj512ELj137ELj64EllfEEvT5_PKS1_S3_NS_24const_host_device_scalarIT6_EEPKT4_S3_PKS5_S9_S3_SB_S6_S9_S3_SB_S9_S3_PS5_21rocsparse_index_base_SD_SD_SD_bbb.private_seg_size, 0
	.set _ZN9rocsparseL41csrgemm_numeric_fill_block_per_row_kernelILj256ELj32ELj512ELj137ELj64EllfEEvT5_PKS1_S3_NS_24const_host_device_scalarIT6_EEPKT4_S3_PKS5_S9_S3_SB_S6_S9_S3_SB_S9_S3_PS5_21rocsparse_index_base_SD_SD_SD_bbb.uses_vcc, 1
	.set _ZN9rocsparseL41csrgemm_numeric_fill_block_per_row_kernelILj256ELj32ELj512ELj137ELj64EllfEEvT5_PKS1_S3_NS_24const_host_device_scalarIT6_EEPKT4_S3_PKS5_S9_S3_SB_S6_S9_S3_SB_S9_S3_PS5_21rocsparse_index_base_SD_SD_SD_bbb.uses_flat_scratch, 0
	.set _ZN9rocsparseL41csrgemm_numeric_fill_block_per_row_kernelILj256ELj32ELj512ELj137ELj64EllfEEvT5_PKS1_S3_NS_24const_host_device_scalarIT6_EEPKT4_S3_PKS5_S9_S3_SB_S6_S9_S3_SB_S9_S3_PS5_21rocsparse_index_base_SD_SD_SD_bbb.has_dyn_sized_stack, 0
	.set _ZN9rocsparseL41csrgemm_numeric_fill_block_per_row_kernelILj256ELj32ELj512ELj137ELj64EllfEEvT5_PKS1_S3_NS_24const_host_device_scalarIT6_EEPKT4_S3_PKS5_S9_S3_SB_S6_S9_S3_SB_S9_S3_PS5_21rocsparse_index_base_SD_SD_SD_bbb.has_recursion, 0
	.set _ZN9rocsparseL41csrgemm_numeric_fill_block_per_row_kernelILj256ELj32ELj512ELj137ELj64EllfEEvT5_PKS1_S3_NS_24const_host_device_scalarIT6_EEPKT4_S3_PKS5_S9_S3_SB_S6_S9_S3_SB_S9_S3_PS5_21rocsparse_index_base_SD_SD_SD_bbb.has_indirect_call, 0
	.section	.AMDGPU.csdata,"",@progbits
; Kernel info:
; codeLenInByte = 2580
; TotalNumSgprs: 64
; NumVgprs: 40
; NumAgprs: 0
; TotalNumVgprs: 40
; ScratchSize: 0
; MemoryBound: 0
; FloatMode: 240
; IeeeMode: 1
; LDSByteSize: 0 bytes/workgroup (compile time only)
; SGPRBlocks: 7
; VGPRBlocks: 4
; NumSGPRsForWavesPerEU: 64
; NumVGPRsForWavesPerEU: 40
; AccumOffset: 40
; Occupancy: 8
; WaveLimiterHint : 1
; COMPUTE_PGM_RSRC2:SCRATCH_EN: 0
; COMPUTE_PGM_RSRC2:USER_SGPR: 2
; COMPUTE_PGM_RSRC2:TRAP_HANDLER: 0
; COMPUTE_PGM_RSRC2:TGID_X_EN: 1
; COMPUTE_PGM_RSRC2:TGID_Y_EN: 0
; COMPUTE_PGM_RSRC2:TGID_Z_EN: 0
; COMPUTE_PGM_RSRC2:TIDIG_COMP_CNT: 0
; COMPUTE_PGM_RSRC3_GFX90A:ACCUM_OFFSET: 9
; COMPUTE_PGM_RSRC3_GFX90A:TG_SPLIT: 0
	.section	.text._ZN9rocsparseL41csrgemm_numeric_fill_block_per_row_kernelILj512ELj32ELj1024ELj137ELj32EllfEEvT5_PKS1_S3_NS_24const_host_device_scalarIT6_EEPKT4_S3_PKS5_S9_S3_SB_S6_S9_S3_SB_S9_S3_PS5_21rocsparse_index_base_SD_SD_SD_bbb,"axG",@progbits,_ZN9rocsparseL41csrgemm_numeric_fill_block_per_row_kernelILj512ELj32ELj1024ELj137ELj32EllfEEvT5_PKS1_S3_NS_24const_host_device_scalarIT6_EEPKT4_S3_PKS5_S9_S3_SB_S6_S9_S3_SB_S9_S3_PS5_21rocsparse_index_base_SD_SD_SD_bbb,comdat
	.globl	_ZN9rocsparseL41csrgemm_numeric_fill_block_per_row_kernelILj512ELj32ELj1024ELj137ELj32EllfEEvT5_PKS1_S3_NS_24const_host_device_scalarIT6_EEPKT4_S3_PKS5_S9_S3_SB_S6_S9_S3_SB_S9_S3_PS5_21rocsparse_index_base_SD_SD_SD_bbb ; -- Begin function _ZN9rocsparseL41csrgemm_numeric_fill_block_per_row_kernelILj512ELj32ELj1024ELj137ELj32EllfEEvT5_PKS1_S3_NS_24const_host_device_scalarIT6_EEPKT4_S3_PKS5_S9_S3_SB_S6_S9_S3_SB_S9_S3_PS5_21rocsparse_index_base_SD_SD_SD_bbb
	.p2align	8
	.type	_ZN9rocsparseL41csrgemm_numeric_fill_block_per_row_kernelILj512ELj32ELj1024ELj137ELj32EllfEEvT5_PKS1_S3_NS_24const_host_device_scalarIT6_EEPKT4_S3_PKS5_S9_S3_SB_S6_S9_S3_SB_S9_S3_PS5_21rocsparse_index_base_SD_SD_SD_bbb,@function
_ZN9rocsparseL41csrgemm_numeric_fill_block_per_row_kernelILj512ELj32ELj1024ELj137ELj32EllfEEvT5_PKS1_S3_NS_24const_host_device_scalarIT6_EEPKT4_S3_PKS5_S9_S3_SB_S6_S9_S3_SB_S9_S3_PS5_21rocsparse_index_base_SD_SD_SD_bbb: ; @_ZN9rocsparseL41csrgemm_numeric_fill_block_per_row_kernelILj512ELj32ELj1024ELj137ELj32EllfEEvT5_PKS1_S3_NS_24const_host_device_scalarIT6_EEPKT4_S3_PKS5_S9_S3_SB_S6_S9_S3_SB_S9_S3_PS5_21rocsparse_index_base_SD_SD_SD_bbb
; %bb.0:
	s_load_dword s3, s[0:1], 0x98
	s_load_dwordx4 s[44:47], s[0:1], 0x88
	s_load_dwordx2 s[6:7], s[0:1], 0x18
	s_load_dwordx2 s[24:25], s[0:1], 0x50
	s_waitcnt lgkmcnt(0)
	s_bitcmp1_b32 s3, 0
	s_cselect_b64 s[4:5], -1, 0
	s_bitcmp1_b32 s3, 16
	s_cselect_b64 s[26:27], -1, 0
	s_xor_b64 s[8:9], s[4:5], -1
	s_or_b64 s[8:9], s[26:27], s[8:9]
	s_and_b64 vcc, exec, s[8:9]
	s_cbranch_vccnz .LBB86_2
; %bb.1:
	s_load_dword s6, s[6:7], 0x0
	s_waitcnt lgkmcnt(0)
	v_mov_b32_e32 v22, s6
	s_branch .LBB86_3
.LBB86_2:
	v_mov_b32_e32 v1, s6
	v_cndmask_b32_e64 v22, 0, v1, s[4:5]
.LBB86_3:
	s_load_dwordx2 s[34:35], s[0:1], 0x80
	s_load_dwordx8 s[36:43], s[0:1], 0x58
	s_load_dwordx4 s[16:19], s[0:1], 0x40
	s_load_dwordx4 s[20:23], s[0:1], 0x8
	s_load_dwordx8 s[8:15], s[0:1], 0x20
	s_bitcmp1_b32 s3, 8
	s_cselect_b64 s[6:7], -1, 0
	s_xor_b64 s[28:29], s[6:7], -1
	s_or_b64 s[26:27], s[26:27], s[28:29]
	s_and_b64 vcc, exec, s[26:27]
	s_cbranch_vccnz .LBB86_5
; %bb.4:
	s_load_dword s3, s[24:25], 0x0
	s_waitcnt lgkmcnt(0)
	v_mov_b32_e32 v20, s3
	s_branch .LBB86_6
.LBB86_5:
	v_mov_b32_e32 v1, s24
	v_cndmask_b32_e64 v20, 0, v1, s[6:7]
.LBB86_6:
	s_load_dwordx2 s[48:49], s[0:1], 0x0
	v_lshl_add_u32 v1, v0, 2, 0
	v_add_u32_e32 v1, 0x2000, v1
	v_or_b32_e32 v18, 0xfffffe00, v0
	v_lshl_add_u32 v19, v0, 3, 0
	s_mov_b64 s[0:1], 0
	s_waitcnt lgkmcnt(0)
	v_mov_b64_e32 v[6:7], s[48:49]
	v_mov_b32_e32 v2, 0
	v_mov_b32_e32 v3, v19
	;; [unrolled: 1-line block ×4, first 2 shown]
.LBB86_7:                               ; =>This Inner Loop Header: Depth=1
	v_add_co_u32_e32 v4, vcc, 0x200, v4
	s_xor_b64 s[24:25], vcc, -1
	s_and_b64 s[24:25], exec, s[24:25]
	ds_write_b64 v3, v[6:7]
	ds_write_b32 v5, v2
	v_add_u32_e32 v5, 0x800, v5
	s_or_b64 s[0:1], s[24:25], s[0:1]
	v_add_u32_e32 v3, 0x1000, v3
	s_andn2_b64 exec, exec, s[0:1]
	s_cbranch_execnz .LBB86_7
; %bb.8:
	s_or_b64 exec, exec, s[0:1]
	s_waitcnt lgkmcnt(0)
	s_barrier
	s_load_dwordx2 s[0:1], s[20:21], 0x0
	s_mov_b32 s3, 0
	v_lshrrev_b32_e32 v21, 5, v0
	s_waitcnt lgkmcnt(0)
	s_lshl_b64 s[0:1], s[0:1], 3
	s_add_u32 s20, s22, s0
	s_addc_u32 s21, s23, s1
	s_lshl_b64 s[0:1], s[2:3], 3
	s_add_u32 s0, s20, s0
	s_addc_u32 s1, s21, s1
	s_load_dwordx2 s[50:51], s[0:1], 0x0
	s_and_b64 vcc, exec, s[4:5]
	s_cbranch_vccz .LBB86_28
; %bb.9:
	s_waitcnt lgkmcnt(0)
	s_lshl_b64 s[0:1], s[50:51], 3
	s_add_u32 s0, s8, s0
	s_addc_u32 s1, s9, s1
	s_load_dwordx4 s[20:23], s[0:1], 0x0
	v_subrev_co_u32_e32 v2, vcc, s44, v21
	s_nop 1
	v_subb_co_u32_e64 v3, s[0:1], 0, 0, vcc
	s_waitcnt lgkmcnt(0)
	s_sub_u32 s0, s22, s44
	s_subb_u32 s1, s23, 0
	v_lshl_add_u64 v[2:3], s[20:21], 0, v[2:3]
	v_cmp_gt_i64_e32 vcc, s[0:1], v[2:3]
	s_and_saveexec_b64 s[2:3], vcc
	s_cbranch_execz .LBB86_27
; %bb.10:
	v_and_b32_e32 v4, 31, v0
	v_subrev_co_u32_e32 v4, vcc, s45, v4
	s_mov_b32 s33, s45
	s_nop 0
	v_subb_co_u32_e64 v5, s[4:5], 0, 0, vcc
	s_mov_b64 s[4:5], 0
	s_movk_i32 s45, 0x89
	s_branch .LBB86_12
.LBB86_11:                              ;   in Loop: Header=BB86_12 Depth=1
	s_or_b64 exec, exec, s[8:9]
	v_lshl_add_u64 v[2:3], v[2:3], 0, 16
	v_cmp_le_i64_e32 vcc, s[0:1], v[2:3]
	s_or_b64 s[4:5], vcc, s[4:5]
	s_andn2_b64 exec, exec, s[4:5]
	s_cbranch_execz .LBB86_27
.LBB86_12:                              ; =>This Loop Header: Depth=1
                                        ;     Child Loop BB86_16 Depth 2
                                        ;       Child Loop BB86_19 Depth 3
	v_lshl_add_u64 v[6:7], v[2:3], 3, s[10:11]
	global_load_dwordx2 v[6:7], v[6:7], off
	s_waitcnt vmcnt(0)
	v_subrev_co_u32_e32 v6, vcc, s44, v6
	s_nop 1
	v_subbrev_co_u32_e32 v7, vcc, 0, v7, vcc
	v_lshl_add_u64 v[6:7], v[6:7], 3, s[14:15]
	global_load_dwordx4 v[8:11], v[6:7], off
	s_waitcnt vmcnt(0)
	v_subrev_co_u32_e32 v6, vcc, s33, v10
	s_nop 1
	v_subbrev_co_u32_e32 v7, vcc, 0, v11, vcc
	v_lshl_add_u64 v[8:9], v[8:9], 0, v[4:5]
	v_cmp_lt_i64_e32 vcc, v[8:9], v[6:7]
	s_and_saveexec_b64 s[8:9], vcc
	s_cbranch_execz .LBB86_11
; %bb.13:                               ;   in Loop: Header=BB86_12 Depth=1
	v_lshl_add_u64 v[10:11], v[2:3], 2, s[12:13]
	global_load_dword v10, v[10:11], off
	s_mov_b64 s[20:21], 0
	s_waitcnt vmcnt(0)
	v_mul_f32_e32 v23, v22, v10
	s_branch .LBB86_16
.LBB86_14:                              ;   in Loop: Header=BB86_16 Depth=2
	s_or_b64 exec, exec, s[24:25]
.LBB86_15:                              ;   in Loop: Header=BB86_16 Depth=2
	s_or_b64 exec, exec, s[22:23]
	s_waitcnt vmcnt(0)
	v_mul_f32_e32 v10, v23, v24
	v_lshl_add_u32 v11, v12, 2, 0
	ds_add_f32 v11, v10 offset:8192
	v_lshl_add_u64 v[8:9], v[8:9], 0, 32
	v_cmp_ge_i64_e32 vcc, v[8:9], v[6:7]
	s_or_b64 s[20:21], vcc, s[20:21]
	s_andn2_b64 exec, exec, s[20:21]
	s_cbranch_execz .LBB86_11
.LBB86_16:                              ;   Parent Loop BB86_12 Depth=1
                                        ; =>  This Loop Header: Depth=2
                                        ;       Child Loop BB86_19 Depth 3
	v_lshl_add_u64 v[10:11], v[8:9], 3, s[16:17]
	global_load_dwordx2 v[10:11], v[10:11], off
	v_lshl_add_u64 v[12:13], v[8:9], 2, s[18:19]
	global_load_dword v24, v[12:13], off
	s_waitcnt vmcnt(1)
	v_subrev_co_u32_e32 v10, vcc, s33, v10
	v_mul_lo_u32 v12, v10, s45
	v_and_b32_e32 v12, 0x3ff, v12
	v_lshl_add_u32 v25, v12, 3, 0
	ds_read_b64 v[16:17], v25
	v_subbrev_co_u32_e32 v11, vcc, 0, v11, vcc
	s_waitcnt lgkmcnt(0)
	v_cmp_ne_u64_e32 vcc, v[16:17], v[10:11]
	s_and_saveexec_b64 s[22:23], vcc
	s_cbranch_execz .LBB86_15
; %bb.17:                               ;   in Loop: Header=BB86_16 Depth=2
	s_mov_b64 s[24:25], 0
                                        ; implicit-def: $sgpr26_sgpr27
                                        ; implicit-def: $sgpr28_sgpr29
	s_branch .LBB86_19
.LBB86_18:                              ;   in Loop: Header=BB86_19 Depth=3
	s_or_b64 exec, exec, s[54:55]
	s_and_b64 s[30:31], exec, s[52:53]
	s_or_b64 s[24:25], s[30:31], s[24:25]
	s_andn2_b64 s[26:27], s[26:27], exec
	s_and_b64 s[30:31], s[28:29], exec
	s_or_b64 s[26:27], s[26:27], s[30:31]
	s_andn2_b64 exec, exec, s[24:25]
	s_cbranch_execz .LBB86_25
.LBB86_19:                              ;   Parent Loop BB86_12 Depth=1
                                        ;     Parent Loop BB86_16 Depth=2
                                        ; =>    This Inner Loop Header: Depth=3
	v_mov_b64_e32 v[14:15], v[12:13]
	v_cmp_ne_u64_e32 vcc, s[48:49], v[16:17]
	s_mov_b64 s[30:31], 0
                                        ; implicit-def: $vgpr12_vgpr13
	s_and_saveexec_b64 s[52:53], vcc
	s_xor_b64 s[52:53], exec, s[52:53]
; %bb.20:                               ;   in Loop: Header=BB86_19 Depth=3
	v_add_u32_e32 v12, 1, v14
	s_mov_b64 s[30:31], exec
	v_and_b32_e32 v12, 0x3ff, v12
                                        ; implicit-def: $vgpr25
; %bb.21:                               ;   in Loop: Header=BB86_19 Depth=3
	s_andn2_saveexec_b64 s[52:53], s[52:53]
	s_cbranch_execz .LBB86_23
; %bb.22:                               ;   in Loop: Header=BB86_19 Depth=3
	v_mov_b64_e32 v[12:13], s[48:49]
	ds_cmpst_rtn_b64 v[12:13], v25, v[12:13], v[10:11]
	s_andn2_b64 s[30:31], s[30:31], exec
	s_waitcnt lgkmcnt(0)
	v_cmp_ne_u64_e32 vcc, s[48:49], v[12:13]
	s_and_b64 s[54:55], vcc, exec
	s_or_b64 s[30:31], s[30:31], s[54:55]
	v_mov_b64_e32 v[12:13], v[14:15]
.LBB86_23:                              ;   in Loop: Header=BB86_19 Depth=3
	s_or_b64 exec, exec, s[52:53]
	s_mov_b64 s[52:53], -1
	s_or_b64 s[28:29], s[28:29], exec
                                        ; implicit-def: $vgpr25
                                        ; implicit-def: $vgpr16_vgpr17
	s_and_saveexec_b64 s[54:55], s[30:31]
	s_cbranch_execz .LBB86_18
; %bb.24:                               ;   in Loop: Header=BB86_19 Depth=3
	v_lshl_add_u32 v25, v12, 3, 0
	ds_read_b64 v[16:17], v25
	s_andn2_b64 s[28:29], s[28:29], exec
	s_waitcnt lgkmcnt(0)
	v_cmp_eq_u64_e32 vcc, v[16:17], v[10:11]
	s_orn2_b64 s[52:53], vcc, exec
	s_branch .LBB86_18
.LBB86_25:                              ;   in Loop: Header=BB86_16 Depth=2
	s_or_b64 exec, exec, s[24:25]
	s_and_saveexec_b64 s[24:25], s[26:27]
	s_xor_b64 s[24:25], exec, s[24:25]
	s_cbranch_execz .LBB86_14
; %bb.26:                               ;   in Loop: Header=BB86_16 Depth=2
	v_mov_b32_e32 v12, v14
	s_branch .LBB86_14
.LBB86_27:
	s_or_b64 exec, exec, s[2:3]
.LBB86_28:
	s_andn2_b64 vcc, exec, s[6:7]
	s_cbranch_vccnz .LBB86_45
; %bb.29:
	s_waitcnt lgkmcnt(0)
	s_lshl_b64 s[0:1], s[50:51], 3
	s_add_u32 s0, s36, s0
	s_addc_u32 s1, s37, s1
	s_load_dwordx4 s[4:7], s[0:1], 0x0
	v_subrev_co_u32_e32 v2, vcc, s47, v0
	s_waitcnt lgkmcnt(0)
	s_sub_u32 s0, s6, s47
	v_subb_co_u32_e64 v3, s[2:3], 0, 0, vcc
	s_subb_u32 s1, s7, 0
	v_lshl_add_u64 v[2:3], s[4:5], 0, v[2:3]
	v_cmp_gt_i64_e32 vcc, s[0:1], v[2:3]
	s_and_saveexec_b64 s[2:3], vcc
	s_cbranch_execz .LBB86_44
; %bb.30:
	s_mov_b32 s22, s47
	s_mov_b64 s[4:5], 0
	s_movk_i32 s23, 0x89
	s_mov_b64 s[6:7], 0x200
	s_branch .LBB86_33
.LBB86_31:                              ;   in Loop: Header=BB86_33 Depth=1
	s_or_b64 exec, exec, s[10:11]
.LBB86_32:                              ;   in Loop: Header=BB86_33 Depth=1
	s_or_b64 exec, exec, s[8:9]
	s_waitcnt vmcnt(0)
	v_mul_f32_e32 v4, v20, v12
	v_lshl_add_u32 v5, v6, 2, 0
	ds_add_f32 v5, v4 offset:8192
	v_lshl_add_u64 v[2:3], v[2:3], 0, s[6:7]
	v_cmp_le_i64_e32 vcc, s[0:1], v[2:3]
	s_or_b64 s[4:5], vcc, s[4:5]
	s_andn2_b64 exec, exec, s[4:5]
	s_cbranch_execz .LBB86_44
.LBB86_33:                              ; =>This Loop Header: Depth=1
                                        ;     Child Loop BB86_36 Depth 2
	v_lshl_add_u64 v[4:5], v[2:3], 3, s[38:39]
	global_load_dwordx2 v[4:5], v[4:5], off
	v_lshl_add_u64 v[6:7], v[2:3], 2, s[40:41]
	global_load_dword v12, v[6:7], off
	s_waitcnt vmcnt(1)
	v_subrev_co_u32_e32 v4, vcc, s22, v4
	v_mul_lo_u32 v6, v4, s23
	v_and_b32_e32 v6, 0x3ff, v6
	v_lshl_add_u32 v13, v6, 3, 0
	ds_read_b64 v[10:11], v13
	v_subbrev_co_u32_e32 v5, vcc, 0, v5, vcc
	s_waitcnt lgkmcnt(0)
	v_cmp_ne_u64_e32 vcc, v[10:11], v[4:5]
	s_and_saveexec_b64 s[8:9], vcc
	s_cbranch_execz .LBB86_32
; %bb.34:                               ;   in Loop: Header=BB86_33 Depth=1
	s_mov_b64 s[10:11], 0
                                        ; implicit-def: $sgpr12_sgpr13
                                        ; implicit-def: $sgpr14_sgpr15
	s_branch .LBB86_36
.LBB86_35:                              ;   in Loop: Header=BB86_36 Depth=2
	s_or_b64 exec, exec, s[20:21]
	s_and_b64 s[16:17], exec, s[18:19]
	s_or_b64 s[10:11], s[16:17], s[10:11]
	s_andn2_b64 s[12:13], s[12:13], exec
	s_and_b64 s[16:17], s[14:15], exec
	s_or_b64 s[12:13], s[12:13], s[16:17]
	s_andn2_b64 exec, exec, s[10:11]
	s_cbranch_execz .LBB86_42
.LBB86_36:                              ;   Parent Loop BB86_33 Depth=1
                                        ; =>  This Inner Loop Header: Depth=2
	v_mov_b64_e32 v[8:9], v[6:7]
	v_cmp_ne_u64_e32 vcc, s[48:49], v[10:11]
	s_mov_b64 s[16:17], 0
                                        ; implicit-def: $vgpr6_vgpr7
	s_and_saveexec_b64 s[18:19], vcc
	s_xor_b64 s[18:19], exec, s[18:19]
; %bb.37:                               ;   in Loop: Header=BB86_36 Depth=2
	v_add_u32_e32 v6, 1, v8
	s_mov_b64 s[16:17], exec
	v_and_b32_e32 v6, 0x3ff, v6
                                        ; implicit-def: $vgpr13
; %bb.38:                               ;   in Loop: Header=BB86_36 Depth=2
	s_andn2_saveexec_b64 s[18:19], s[18:19]
	s_cbranch_execz .LBB86_40
; %bb.39:                               ;   in Loop: Header=BB86_36 Depth=2
	v_mov_b64_e32 v[6:7], s[48:49]
	ds_cmpst_rtn_b64 v[6:7], v13, v[6:7], v[4:5]
	s_andn2_b64 s[16:17], s[16:17], exec
	s_waitcnt lgkmcnt(0)
	v_cmp_ne_u64_e32 vcc, s[48:49], v[6:7]
	s_and_b64 s[20:21], vcc, exec
	s_or_b64 s[16:17], s[16:17], s[20:21]
	v_mov_b64_e32 v[6:7], v[8:9]
.LBB86_40:                              ;   in Loop: Header=BB86_36 Depth=2
	s_or_b64 exec, exec, s[18:19]
	s_mov_b64 s[18:19], -1
	s_or_b64 s[14:15], s[14:15], exec
                                        ; implicit-def: $vgpr13
                                        ; implicit-def: $vgpr10_vgpr11
	s_and_saveexec_b64 s[20:21], s[16:17]
	s_cbranch_execz .LBB86_35
; %bb.41:                               ;   in Loop: Header=BB86_36 Depth=2
	v_lshl_add_u32 v13, v6, 3, 0
	ds_read_b64 v[10:11], v13
	s_andn2_b64 s[14:15], s[14:15], exec
	s_waitcnt lgkmcnt(0)
	v_cmp_eq_u64_e32 vcc, v[10:11], v[4:5]
	s_orn2_b64 s[18:19], vcc, exec
	s_branch .LBB86_35
.LBB86_42:                              ;   in Loop: Header=BB86_33 Depth=1
	s_or_b64 exec, exec, s[10:11]
	s_and_saveexec_b64 s[10:11], s[12:13]
	s_xor_b64 s[10:11], exec, s[10:11]
	s_cbranch_execz .LBB86_31
; %bb.43:                               ;   in Loop: Header=BB86_33 Depth=1
	v_mov_b32_e32 v6, v8
	s_branch .LBB86_31
.LBB86_44:
	s_or_b64 exec, exec, s[2:3]
.LBB86_45:
	v_mbcnt_lo_u32_b32 v2, -1, 0
	v_mbcnt_hi_u32_b32 v2, -1, v2
	v_sub_u32_e32 v2, 63, v2
	s_movk_i32 s0, 0x1ff
	s_movk_i32 s6, 0x5f
	;; [unrolled: 1-line block ×14, first 2 shown]
	v_mov_b32_e32 v3, 0
	v_lshrrev_b64 v[4:5], v2, -1
	v_lshl_add_u32 v12, v21, 3, 0
	v_cmp_eq_u32_e64 s[0:1], s0, v0
	v_cmp_lt_u32_e64 s[2:3], 31, v0
	v_cmp_lt_u32_e64 s[4:5], 63, v0
	;; [unrolled: 1-line block ×15, first 2 shown]
	s_mov_b64 s[36:37], 0
	v_mov_b64_e32 v[6:7], 0
	s_waitcnt lgkmcnt(0)
	s_barrier
	s_branch .LBB86_47
.LBB86_46:                              ;   in Loop: Header=BB86_47 Depth=1
	s_or_b64 exec, exec, s[38:39]
	s_waitcnt lgkmcnt(0)
	s_barrier
	ds_read_b64 v[8:9], v3 offset:12408
	v_add_co_u32_e32 v18, vcc, 0x200, v18
	s_xor_b64 s[38:39], vcc, -1
	s_and_b64 s[38:39], exec, s[38:39]
	v_add_u32_e32 v1, 0x800, v1
	s_waitcnt lgkmcnt(0)
	v_lshl_add_u64 v[6:7], v[8:9], 0, v[6:7]
	s_or_b64 s[36:37], s[38:39], s[36:37]
	v_add_u32_e32 v19, 0x1000, v19
	s_andn2_b64 exec, exec, s[36:37]
	s_cbranch_execz .LBB86_81
.LBB86_47:                              ; =>This Inner Loop Header: Depth=1
	ds_read_b64 v[8:9], v19
	ds_read_b32 v13, v1
	s_waitcnt lgkmcnt(0)
	s_barrier
	v_cmp_gt_i64_e32 vcc, s[48:49], v[8:9]
	s_bcnt1_i32_b64 s33, vcc
	v_mov_b32_e32 v2, s33
	v_and_b32_e32 v11, vcc_lo, v4
	v_and_b32_e32 v10, vcc_hi, v5
	v_bcnt_u32_b32 v11, v11, 0
	v_bcnt_u32_b32 v10, v10, v11
	ds_write_b64 v12, v[2:3] offset:12288
	s_waitcnt lgkmcnt(0)
	s_barrier
	s_and_saveexec_b64 s[38:39], s[2:3]
	s_cbranch_execnz .LBB86_64
; %bb.48:                               ;   in Loop: Header=BB86_47 Depth=1
	s_or_b64 exec, exec, s[38:39]
	s_and_saveexec_b64 s[38:39], s[4:5]
	s_cbranch_execnz .LBB86_65
.LBB86_49:                              ;   in Loop: Header=BB86_47 Depth=1
	s_or_b64 exec, exec, s[38:39]
	s_and_saveexec_b64 s[38:39], s[6:7]
	s_cbranch_execnz .LBB86_66
.LBB86_50:                              ;   in Loop: Header=BB86_47 Depth=1
	s_or_b64 exec, exec, s[38:39]
	s_and_saveexec_b64 s[38:39], s[8:9]
	s_cbranch_execnz .LBB86_67
.LBB86_51:                              ;   in Loop: Header=BB86_47 Depth=1
	s_or_b64 exec, exec, s[38:39]
	s_and_saveexec_b64 s[38:39], s[10:11]
	s_cbranch_execnz .LBB86_68
.LBB86_52:                              ;   in Loop: Header=BB86_47 Depth=1
	s_or_b64 exec, exec, s[38:39]
	s_and_saveexec_b64 s[38:39], s[12:13]
	s_cbranch_execnz .LBB86_69
.LBB86_53:                              ;   in Loop: Header=BB86_47 Depth=1
	s_or_b64 exec, exec, s[38:39]
	s_and_saveexec_b64 s[38:39], s[14:15]
	s_cbranch_execnz .LBB86_70
.LBB86_54:                              ;   in Loop: Header=BB86_47 Depth=1
	s_or_b64 exec, exec, s[38:39]
	s_and_saveexec_b64 s[38:39], s[16:17]
	s_cbranch_execnz .LBB86_71
.LBB86_55:                              ;   in Loop: Header=BB86_47 Depth=1
	s_or_b64 exec, exec, s[38:39]
	s_and_saveexec_b64 s[38:39], s[18:19]
	s_cbranch_execnz .LBB86_72
.LBB86_56:                              ;   in Loop: Header=BB86_47 Depth=1
	s_or_b64 exec, exec, s[38:39]
	s_and_saveexec_b64 s[38:39], s[20:21]
	s_cbranch_execnz .LBB86_73
.LBB86_57:                              ;   in Loop: Header=BB86_47 Depth=1
	s_or_b64 exec, exec, s[38:39]
	s_and_saveexec_b64 s[38:39], s[22:23]
	s_cbranch_execnz .LBB86_74
.LBB86_58:                              ;   in Loop: Header=BB86_47 Depth=1
	s_or_b64 exec, exec, s[38:39]
	s_and_saveexec_b64 s[38:39], s[24:25]
	s_cbranch_execnz .LBB86_75
.LBB86_59:                              ;   in Loop: Header=BB86_47 Depth=1
	s_or_b64 exec, exec, s[38:39]
	s_and_saveexec_b64 s[38:39], s[26:27]
	s_cbranch_execnz .LBB86_76
.LBB86_60:                              ;   in Loop: Header=BB86_47 Depth=1
	s_or_b64 exec, exec, s[38:39]
	s_and_saveexec_b64 s[38:39], s[28:29]
	s_cbranch_execnz .LBB86_77
.LBB86_61:                              ;   in Loop: Header=BB86_47 Depth=1
	s_or_b64 exec, exec, s[38:39]
	s_and_saveexec_b64 s[38:39], s[30:31]
	s_cbranch_execnz .LBB86_78
.LBB86_62:                              ;   in Loop: Header=BB86_47 Depth=1
	s_or_b64 exec, exec, s[38:39]
	v_ashrrev_i32_e32 v11, 31, v10
	s_and_saveexec_b64 s[38:39], vcc
	s_cbranch_execnz .LBB86_79
.LBB86_63:                              ;   in Loop: Header=BB86_47 Depth=1
	s_or_b64 exec, exec, s[38:39]
	s_and_saveexec_b64 s[38:39], s[0:1]
	s_cbranch_execz .LBB86_46
	s_branch .LBB86_80
.LBB86_64:                              ;   in Loop: Header=BB86_47 Depth=1
	ds_read_b32 v2, v3 offset:12288
	s_waitcnt lgkmcnt(0)
	v_add_u32_e32 v10, v2, v10
	s_or_b64 exec, exec, s[38:39]
	s_and_saveexec_b64 s[38:39], s[4:5]
	s_cbranch_execz .LBB86_49
.LBB86_65:                              ;   in Loop: Header=BB86_47 Depth=1
	ds_read_b32 v2, v3 offset:12296
	s_waitcnt lgkmcnt(0)
	v_add_u32_e32 v10, v10, v2
	s_or_b64 exec, exec, s[38:39]
	s_and_saveexec_b64 s[38:39], s[6:7]
	s_cbranch_execz .LBB86_50
.LBB86_66:                              ;   in Loop: Header=BB86_47 Depth=1
	ds_read_b32 v2, v3 offset:12304
	s_waitcnt lgkmcnt(0)
	v_add_u32_e32 v10, v10, v2
	s_or_b64 exec, exec, s[38:39]
	s_and_saveexec_b64 s[38:39], s[8:9]
	s_cbranch_execz .LBB86_51
.LBB86_67:                              ;   in Loop: Header=BB86_47 Depth=1
	ds_read_b32 v2, v3 offset:12312
	s_waitcnt lgkmcnt(0)
	v_add_u32_e32 v10, v10, v2
	s_or_b64 exec, exec, s[38:39]
	s_and_saveexec_b64 s[38:39], s[10:11]
	s_cbranch_execz .LBB86_52
.LBB86_68:                              ;   in Loop: Header=BB86_47 Depth=1
	ds_read_b32 v2, v3 offset:12320
	s_waitcnt lgkmcnt(0)
	v_add_u32_e32 v10, v10, v2
	s_or_b64 exec, exec, s[38:39]
	s_and_saveexec_b64 s[38:39], s[12:13]
	s_cbranch_execz .LBB86_53
.LBB86_69:                              ;   in Loop: Header=BB86_47 Depth=1
	ds_read_b32 v2, v3 offset:12328
	s_waitcnt lgkmcnt(0)
	v_add_u32_e32 v10, v10, v2
	s_or_b64 exec, exec, s[38:39]
	s_and_saveexec_b64 s[38:39], s[14:15]
	s_cbranch_execz .LBB86_54
.LBB86_70:                              ;   in Loop: Header=BB86_47 Depth=1
	ds_read_b32 v2, v3 offset:12336
	s_waitcnt lgkmcnt(0)
	v_add_u32_e32 v10, v10, v2
	s_or_b64 exec, exec, s[38:39]
	s_and_saveexec_b64 s[38:39], s[16:17]
	s_cbranch_execz .LBB86_55
.LBB86_71:                              ;   in Loop: Header=BB86_47 Depth=1
	ds_read_b32 v2, v3 offset:12344
	s_waitcnt lgkmcnt(0)
	v_add_u32_e32 v10, v10, v2
	s_or_b64 exec, exec, s[38:39]
	s_and_saveexec_b64 s[38:39], s[18:19]
	s_cbranch_execz .LBB86_56
.LBB86_72:                              ;   in Loop: Header=BB86_47 Depth=1
	ds_read_b32 v2, v3 offset:12352
	s_waitcnt lgkmcnt(0)
	v_add_u32_e32 v10, v10, v2
	s_or_b64 exec, exec, s[38:39]
	s_and_saveexec_b64 s[38:39], s[20:21]
	s_cbranch_execz .LBB86_57
.LBB86_73:                              ;   in Loop: Header=BB86_47 Depth=1
	ds_read_b32 v2, v3 offset:12360
	s_waitcnt lgkmcnt(0)
	v_add_u32_e32 v10, v10, v2
	s_or_b64 exec, exec, s[38:39]
	s_and_saveexec_b64 s[38:39], s[22:23]
	s_cbranch_execz .LBB86_58
.LBB86_74:                              ;   in Loop: Header=BB86_47 Depth=1
	ds_read_b32 v2, v3 offset:12368
	s_waitcnt lgkmcnt(0)
	v_add_u32_e32 v10, v10, v2
	s_or_b64 exec, exec, s[38:39]
	s_and_saveexec_b64 s[38:39], s[24:25]
	s_cbranch_execz .LBB86_59
.LBB86_75:                              ;   in Loop: Header=BB86_47 Depth=1
	ds_read_b32 v2, v3 offset:12376
	s_waitcnt lgkmcnt(0)
	v_add_u32_e32 v10, v10, v2
	s_or_b64 exec, exec, s[38:39]
	s_and_saveexec_b64 s[38:39], s[26:27]
	s_cbranch_execz .LBB86_60
.LBB86_76:                              ;   in Loop: Header=BB86_47 Depth=1
	ds_read_b32 v2, v3 offset:12384
	s_waitcnt lgkmcnt(0)
	v_add_u32_e32 v10, v10, v2
	s_or_b64 exec, exec, s[38:39]
	s_and_saveexec_b64 s[38:39], s[28:29]
	s_cbranch_execz .LBB86_61
.LBB86_77:                              ;   in Loop: Header=BB86_47 Depth=1
	ds_read_b32 v2, v3 offset:12392
	s_waitcnt lgkmcnt(0)
	v_add_u32_e32 v10, v10, v2
	s_or_b64 exec, exec, s[38:39]
	s_and_saveexec_b64 s[38:39], s[30:31]
	s_cbranch_execz .LBB86_62
.LBB86_78:                              ;   in Loop: Header=BB86_47 Depth=1
	ds_read_b32 v2, v3 offset:12400
	s_waitcnt lgkmcnt(0)
	v_add_u32_e32 v10, v10, v2
	s_or_b64 exec, exec, s[38:39]
	v_ashrrev_i32_e32 v11, 31, v10
	s_and_saveexec_b64 s[38:39], vcc
	s_cbranch_execz .LBB86_63
.LBB86_79:                              ;   in Loop: Header=BB86_47 Depth=1
	v_add3_u32 v2, v6, -1, v10
	v_lshl_add_u32 v2, v2, 3, 0
	v_add_u32_e32 v14, v6, v10
	v_lshl_add_u32 v14, v14, 2, 0
	ds_write_b64 v2, v[8:9]
	ds_write_b32 v14, v13 offset:8188
	s_or_b64 exec, exec, s[38:39]
	s_and_saveexec_b64 s[38:39], s[0:1]
	s_cbranch_execz .LBB86_46
.LBB86_80:                              ;   in Loop: Header=BB86_47 Depth=1
	ds_write_b64 v3, v[10:11] offset:12408
	s_branch .LBB86_46
.LBB86_81:
	s_or_b64 exec, exec, s[36:37]
	s_lshl_b64 s[0:1], s[50:51], 3
	s_add_u32 s4, s42, s0
	s_addc_u32 s5, s43, s1
	s_load_dwordx4 s[0:3], s[4:5], 0x0
	v_mov_b32_e32 v1, 0
	s_waitcnt lgkmcnt(0)
	s_sub_u32 s4, s2, s0
	s_subb_u32 s5, s3, s1
	v_cmp_gt_i64_e32 vcc, s[4:5], v[0:1]
	s_and_saveexec_b64 s[6:7], vcc
	s_cbranch_execz .LBB86_91
; %bb.82:
	s_sub_u32 s8, s0, s46
	s_subb_u32 s9, s1, 0
	s_and_b32 s6, s4, 7
	s_sub_u32 s0, s0, s2
	s_mov_b32 s7, 0
	s_subb_u32 s1, s1, s3
	s_and_b32 s10, s4, -8
	s_cmp_lg_u64 s[6:7], 0
	v_cmp_lt_u64_e64 s[0:1], s[0:1], -7
	s_cselect_b64 s[2:3], -1, 0
	s_mov_b32 s11, s5
	v_cndmask_b32_e64 v2, 0, 1, s[0:1]
	v_cmp_ne_u32_e64 s[0:1], 1, v2
	v_cndmask_b32_e64 v2, 0, 1, s[2:3]
	s_mov_b64 s[12:13], 0
	v_cmp_ne_u32_e64 s[2:3], 1, v2
	s_mov_b64 s[14:15], 0x200
	s_branch .LBB86_84
.LBB86_83:                              ;   in Loop: Header=BB86_84 Depth=1
	v_lshl_add_u64 v[0:1], v[0:1], 0, s[14:15]
	v_cmp_le_i64_e32 vcc, s[4:5], v[0:1]
	s_waitcnt lgkmcnt(1)
	v_lshl_add_u64 v[2:3], v[4:5], 2, s[34:35]
	s_or_b64 s[12:13], vcc, s[12:13]
	s_waitcnt lgkmcnt(0)
	global_store_dword v[2:3], v6, off
	s_andn2_b64 exec, exec, s[12:13]
	s_cbranch_execz .LBB86_91
.LBB86_84:                              ; =>This Loop Header: Depth=1
                                        ;     Child Loop BB86_86 Depth 2
                                        ;     Child Loop BB86_90 Depth 2
	v_lshl_add_u32 v2, v0, 3, 0
	v_lshlrev_b32_e32 v3, 2, v0
	v_sub_u32_e32 v4, v2, v3
	ds_read_b64 v[2:3], v2
	ds_read_b32 v6, v4 offset:8192
	s_and_b64 vcc, exec, s[0:1]
	v_mov_b64_e32 v[4:5], s[8:9]
	s_mov_b64 s[16:17], 0
	s_cbranch_vccnz .LBB86_88
; %bb.85:                               ;   in Loop: Header=BB86_84 Depth=1
	s_mov_b32 s18, 0
	v_mov_b64_e32 v[4:5], s[8:9]
.LBB86_86:                              ;   Parent Loop BB86_84 Depth=1
                                        ; =>  This Inner Loop Header: Depth=2
	v_mov_b32_e32 v7, s18
	ds_read2_b64 v[8:11], v7 offset1:1
	ds_read2_b64 v[12:15], v7 offset0:2 offset1:3
	ds_read2_b64 v[16:19], v7 offset0:4 offset1:5
	;; [unrolled: 1-line block ×3, first 2 shown]
	v_mov_b32_e32 v25, s7
	s_waitcnt lgkmcnt(3)
	v_cmp_gt_i64_e32 vcc, v[2:3], v[8:9]
	v_mov_b32_e32 v27, s7
	v_mov_b32_e32 v29, s7
	v_cndmask_b32_e64 v24, 0, 1, vcc
	v_cmp_gt_i64_e32 vcc, v[2:3], v[10:11]
	v_lshl_add_u64 v[4:5], v[4:5], 0, v[24:25]
	v_mov_b32_e32 v31, s7
	v_cndmask_b32_e64 v26, 0, 1, vcc
	s_waitcnt lgkmcnt(2)
	v_cmp_gt_i64_e32 vcc, v[2:3], v[12:13]
	v_lshl_add_u64 v[4:5], v[4:5], 0, v[26:27]
	v_mov_b32_e32 v33, s7
	v_cndmask_b32_e64 v28, 0, 1, vcc
	v_cmp_gt_i64_e32 vcc, v[2:3], v[14:15]
	v_lshl_add_u64 v[4:5], v[4:5], 0, v[28:29]
	v_mov_b32_e32 v35, s7
	v_cndmask_b32_e64 v30, 0, 1, vcc
	s_waitcnt lgkmcnt(1)
	v_cmp_gt_i64_e32 vcc, v[2:3], v[16:17]
	v_lshl_add_u64 v[4:5], v[4:5], 0, v[30:31]
	v_mov_b32_e32 v37, s7
	v_cndmask_b32_e64 v32, 0, 1, vcc
	v_cmp_gt_i64_e32 vcc, v[2:3], v[18:19]
	v_lshl_add_u64 v[4:5], v[4:5], 0, v[32:33]
	s_add_u32 s16, s16, 8
	v_cndmask_b32_e64 v34, 0, 1, vcc
	s_waitcnt lgkmcnt(0)
	v_cmp_gt_i64_e32 vcc, v[2:3], v[20:21]
	v_lshl_add_u64 v[4:5], v[4:5], 0, v[34:35]
	v_mov_b32_e32 v39, s7
	v_cndmask_b32_e64 v36, 0, 1, vcc
	v_cmp_gt_i64_e32 vcc, v[2:3], v[22:23]
	s_addc_u32 s17, s17, 0
	s_add_i32 s18, s18, 64
	v_cndmask_b32_e64 v38, 0, 1, vcc
	v_lshl_add_u64 v[4:5], v[4:5], 0, v[36:37]
	s_cmp_eq_u64 s[10:11], s[16:17]
	v_lshl_add_u64 v[4:5], v[4:5], 0, v[38:39]
	s_cbranch_scc0 .LBB86_86
; %bb.87:                               ;   in Loop: Header=BB86_84 Depth=1
	s_mov_b64 s[16:17], s[10:11]
.LBB86_88:                              ;   in Loop: Header=BB86_84 Depth=1
	s_and_b64 vcc, exec, s[2:3]
	s_cbranch_vccnz .LBB86_83
; %bb.89:                               ;   in Loop: Header=BB86_84 Depth=1
	s_lshl_b32 s16, s16, 3
	s_add_i32 s18, s16, 0
	s_mov_b64 s[16:17], s[6:7]
.LBB86_90:                              ;   Parent Loop BB86_84 Depth=1
                                        ; =>  This Inner Loop Header: Depth=2
	v_mov_b32_e32 v7, s18
	ds_read_b64 v[10:11], v7
	s_add_i32 s18, s18, 8
	s_add_u32 s16, s16, -1
	v_mov_b32_e32 v9, s7
	s_addc_u32 s17, s17, -1
	s_waitcnt lgkmcnt(0)
	v_cmp_gt_i64_e32 vcc, v[2:3], v[10:11]
	s_cmp_lg_u64 s[16:17], 0
	s_nop 0
	v_cndmask_b32_e64 v8, 0, 1, vcc
	v_lshl_add_u64 v[4:5], v[4:5], 0, v[8:9]
	s_cbranch_scc1 .LBB86_90
	s_branch .LBB86_83
.LBB86_91:
	s_endpgm
	.section	.rodata,"a",@progbits
	.p2align	6, 0x0
	.amdhsa_kernel _ZN9rocsparseL41csrgemm_numeric_fill_block_per_row_kernelILj512ELj32ELj1024ELj137ELj32EllfEEvT5_PKS1_S3_NS_24const_host_device_scalarIT6_EEPKT4_S3_PKS5_S9_S3_SB_S6_S9_S3_SB_S9_S3_PS5_21rocsparse_index_base_SD_SD_SD_bbb
		.amdhsa_group_segment_fixed_size 0
		.amdhsa_private_segment_fixed_size 0
		.amdhsa_kernarg_size 156
		.amdhsa_user_sgpr_count 2
		.amdhsa_user_sgpr_dispatch_ptr 0
		.amdhsa_user_sgpr_queue_ptr 0
		.amdhsa_user_sgpr_kernarg_segment_ptr 1
		.amdhsa_user_sgpr_dispatch_id 0
		.amdhsa_user_sgpr_kernarg_preload_length 0
		.amdhsa_user_sgpr_kernarg_preload_offset 0
		.amdhsa_user_sgpr_private_segment_size 0
		.amdhsa_uses_dynamic_stack 0
		.amdhsa_enable_private_segment 0
		.amdhsa_system_sgpr_workgroup_id_x 1
		.amdhsa_system_sgpr_workgroup_id_y 0
		.amdhsa_system_sgpr_workgroup_id_z 0
		.amdhsa_system_sgpr_workgroup_info 0
		.amdhsa_system_vgpr_workitem_id 0
		.amdhsa_next_free_vgpr 40
		.amdhsa_next_free_sgpr 56
		.amdhsa_accum_offset 40
		.amdhsa_reserve_vcc 1
		.amdhsa_float_round_mode_32 0
		.amdhsa_float_round_mode_16_64 0
		.amdhsa_float_denorm_mode_32 3
		.amdhsa_float_denorm_mode_16_64 3
		.amdhsa_dx10_clamp 1
		.amdhsa_ieee_mode 1
		.amdhsa_fp16_overflow 0
		.amdhsa_tg_split 0
		.amdhsa_exception_fp_ieee_invalid_op 0
		.amdhsa_exception_fp_denorm_src 0
		.amdhsa_exception_fp_ieee_div_zero 0
		.amdhsa_exception_fp_ieee_overflow 0
		.amdhsa_exception_fp_ieee_underflow 0
		.amdhsa_exception_fp_ieee_inexact 0
		.amdhsa_exception_int_div_zero 0
	.end_amdhsa_kernel
	.section	.text._ZN9rocsparseL41csrgemm_numeric_fill_block_per_row_kernelILj512ELj32ELj1024ELj137ELj32EllfEEvT5_PKS1_S3_NS_24const_host_device_scalarIT6_EEPKT4_S3_PKS5_S9_S3_SB_S6_S9_S3_SB_S9_S3_PS5_21rocsparse_index_base_SD_SD_SD_bbb,"axG",@progbits,_ZN9rocsparseL41csrgemm_numeric_fill_block_per_row_kernelILj512ELj32ELj1024ELj137ELj32EllfEEvT5_PKS1_S3_NS_24const_host_device_scalarIT6_EEPKT4_S3_PKS5_S9_S3_SB_S6_S9_S3_SB_S9_S3_PS5_21rocsparse_index_base_SD_SD_SD_bbb,comdat
.Lfunc_end86:
	.size	_ZN9rocsparseL41csrgemm_numeric_fill_block_per_row_kernelILj512ELj32ELj1024ELj137ELj32EllfEEvT5_PKS1_S3_NS_24const_host_device_scalarIT6_EEPKT4_S3_PKS5_S9_S3_SB_S6_S9_S3_SB_S9_S3_PS5_21rocsparse_index_base_SD_SD_SD_bbb, .Lfunc_end86-_ZN9rocsparseL41csrgemm_numeric_fill_block_per_row_kernelILj512ELj32ELj1024ELj137ELj32EllfEEvT5_PKS1_S3_NS_24const_host_device_scalarIT6_EEPKT4_S3_PKS5_S9_S3_SB_S6_S9_S3_SB_S9_S3_PS5_21rocsparse_index_base_SD_SD_SD_bbb
                                        ; -- End function
	.set _ZN9rocsparseL41csrgemm_numeric_fill_block_per_row_kernelILj512ELj32ELj1024ELj137ELj32EllfEEvT5_PKS1_S3_NS_24const_host_device_scalarIT6_EEPKT4_S3_PKS5_S9_S3_SB_S6_S9_S3_SB_S9_S3_PS5_21rocsparse_index_base_SD_SD_SD_bbb.num_vgpr, 40
	.set _ZN9rocsparseL41csrgemm_numeric_fill_block_per_row_kernelILj512ELj32ELj1024ELj137ELj32EllfEEvT5_PKS1_S3_NS_24const_host_device_scalarIT6_EEPKT4_S3_PKS5_S9_S3_SB_S6_S9_S3_SB_S9_S3_PS5_21rocsparse_index_base_SD_SD_SD_bbb.num_agpr, 0
	.set _ZN9rocsparseL41csrgemm_numeric_fill_block_per_row_kernelILj512ELj32ELj1024ELj137ELj32EllfEEvT5_PKS1_S3_NS_24const_host_device_scalarIT6_EEPKT4_S3_PKS5_S9_S3_SB_S6_S9_S3_SB_S9_S3_PS5_21rocsparse_index_base_SD_SD_SD_bbb.numbered_sgpr, 56
	.set _ZN9rocsparseL41csrgemm_numeric_fill_block_per_row_kernelILj512ELj32ELj1024ELj137ELj32EllfEEvT5_PKS1_S3_NS_24const_host_device_scalarIT6_EEPKT4_S3_PKS5_S9_S3_SB_S6_S9_S3_SB_S9_S3_PS5_21rocsparse_index_base_SD_SD_SD_bbb.num_named_barrier, 0
	.set _ZN9rocsparseL41csrgemm_numeric_fill_block_per_row_kernelILj512ELj32ELj1024ELj137ELj32EllfEEvT5_PKS1_S3_NS_24const_host_device_scalarIT6_EEPKT4_S3_PKS5_S9_S3_SB_S6_S9_S3_SB_S9_S3_PS5_21rocsparse_index_base_SD_SD_SD_bbb.private_seg_size, 0
	.set _ZN9rocsparseL41csrgemm_numeric_fill_block_per_row_kernelILj512ELj32ELj1024ELj137ELj32EllfEEvT5_PKS1_S3_NS_24const_host_device_scalarIT6_EEPKT4_S3_PKS5_S9_S3_SB_S6_S9_S3_SB_S9_S3_PS5_21rocsparse_index_base_SD_SD_SD_bbb.uses_vcc, 1
	.set _ZN9rocsparseL41csrgemm_numeric_fill_block_per_row_kernelILj512ELj32ELj1024ELj137ELj32EllfEEvT5_PKS1_S3_NS_24const_host_device_scalarIT6_EEPKT4_S3_PKS5_S9_S3_SB_S6_S9_S3_SB_S9_S3_PS5_21rocsparse_index_base_SD_SD_SD_bbb.uses_flat_scratch, 0
	.set _ZN9rocsparseL41csrgemm_numeric_fill_block_per_row_kernelILj512ELj32ELj1024ELj137ELj32EllfEEvT5_PKS1_S3_NS_24const_host_device_scalarIT6_EEPKT4_S3_PKS5_S9_S3_SB_S6_S9_S3_SB_S9_S3_PS5_21rocsparse_index_base_SD_SD_SD_bbb.has_dyn_sized_stack, 0
	.set _ZN9rocsparseL41csrgemm_numeric_fill_block_per_row_kernelILj512ELj32ELj1024ELj137ELj32EllfEEvT5_PKS1_S3_NS_24const_host_device_scalarIT6_EEPKT4_S3_PKS5_S9_S3_SB_S6_S9_S3_SB_S9_S3_PS5_21rocsparse_index_base_SD_SD_SD_bbb.has_recursion, 0
	.set _ZN9rocsparseL41csrgemm_numeric_fill_block_per_row_kernelILj512ELj32ELj1024ELj137ELj32EllfEEvT5_PKS1_S3_NS_24const_host_device_scalarIT6_EEPKT4_S3_PKS5_S9_S3_SB_S6_S9_S3_SB_S9_S3_PS5_21rocsparse_index_base_SD_SD_SD_bbb.has_indirect_call, 0
	.section	.AMDGPU.csdata,"",@progbits
; Kernel info:
; codeLenInByte = 3160
; TotalNumSgprs: 62
; NumVgprs: 40
; NumAgprs: 0
; TotalNumVgprs: 40
; ScratchSize: 0
; MemoryBound: 0
; FloatMode: 240
; IeeeMode: 1
; LDSByteSize: 0 bytes/workgroup (compile time only)
; SGPRBlocks: 7
; VGPRBlocks: 4
; NumSGPRsForWavesPerEU: 62
; NumVGPRsForWavesPerEU: 40
; AccumOffset: 40
; Occupancy: 8
; WaveLimiterHint : 1
; COMPUTE_PGM_RSRC2:SCRATCH_EN: 0
; COMPUTE_PGM_RSRC2:USER_SGPR: 2
; COMPUTE_PGM_RSRC2:TRAP_HANDLER: 0
; COMPUTE_PGM_RSRC2:TGID_X_EN: 1
; COMPUTE_PGM_RSRC2:TGID_Y_EN: 0
; COMPUTE_PGM_RSRC2:TGID_Z_EN: 0
; COMPUTE_PGM_RSRC2:TIDIG_COMP_CNT: 0
; COMPUTE_PGM_RSRC3_GFX90A:ACCUM_OFFSET: 9
; COMPUTE_PGM_RSRC3_GFX90A:TG_SPLIT: 0
	.section	.text._ZN9rocsparseL41csrgemm_numeric_fill_block_per_row_kernelILj512ELj32ELj1024ELj137ELj64EllfEEvT5_PKS1_S3_NS_24const_host_device_scalarIT6_EEPKT4_S3_PKS5_S9_S3_SB_S6_S9_S3_SB_S9_S3_PS5_21rocsparse_index_base_SD_SD_SD_bbb,"axG",@progbits,_ZN9rocsparseL41csrgemm_numeric_fill_block_per_row_kernelILj512ELj32ELj1024ELj137ELj64EllfEEvT5_PKS1_S3_NS_24const_host_device_scalarIT6_EEPKT4_S3_PKS5_S9_S3_SB_S6_S9_S3_SB_S9_S3_PS5_21rocsparse_index_base_SD_SD_SD_bbb,comdat
	.globl	_ZN9rocsparseL41csrgemm_numeric_fill_block_per_row_kernelILj512ELj32ELj1024ELj137ELj64EllfEEvT5_PKS1_S3_NS_24const_host_device_scalarIT6_EEPKT4_S3_PKS5_S9_S3_SB_S6_S9_S3_SB_S9_S3_PS5_21rocsparse_index_base_SD_SD_SD_bbb ; -- Begin function _ZN9rocsparseL41csrgemm_numeric_fill_block_per_row_kernelILj512ELj32ELj1024ELj137ELj64EllfEEvT5_PKS1_S3_NS_24const_host_device_scalarIT6_EEPKT4_S3_PKS5_S9_S3_SB_S6_S9_S3_SB_S9_S3_PS5_21rocsparse_index_base_SD_SD_SD_bbb
	.p2align	8
	.type	_ZN9rocsparseL41csrgemm_numeric_fill_block_per_row_kernelILj512ELj32ELj1024ELj137ELj64EllfEEvT5_PKS1_S3_NS_24const_host_device_scalarIT6_EEPKT4_S3_PKS5_S9_S3_SB_S6_S9_S3_SB_S9_S3_PS5_21rocsparse_index_base_SD_SD_SD_bbb,@function
_ZN9rocsparseL41csrgemm_numeric_fill_block_per_row_kernelILj512ELj32ELj1024ELj137ELj64EllfEEvT5_PKS1_S3_NS_24const_host_device_scalarIT6_EEPKT4_S3_PKS5_S9_S3_SB_S6_S9_S3_SB_S9_S3_PS5_21rocsparse_index_base_SD_SD_SD_bbb: ; @_ZN9rocsparseL41csrgemm_numeric_fill_block_per_row_kernelILj512ELj32ELj1024ELj137ELj64EllfEEvT5_PKS1_S3_NS_24const_host_device_scalarIT6_EEPKT4_S3_PKS5_S9_S3_SB_S6_S9_S3_SB_S9_S3_PS5_21rocsparse_index_base_SD_SD_SD_bbb
; %bb.0:
	s_load_dword s3, s[0:1], 0x98
	s_load_dwordx4 s[28:31], s[0:1], 0x88
	s_load_dwordx2 s[6:7], s[0:1], 0x18
	s_load_dwordx2 s[40:41], s[0:1], 0x50
	s_waitcnt lgkmcnt(0)
	s_bitcmp1_b32 s3, 0
	s_cselect_b64 s[4:5], -1, 0
	s_bitcmp1_b32 s3, 16
	s_cselect_b64 s[42:43], -1, 0
	s_xor_b64 s[8:9], s[4:5], -1
	s_or_b64 s[8:9], s[42:43], s[8:9]
	s_and_b64 vcc, exec, s[8:9]
	s_cbranch_vccnz .LBB87_2
; %bb.1:
	s_load_dword s6, s[6:7], 0x0
	s_waitcnt lgkmcnt(0)
	v_mov_b32_e32 v21, s6
	s_branch .LBB87_3
.LBB87_2:
	v_mov_b32_e32 v1, s6
	v_cndmask_b32_e64 v21, 0, v1, s[4:5]
.LBB87_3:
	s_load_dwordx2 s[34:35], s[0:1], 0x80
	s_load_dwordx8 s[12:19], s[0:1], 0x58
	s_load_dwordx4 s[8:11], s[0:1], 0x40
	s_load_dwordx4 s[36:39], s[0:1], 0x8
	s_load_dwordx8 s[20:27], s[0:1], 0x20
	s_bitcmp1_b32 s3, 8
	s_cselect_b64 s[6:7], -1, 0
	s_xor_b64 s[44:45], s[6:7], -1
	s_or_b64 s[42:43], s[42:43], s[44:45]
	s_and_b64 vcc, exec, s[42:43]
	s_cbranch_vccnz .LBB87_5
; %bb.4:
	s_load_dword s3, s[40:41], 0x0
	s_waitcnt lgkmcnt(0)
	v_mov_b32_e32 v20, s3
	s_branch .LBB87_6
.LBB87_5:
	v_mov_b32_e32 v1, s40
	v_cndmask_b32_e64 v20, 0, v1, s[6:7]
.LBB87_6:
	s_load_dwordx2 s[40:41], s[0:1], 0x0
	v_lshl_add_u32 v1, v0, 2, 0
	v_add_u32_e32 v1, 0x2000, v1
	v_or_b32_e32 v18, 0xfffffe00, v0
	v_lshl_add_u32 v19, v0, 3, 0
	s_mov_b64 s[0:1], 0
	s_waitcnt lgkmcnt(0)
	v_mov_b64_e32 v[6:7], s[40:41]
	v_mov_b32_e32 v2, 0
	v_mov_b32_e32 v3, v19
	;; [unrolled: 1-line block ×4, first 2 shown]
.LBB87_7:                               ; =>This Inner Loop Header: Depth=1
	v_add_co_u32_e32 v4, vcc, 0x200, v4
	s_xor_b64 s[42:43], vcc, -1
	s_and_b64 s[42:43], exec, s[42:43]
	ds_write_b64 v3, v[6:7]
	ds_write_b32 v5, v2
	v_add_u32_e32 v5, 0x800, v5
	s_or_b64 s[0:1], s[42:43], s[0:1]
	v_add_u32_e32 v3, 0x1000, v3
	s_andn2_b64 exec, exec, s[0:1]
	s_cbranch_execnz .LBB87_7
; %bb.8:
	s_or_b64 exec, exec, s[0:1]
	s_waitcnt lgkmcnt(0)
	s_barrier
	s_load_dwordx2 s[0:1], s[36:37], 0x0
	s_mov_b32 s3, 0
	s_waitcnt lgkmcnt(0)
	s_lshl_b64 s[0:1], s[0:1], 3
	s_add_u32 s33, s38, s0
	s_addc_u32 s36, s39, s1
	s_lshl_b64 s[0:1], s[2:3], 3
	s_add_u32 s0, s33, s0
	s_addc_u32 s1, s36, s1
	s_load_dwordx2 s[36:37], s[0:1], 0x0
	s_and_b64 vcc, exec, s[4:5]
	s_cbranch_vccz .LBB87_28
; %bb.9:
	s_waitcnt lgkmcnt(0)
	s_lshl_b64 s[0:1], s[36:37], 3
	s_add_u32 s0, s20, s0
	s_addc_u32 s1, s21, s1
	s_load_dwordx4 s[44:47], s[0:1], 0x0
	v_lshrrev_b32_e32 v2, 5, v0
	v_subrev_co_u32_e32 v2, vcc, s28, v2
	s_waitcnt lgkmcnt(0)
	s_sub_u32 s0, s46, s28
	v_subb_co_u32_e64 v3, s[2:3], 0, 0, vcc
	s_subb_u32 s1, s47, 0
	v_lshl_add_u64 v[2:3], s[44:45], 0, v[2:3]
	v_cmp_gt_i64_e32 vcc, s[0:1], v[2:3]
	s_and_saveexec_b64 s[2:3], vcc
	s_cbranch_execz .LBB87_27
; %bb.10:
	v_and_b32_e32 v4, 31, v0
	v_subrev_co_u32_e32 v4, vcc, s29, v4
	s_mov_b32 s33, s29
	s_nop 0
	v_subb_co_u32_e64 v5, s[4:5], 0, 0, vcc
	s_mov_b64 s[4:5], 0
	s_movk_i32 s29, 0x89
	s_branch .LBB87_12
.LBB87_11:                              ;   in Loop: Header=BB87_12 Depth=1
	s_or_b64 exec, exec, s[20:21]
	v_lshl_add_u64 v[2:3], v[2:3], 0, 16
	v_cmp_le_i64_e32 vcc, s[0:1], v[2:3]
	s_or_b64 s[4:5], vcc, s[4:5]
	s_andn2_b64 exec, exec, s[4:5]
	s_cbranch_execz .LBB87_27
.LBB87_12:                              ; =>This Loop Header: Depth=1
                                        ;     Child Loop BB87_16 Depth 2
                                        ;       Child Loop BB87_19 Depth 3
	v_lshl_add_u64 v[6:7], v[2:3], 3, s[22:23]
	global_load_dwordx2 v[6:7], v[6:7], off
	s_waitcnt vmcnt(0)
	v_subrev_co_u32_e32 v6, vcc, s28, v6
	s_nop 1
	v_subbrev_co_u32_e32 v7, vcc, 0, v7, vcc
	v_lshl_add_u64 v[6:7], v[6:7], 3, s[26:27]
	global_load_dwordx4 v[8:11], v[6:7], off
	s_waitcnt vmcnt(0)
	v_subrev_co_u32_e32 v6, vcc, s33, v10
	s_nop 1
	v_subbrev_co_u32_e32 v7, vcc, 0, v11, vcc
	v_lshl_add_u64 v[8:9], v[8:9], 0, v[4:5]
	v_cmp_lt_i64_e32 vcc, v[8:9], v[6:7]
	s_and_saveexec_b64 s[20:21], vcc
	s_cbranch_execz .LBB87_11
; %bb.13:                               ;   in Loop: Header=BB87_12 Depth=1
	v_lshl_add_u64 v[10:11], v[2:3], 2, s[24:25]
	global_load_dword v10, v[10:11], off
	s_mov_b64 s[38:39], 0
	s_waitcnt vmcnt(0)
	v_mul_f32_e32 v22, v21, v10
	s_branch .LBB87_16
.LBB87_14:                              ;   in Loop: Header=BB87_16 Depth=2
	s_or_b64 exec, exec, s[44:45]
.LBB87_15:                              ;   in Loop: Header=BB87_16 Depth=2
	s_or_b64 exec, exec, s[42:43]
	s_waitcnt vmcnt(0)
	v_mul_f32_e32 v10, v22, v23
	v_lshl_add_u32 v11, v12, 2, 0
	ds_add_f32 v11, v10 offset:8192
	v_lshl_add_u64 v[8:9], v[8:9], 0, 32
	v_cmp_ge_i64_e32 vcc, v[8:9], v[6:7]
	s_or_b64 s[38:39], vcc, s[38:39]
	s_andn2_b64 exec, exec, s[38:39]
	s_cbranch_execz .LBB87_11
.LBB87_16:                              ;   Parent Loop BB87_12 Depth=1
                                        ; =>  This Loop Header: Depth=2
                                        ;       Child Loop BB87_19 Depth 3
	v_lshl_add_u64 v[10:11], v[8:9], 3, s[8:9]
	global_load_dwordx2 v[10:11], v[10:11], off
	v_lshl_add_u64 v[12:13], v[8:9], 2, s[10:11]
	global_load_dword v23, v[12:13], off
	s_waitcnt vmcnt(1)
	v_subrev_co_u32_e32 v10, vcc, s33, v10
	v_mul_lo_u32 v12, v10, s29
	v_and_b32_e32 v12, 0x3ff, v12
	v_lshl_add_u32 v24, v12, 3, 0
	ds_read_b64 v[16:17], v24
	v_subbrev_co_u32_e32 v11, vcc, 0, v11, vcc
	s_waitcnt lgkmcnt(0)
	v_cmp_ne_u64_e32 vcc, v[16:17], v[10:11]
	s_and_saveexec_b64 s[42:43], vcc
	s_cbranch_execz .LBB87_15
; %bb.17:                               ;   in Loop: Header=BB87_16 Depth=2
	s_mov_b64 s[44:45], 0
                                        ; implicit-def: $sgpr46_sgpr47
                                        ; implicit-def: $sgpr48_sgpr49
	s_branch .LBB87_19
.LBB87_18:                              ;   in Loop: Header=BB87_19 Depth=3
	s_or_b64 exec, exec, s[54:55]
	s_and_b64 s[50:51], exec, s[52:53]
	s_or_b64 s[44:45], s[50:51], s[44:45]
	s_andn2_b64 s[46:47], s[46:47], exec
	s_and_b64 s[50:51], s[48:49], exec
	s_or_b64 s[46:47], s[46:47], s[50:51]
	s_andn2_b64 exec, exec, s[44:45]
	s_cbranch_execz .LBB87_25
.LBB87_19:                              ;   Parent Loop BB87_12 Depth=1
                                        ;     Parent Loop BB87_16 Depth=2
                                        ; =>    This Inner Loop Header: Depth=3
	v_mov_b64_e32 v[14:15], v[12:13]
	v_cmp_ne_u64_e32 vcc, s[40:41], v[16:17]
	s_mov_b64 s[50:51], 0
                                        ; implicit-def: $vgpr12_vgpr13
	s_and_saveexec_b64 s[52:53], vcc
	s_xor_b64 s[52:53], exec, s[52:53]
; %bb.20:                               ;   in Loop: Header=BB87_19 Depth=3
	v_add_u32_e32 v12, 1, v14
	s_mov_b64 s[50:51], exec
	v_and_b32_e32 v12, 0x3ff, v12
                                        ; implicit-def: $vgpr24
; %bb.21:                               ;   in Loop: Header=BB87_19 Depth=3
	s_andn2_saveexec_b64 s[52:53], s[52:53]
	s_cbranch_execz .LBB87_23
; %bb.22:                               ;   in Loop: Header=BB87_19 Depth=3
	v_mov_b64_e32 v[12:13], s[40:41]
	ds_cmpst_rtn_b64 v[12:13], v24, v[12:13], v[10:11]
	s_andn2_b64 s[50:51], s[50:51], exec
	s_waitcnt lgkmcnt(0)
	v_cmp_ne_u64_e32 vcc, s[40:41], v[12:13]
	s_and_b64 s[54:55], vcc, exec
	s_or_b64 s[50:51], s[50:51], s[54:55]
	v_mov_b64_e32 v[12:13], v[14:15]
.LBB87_23:                              ;   in Loop: Header=BB87_19 Depth=3
	s_or_b64 exec, exec, s[52:53]
	s_mov_b64 s[52:53], -1
	s_or_b64 s[48:49], s[48:49], exec
                                        ; implicit-def: $vgpr24
                                        ; implicit-def: $vgpr16_vgpr17
	s_and_saveexec_b64 s[54:55], s[50:51]
	s_cbranch_execz .LBB87_18
; %bb.24:                               ;   in Loop: Header=BB87_19 Depth=3
	v_lshl_add_u32 v24, v12, 3, 0
	ds_read_b64 v[16:17], v24
	s_andn2_b64 s[48:49], s[48:49], exec
	s_waitcnt lgkmcnt(0)
	v_cmp_eq_u64_e32 vcc, v[16:17], v[10:11]
	s_orn2_b64 s[52:53], vcc, exec
	s_branch .LBB87_18
.LBB87_25:                              ;   in Loop: Header=BB87_16 Depth=2
	s_or_b64 exec, exec, s[44:45]
	s_and_saveexec_b64 s[44:45], s[46:47]
	s_xor_b64 s[44:45], exec, s[44:45]
	s_cbranch_execz .LBB87_14
; %bb.26:                               ;   in Loop: Header=BB87_16 Depth=2
	v_mov_b32_e32 v12, v14
	s_branch .LBB87_14
.LBB87_27:
	s_or_b64 exec, exec, s[2:3]
.LBB87_28:
	s_andn2_b64 vcc, exec, s[6:7]
	s_cbranch_vccnz .LBB87_45
; %bb.29:
	s_waitcnt lgkmcnt(0)
	s_lshl_b64 s[0:1], s[36:37], 3
	s_add_u32 s0, s12, s0
	s_addc_u32 s1, s13, s1
	s_load_dwordx4 s[4:7], s[0:1], 0x0
	v_subrev_co_u32_e32 v2, vcc, s31, v0
	s_waitcnt lgkmcnt(0)
	s_sub_u32 s0, s6, s31
	v_subb_co_u32_e64 v3, s[2:3], 0, 0, vcc
	s_subb_u32 s1, s7, 0
	v_lshl_add_u64 v[2:3], s[4:5], 0, v[2:3]
	v_cmp_gt_i64_e32 vcc, s[0:1], v[2:3]
	s_and_saveexec_b64 s[2:3], vcc
	s_cbranch_execz .LBB87_44
; %bb.30:
	s_mov_b32 s28, s31
	s_mov_b64 s[4:5], 0
	s_movk_i32 s29, 0x89
	s_mov_b64 s[6:7], 0x200
	s_branch .LBB87_33
.LBB87_31:                              ;   in Loop: Header=BB87_33 Depth=1
	s_or_b64 exec, exec, s[10:11]
.LBB87_32:                              ;   in Loop: Header=BB87_33 Depth=1
	s_or_b64 exec, exec, s[8:9]
	s_waitcnt vmcnt(0)
	v_mul_f32_e32 v4, v20, v12
	v_lshl_add_u32 v5, v6, 2, 0
	ds_add_f32 v5, v4 offset:8192
	v_lshl_add_u64 v[2:3], v[2:3], 0, s[6:7]
	v_cmp_le_i64_e32 vcc, s[0:1], v[2:3]
	s_or_b64 s[4:5], vcc, s[4:5]
	s_andn2_b64 exec, exec, s[4:5]
	s_cbranch_execz .LBB87_44
.LBB87_33:                              ; =>This Loop Header: Depth=1
                                        ;     Child Loop BB87_36 Depth 2
	v_lshl_add_u64 v[4:5], v[2:3], 3, s[14:15]
	global_load_dwordx2 v[4:5], v[4:5], off
	v_lshl_add_u64 v[6:7], v[2:3], 2, s[16:17]
	global_load_dword v12, v[6:7], off
	s_waitcnt vmcnt(1)
	v_subrev_co_u32_e32 v4, vcc, s28, v4
	v_mul_lo_u32 v6, v4, s29
	v_and_b32_e32 v6, 0x3ff, v6
	v_lshl_add_u32 v13, v6, 3, 0
	ds_read_b64 v[10:11], v13
	v_subbrev_co_u32_e32 v5, vcc, 0, v5, vcc
	s_waitcnt lgkmcnt(0)
	v_cmp_ne_u64_e32 vcc, v[10:11], v[4:5]
	s_and_saveexec_b64 s[8:9], vcc
	s_cbranch_execz .LBB87_32
; %bb.34:                               ;   in Loop: Header=BB87_33 Depth=1
	s_mov_b64 s[10:11], 0
                                        ; implicit-def: $sgpr12_sgpr13
                                        ; implicit-def: $sgpr20_sgpr21
	s_branch .LBB87_36
.LBB87_35:                              ;   in Loop: Header=BB87_36 Depth=2
	s_or_b64 exec, exec, s[26:27]
	s_and_b64 s[22:23], exec, s[24:25]
	s_or_b64 s[10:11], s[22:23], s[10:11]
	s_andn2_b64 s[12:13], s[12:13], exec
	s_and_b64 s[22:23], s[20:21], exec
	s_or_b64 s[12:13], s[12:13], s[22:23]
	s_andn2_b64 exec, exec, s[10:11]
	s_cbranch_execz .LBB87_42
.LBB87_36:                              ;   Parent Loop BB87_33 Depth=1
                                        ; =>  This Inner Loop Header: Depth=2
	v_mov_b64_e32 v[8:9], v[6:7]
	v_cmp_ne_u64_e32 vcc, s[40:41], v[10:11]
	s_mov_b64 s[22:23], 0
                                        ; implicit-def: $vgpr6_vgpr7
	s_and_saveexec_b64 s[24:25], vcc
	s_xor_b64 s[24:25], exec, s[24:25]
; %bb.37:                               ;   in Loop: Header=BB87_36 Depth=2
	v_add_u32_e32 v6, 1, v8
	s_mov_b64 s[22:23], exec
	v_and_b32_e32 v6, 0x3ff, v6
                                        ; implicit-def: $vgpr13
; %bb.38:                               ;   in Loop: Header=BB87_36 Depth=2
	s_andn2_saveexec_b64 s[24:25], s[24:25]
	s_cbranch_execz .LBB87_40
; %bb.39:                               ;   in Loop: Header=BB87_36 Depth=2
	v_mov_b64_e32 v[6:7], s[40:41]
	ds_cmpst_rtn_b64 v[6:7], v13, v[6:7], v[4:5]
	s_andn2_b64 s[22:23], s[22:23], exec
	s_waitcnt lgkmcnt(0)
	v_cmp_ne_u64_e32 vcc, s[40:41], v[6:7]
	s_and_b64 s[26:27], vcc, exec
	s_or_b64 s[22:23], s[22:23], s[26:27]
	v_mov_b64_e32 v[6:7], v[8:9]
.LBB87_40:                              ;   in Loop: Header=BB87_36 Depth=2
	s_or_b64 exec, exec, s[24:25]
	s_mov_b64 s[24:25], -1
	s_or_b64 s[20:21], s[20:21], exec
                                        ; implicit-def: $vgpr13
                                        ; implicit-def: $vgpr10_vgpr11
	s_and_saveexec_b64 s[26:27], s[22:23]
	s_cbranch_execz .LBB87_35
; %bb.41:                               ;   in Loop: Header=BB87_36 Depth=2
	v_lshl_add_u32 v13, v6, 3, 0
	ds_read_b64 v[10:11], v13
	s_andn2_b64 s[20:21], s[20:21], exec
	s_waitcnt lgkmcnt(0)
	v_cmp_eq_u64_e32 vcc, v[10:11], v[4:5]
	s_orn2_b64 s[24:25], vcc, exec
	s_branch .LBB87_35
.LBB87_42:                              ;   in Loop: Header=BB87_33 Depth=1
	s_or_b64 exec, exec, s[10:11]
	s_and_saveexec_b64 s[10:11], s[12:13]
	s_xor_b64 s[10:11], exec, s[10:11]
	s_cbranch_execz .LBB87_31
; %bb.43:                               ;   in Loop: Header=BB87_33 Depth=1
	v_mov_b32_e32 v6, v8
	s_branch .LBB87_31
.LBB87_44:
	s_or_b64 exec, exec, s[2:3]
.LBB87_45:
	v_mbcnt_lo_u32_b32 v2, -1, 0
	v_mbcnt_hi_u32_b32 v2, -1, v2
	v_sub_u32_e32 v2, 63, v2
	v_lshrrev_b64 v[4:5], v2, -1
	v_lshrrev_b32_e32 v2, 3, v0
	v_and_b32_e32 v2, 56, v2
	s_movk_i32 s0, 0x1ff
	s_movk_i32 s4, 0x7f
	;; [unrolled: 1-line block ×7, first 2 shown]
	v_mov_b32_e32 v3, 0
	v_add_u32_e32 v12, 0, v2
	v_cmp_eq_u32_e64 s[0:1], s0, v0
	v_cmp_lt_u32_e64 s[2:3], 63, v0
	v_cmp_lt_u32_e64 s[4:5], s4, v0
	;; [unrolled: 1-line block ×7, first 2 shown]
	s_mov_b64 s[16:17], 0
	v_mov_b64_e32 v[6:7], 0
	s_waitcnt lgkmcnt(0)
	s_barrier
	s_branch .LBB87_47
.LBB87_46:                              ;   in Loop: Header=BB87_47 Depth=1
	s_or_b64 exec, exec, s[20:21]
	s_waitcnt lgkmcnt(0)
	s_barrier
	ds_read_b64 v[8:9], v3 offset:12344
	v_add_co_u32_e32 v18, vcc, 0x200, v18
	s_xor_b64 s[20:21], vcc, -1
	s_and_b64 s[20:21], exec, s[20:21]
	v_add_u32_e32 v1, 0x800, v1
	s_waitcnt lgkmcnt(0)
	v_lshl_add_u64 v[6:7], v[8:9], 0, v[6:7]
	s_or_b64 s[16:17], s[20:21], s[16:17]
	v_add_u32_e32 v19, 0x1000, v19
	s_andn2_b64 exec, exec, s[16:17]
	s_cbranch_execz .LBB87_65
.LBB87_47:                              ; =>This Inner Loop Header: Depth=1
	ds_read_b64 v[8:9], v19
	ds_read_b32 v13, v1
	s_waitcnt lgkmcnt(0)
	s_barrier
	v_cmp_gt_i64_e32 vcc, s[40:41], v[8:9]
	s_bcnt1_i32_b64 s20, vcc
	v_mov_b32_e32 v2, s20
	v_and_b32_e32 v11, vcc_lo, v4
	v_and_b32_e32 v10, vcc_hi, v5
	v_bcnt_u32_b32 v11, v11, 0
	v_bcnt_u32_b32 v10, v10, v11
	ds_write_b64 v12, v[2:3] offset:12288
	s_waitcnt lgkmcnt(0)
	s_barrier
	s_and_saveexec_b64 s[20:21], s[2:3]
	s_cbranch_execnz .LBB87_56
; %bb.48:                               ;   in Loop: Header=BB87_47 Depth=1
	s_or_b64 exec, exec, s[20:21]
	s_and_saveexec_b64 s[20:21], s[4:5]
	s_cbranch_execnz .LBB87_57
.LBB87_49:                              ;   in Loop: Header=BB87_47 Depth=1
	s_or_b64 exec, exec, s[20:21]
	s_and_saveexec_b64 s[20:21], s[6:7]
	s_cbranch_execnz .LBB87_58
.LBB87_50:                              ;   in Loop: Header=BB87_47 Depth=1
	s_or_b64 exec, exec, s[20:21]
	s_and_saveexec_b64 s[20:21], s[8:9]
	s_cbranch_execnz .LBB87_59
.LBB87_51:                              ;   in Loop: Header=BB87_47 Depth=1
	s_or_b64 exec, exec, s[20:21]
	s_and_saveexec_b64 s[20:21], s[10:11]
	s_cbranch_execnz .LBB87_60
.LBB87_52:                              ;   in Loop: Header=BB87_47 Depth=1
	s_or_b64 exec, exec, s[20:21]
	s_and_saveexec_b64 s[20:21], s[12:13]
	s_cbranch_execnz .LBB87_61
.LBB87_53:                              ;   in Loop: Header=BB87_47 Depth=1
	s_or_b64 exec, exec, s[20:21]
	s_and_saveexec_b64 s[20:21], s[14:15]
	s_cbranch_execnz .LBB87_62
.LBB87_54:                              ;   in Loop: Header=BB87_47 Depth=1
	s_or_b64 exec, exec, s[20:21]
	v_ashrrev_i32_e32 v11, 31, v10
	s_and_saveexec_b64 s[20:21], vcc
	s_cbranch_execnz .LBB87_63
.LBB87_55:                              ;   in Loop: Header=BB87_47 Depth=1
	s_or_b64 exec, exec, s[20:21]
	s_and_saveexec_b64 s[20:21], s[0:1]
	s_cbranch_execz .LBB87_46
	s_branch .LBB87_64
.LBB87_56:                              ;   in Loop: Header=BB87_47 Depth=1
	ds_read_b32 v2, v3 offset:12288
	s_waitcnt lgkmcnt(0)
	v_add_u32_e32 v10, v2, v10
	s_or_b64 exec, exec, s[20:21]
	s_and_saveexec_b64 s[20:21], s[4:5]
	s_cbranch_execz .LBB87_49
.LBB87_57:                              ;   in Loop: Header=BB87_47 Depth=1
	ds_read_b32 v2, v3 offset:12296
	s_waitcnt lgkmcnt(0)
	v_add_u32_e32 v10, v10, v2
	s_or_b64 exec, exec, s[20:21]
	s_and_saveexec_b64 s[20:21], s[6:7]
	s_cbranch_execz .LBB87_50
.LBB87_58:                              ;   in Loop: Header=BB87_47 Depth=1
	ds_read_b32 v2, v3 offset:12304
	s_waitcnt lgkmcnt(0)
	v_add_u32_e32 v10, v10, v2
	s_or_b64 exec, exec, s[20:21]
	s_and_saveexec_b64 s[20:21], s[8:9]
	s_cbranch_execz .LBB87_51
.LBB87_59:                              ;   in Loop: Header=BB87_47 Depth=1
	ds_read_b32 v2, v3 offset:12312
	s_waitcnt lgkmcnt(0)
	v_add_u32_e32 v10, v10, v2
	s_or_b64 exec, exec, s[20:21]
	s_and_saveexec_b64 s[20:21], s[10:11]
	s_cbranch_execz .LBB87_52
.LBB87_60:                              ;   in Loop: Header=BB87_47 Depth=1
	ds_read_b32 v2, v3 offset:12320
	s_waitcnt lgkmcnt(0)
	v_add_u32_e32 v10, v10, v2
	s_or_b64 exec, exec, s[20:21]
	s_and_saveexec_b64 s[20:21], s[12:13]
	s_cbranch_execz .LBB87_53
.LBB87_61:                              ;   in Loop: Header=BB87_47 Depth=1
	ds_read_b32 v2, v3 offset:12328
	s_waitcnt lgkmcnt(0)
	v_add_u32_e32 v10, v10, v2
	s_or_b64 exec, exec, s[20:21]
	s_and_saveexec_b64 s[20:21], s[14:15]
	s_cbranch_execz .LBB87_54
.LBB87_62:                              ;   in Loop: Header=BB87_47 Depth=1
	ds_read_b32 v2, v3 offset:12336
	s_waitcnt lgkmcnt(0)
	v_add_u32_e32 v10, v10, v2
	s_or_b64 exec, exec, s[20:21]
	v_ashrrev_i32_e32 v11, 31, v10
	s_and_saveexec_b64 s[20:21], vcc
	s_cbranch_execz .LBB87_55
.LBB87_63:                              ;   in Loop: Header=BB87_47 Depth=1
	v_add3_u32 v2, v6, -1, v10
	v_lshl_add_u32 v2, v2, 3, 0
	v_add_u32_e32 v14, v6, v10
	v_lshl_add_u32 v14, v14, 2, 0
	ds_write_b64 v2, v[8:9]
	ds_write_b32 v14, v13 offset:8188
	s_or_b64 exec, exec, s[20:21]
	s_and_saveexec_b64 s[20:21], s[0:1]
	s_cbranch_execz .LBB87_46
.LBB87_64:                              ;   in Loop: Header=BB87_47 Depth=1
	ds_write_b64 v3, v[10:11] offset:12344
	s_branch .LBB87_46
.LBB87_65:
	s_or_b64 exec, exec, s[16:17]
	s_lshl_b64 s[0:1], s[36:37], 3
	s_add_u32 s4, s18, s0
	s_addc_u32 s5, s19, s1
	s_load_dwordx4 s[0:3], s[4:5], 0x0
	v_mov_b32_e32 v1, 0
	s_waitcnt lgkmcnt(0)
	s_sub_u32 s4, s2, s0
	s_subb_u32 s5, s3, s1
	v_cmp_gt_i64_e32 vcc, s[4:5], v[0:1]
	s_and_saveexec_b64 s[6:7], vcc
	s_cbranch_execz .LBB87_75
; %bb.66:
	s_sub_u32 s8, s0, s30
	s_subb_u32 s9, s1, 0
	s_and_b32 s6, s4, 7
	s_sub_u32 s0, s0, s2
	s_mov_b32 s7, 0
	s_subb_u32 s1, s1, s3
	s_and_b32 s10, s4, -8
	s_cmp_lg_u64 s[6:7], 0
	v_cmp_lt_u64_e64 s[0:1], s[0:1], -7
	s_cselect_b64 s[2:3], -1, 0
	s_mov_b32 s11, s5
	v_cndmask_b32_e64 v2, 0, 1, s[0:1]
	v_cmp_ne_u32_e64 s[0:1], 1, v2
	v_cndmask_b32_e64 v2, 0, 1, s[2:3]
	s_mov_b64 s[12:13], 0
	v_cmp_ne_u32_e64 s[2:3], 1, v2
	s_mov_b64 s[14:15], 0x200
	s_branch .LBB87_68
.LBB87_67:                              ;   in Loop: Header=BB87_68 Depth=1
	v_lshl_add_u64 v[0:1], v[0:1], 0, s[14:15]
	v_cmp_le_i64_e32 vcc, s[4:5], v[0:1]
	s_waitcnt lgkmcnt(1)
	v_lshl_add_u64 v[2:3], v[4:5], 2, s[34:35]
	s_or_b64 s[12:13], vcc, s[12:13]
	s_waitcnt lgkmcnt(0)
	global_store_dword v[2:3], v6, off
	s_andn2_b64 exec, exec, s[12:13]
	s_cbranch_execz .LBB87_75
.LBB87_68:                              ; =>This Loop Header: Depth=1
                                        ;     Child Loop BB87_70 Depth 2
                                        ;     Child Loop BB87_74 Depth 2
	v_lshl_add_u32 v2, v0, 3, 0
	v_lshlrev_b32_e32 v3, 2, v0
	v_sub_u32_e32 v4, v2, v3
	ds_read_b64 v[2:3], v2
	ds_read_b32 v6, v4 offset:8192
	s_and_b64 vcc, exec, s[0:1]
	v_mov_b64_e32 v[4:5], s[8:9]
	s_mov_b64 s[16:17], 0
	s_cbranch_vccnz .LBB87_72
; %bb.69:                               ;   in Loop: Header=BB87_68 Depth=1
	s_mov_b32 s18, 0
	v_mov_b64_e32 v[4:5], s[8:9]
.LBB87_70:                              ;   Parent Loop BB87_68 Depth=1
                                        ; =>  This Inner Loop Header: Depth=2
	v_mov_b32_e32 v7, s18
	ds_read2_b64 v[8:11], v7 offset1:1
	ds_read2_b64 v[12:15], v7 offset0:2 offset1:3
	ds_read2_b64 v[16:19], v7 offset0:4 offset1:5
	;; [unrolled: 1-line block ×3, first 2 shown]
	v_mov_b32_e32 v25, s7
	s_waitcnt lgkmcnt(3)
	v_cmp_gt_i64_e32 vcc, v[2:3], v[8:9]
	v_mov_b32_e32 v27, s7
	v_mov_b32_e32 v29, s7
	v_cndmask_b32_e64 v24, 0, 1, vcc
	v_cmp_gt_i64_e32 vcc, v[2:3], v[10:11]
	v_lshl_add_u64 v[4:5], v[4:5], 0, v[24:25]
	v_mov_b32_e32 v31, s7
	v_cndmask_b32_e64 v26, 0, 1, vcc
	s_waitcnt lgkmcnt(2)
	v_cmp_gt_i64_e32 vcc, v[2:3], v[12:13]
	v_lshl_add_u64 v[4:5], v[4:5], 0, v[26:27]
	v_mov_b32_e32 v33, s7
	v_cndmask_b32_e64 v28, 0, 1, vcc
	v_cmp_gt_i64_e32 vcc, v[2:3], v[14:15]
	v_lshl_add_u64 v[4:5], v[4:5], 0, v[28:29]
	v_mov_b32_e32 v35, s7
	v_cndmask_b32_e64 v30, 0, 1, vcc
	s_waitcnt lgkmcnt(1)
	v_cmp_gt_i64_e32 vcc, v[2:3], v[16:17]
	v_lshl_add_u64 v[4:5], v[4:5], 0, v[30:31]
	v_mov_b32_e32 v37, s7
	v_cndmask_b32_e64 v32, 0, 1, vcc
	v_cmp_gt_i64_e32 vcc, v[2:3], v[18:19]
	v_lshl_add_u64 v[4:5], v[4:5], 0, v[32:33]
	s_add_u32 s16, s16, 8
	v_cndmask_b32_e64 v34, 0, 1, vcc
	s_waitcnt lgkmcnt(0)
	v_cmp_gt_i64_e32 vcc, v[2:3], v[20:21]
	v_lshl_add_u64 v[4:5], v[4:5], 0, v[34:35]
	v_mov_b32_e32 v39, s7
	v_cndmask_b32_e64 v36, 0, 1, vcc
	v_cmp_gt_i64_e32 vcc, v[2:3], v[22:23]
	s_addc_u32 s17, s17, 0
	s_add_i32 s18, s18, 64
	v_cndmask_b32_e64 v38, 0, 1, vcc
	v_lshl_add_u64 v[4:5], v[4:5], 0, v[36:37]
	s_cmp_eq_u64 s[10:11], s[16:17]
	v_lshl_add_u64 v[4:5], v[4:5], 0, v[38:39]
	s_cbranch_scc0 .LBB87_70
; %bb.71:                               ;   in Loop: Header=BB87_68 Depth=1
	s_mov_b64 s[16:17], s[10:11]
.LBB87_72:                              ;   in Loop: Header=BB87_68 Depth=1
	s_and_b64 vcc, exec, s[2:3]
	s_cbranch_vccnz .LBB87_67
; %bb.73:                               ;   in Loop: Header=BB87_68 Depth=1
	s_lshl_b32 s16, s16, 3
	s_add_i32 s18, s16, 0
	s_mov_b64 s[16:17], s[6:7]
.LBB87_74:                              ;   Parent Loop BB87_68 Depth=1
                                        ; =>  This Inner Loop Header: Depth=2
	v_mov_b32_e32 v7, s18
	ds_read_b64 v[10:11], v7
	s_add_i32 s18, s18, 8
	s_add_u32 s16, s16, -1
	v_mov_b32_e32 v9, s7
	s_addc_u32 s17, s17, -1
	s_waitcnt lgkmcnt(0)
	v_cmp_gt_i64_e32 vcc, v[2:3], v[10:11]
	s_cmp_lg_u64 s[16:17], 0
	s_nop 0
	v_cndmask_b32_e64 v8, 0, 1, vcc
	v_lshl_add_u64 v[4:5], v[4:5], 0, v[8:9]
	s_cbranch_scc1 .LBB87_74
	s_branch .LBB87_67
.LBB87_75:
	s_endpgm
	.section	.rodata,"a",@progbits
	.p2align	6, 0x0
	.amdhsa_kernel _ZN9rocsparseL41csrgemm_numeric_fill_block_per_row_kernelILj512ELj32ELj1024ELj137ELj64EllfEEvT5_PKS1_S3_NS_24const_host_device_scalarIT6_EEPKT4_S3_PKS5_S9_S3_SB_S6_S9_S3_SB_S9_S3_PS5_21rocsparse_index_base_SD_SD_SD_bbb
		.amdhsa_group_segment_fixed_size 0
		.amdhsa_private_segment_fixed_size 0
		.amdhsa_kernarg_size 156
		.amdhsa_user_sgpr_count 2
		.amdhsa_user_sgpr_dispatch_ptr 0
		.amdhsa_user_sgpr_queue_ptr 0
		.amdhsa_user_sgpr_kernarg_segment_ptr 1
		.amdhsa_user_sgpr_dispatch_id 0
		.amdhsa_user_sgpr_kernarg_preload_length 0
		.amdhsa_user_sgpr_kernarg_preload_offset 0
		.amdhsa_user_sgpr_private_segment_size 0
		.amdhsa_uses_dynamic_stack 0
		.amdhsa_enable_private_segment 0
		.amdhsa_system_sgpr_workgroup_id_x 1
		.amdhsa_system_sgpr_workgroup_id_y 0
		.amdhsa_system_sgpr_workgroup_id_z 0
		.amdhsa_system_sgpr_workgroup_info 0
		.amdhsa_system_vgpr_workitem_id 0
		.amdhsa_next_free_vgpr 40
		.amdhsa_next_free_sgpr 56
		.amdhsa_accum_offset 40
		.amdhsa_reserve_vcc 1
		.amdhsa_float_round_mode_32 0
		.amdhsa_float_round_mode_16_64 0
		.amdhsa_float_denorm_mode_32 3
		.amdhsa_float_denorm_mode_16_64 3
		.amdhsa_dx10_clamp 1
		.amdhsa_ieee_mode 1
		.amdhsa_fp16_overflow 0
		.amdhsa_tg_split 0
		.amdhsa_exception_fp_ieee_invalid_op 0
		.amdhsa_exception_fp_denorm_src 0
		.amdhsa_exception_fp_ieee_div_zero 0
		.amdhsa_exception_fp_ieee_overflow 0
		.amdhsa_exception_fp_ieee_underflow 0
		.amdhsa_exception_fp_ieee_inexact 0
		.amdhsa_exception_int_div_zero 0
	.end_amdhsa_kernel
	.section	.text._ZN9rocsparseL41csrgemm_numeric_fill_block_per_row_kernelILj512ELj32ELj1024ELj137ELj64EllfEEvT5_PKS1_S3_NS_24const_host_device_scalarIT6_EEPKT4_S3_PKS5_S9_S3_SB_S6_S9_S3_SB_S9_S3_PS5_21rocsparse_index_base_SD_SD_SD_bbb,"axG",@progbits,_ZN9rocsparseL41csrgemm_numeric_fill_block_per_row_kernelILj512ELj32ELj1024ELj137ELj64EllfEEvT5_PKS1_S3_NS_24const_host_device_scalarIT6_EEPKT4_S3_PKS5_S9_S3_SB_S6_S9_S3_SB_S9_S3_PS5_21rocsparse_index_base_SD_SD_SD_bbb,comdat
.Lfunc_end87:
	.size	_ZN9rocsparseL41csrgemm_numeric_fill_block_per_row_kernelILj512ELj32ELj1024ELj137ELj64EllfEEvT5_PKS1_S3_NS_24const_host_device_scalarIT6_EEPKT4_S3_PKS5_S9_S3_SB_S6_S9_S3_SB_S9_S3_PS5_21rocsparse_index_base_SD_SD_SD_bbb, .Lfunc_end87-_ZN9rocsparseL41csrgemm_numeric_fill_block_per_row_kernelILj512ELj32ELj1024ELj137ELj64EllfEEvT5_PKS1_S3_NS_24const_host_device_scalarIT6_EEPKT4_S3_PKS5_S9_S3_SB_S6_S9_S3_SB_S9_S3_PS5_21rocsparse_index_base_SD_SD_SD_bbb
                                        ; -- End function
	.set _ZN9rocsparseL41csrgemm_numeric_fill_block_per_row_kernelILj512ELj32ELj1024ELj137ELj64EllfEEvT5_PKS1_S3_NS_24const_host_device_scalarIT6_EEPKT4_S3_PKS5_S9_S3_SB_S6_S9_S3_SB_S9_S3_PS5_21rocsparse_index_base_SD_SD_SD_bbb.num_vgpr, 40
	.set _ZN9rocsparseL41csrgemm_numeric_fill_block_per_row_kernelILj512ELj32ELj1024ELj137ELj64EllfEEvT5_PKS1_S3_NS_24const_host_device_scalarIT6_EEPKT4_S3_PKS5_S9_S3_SB_S6_S9_S3_SB_S9_S3_PS5_21rocsparse_index_base_SD_SD_SD_bbb.num_agpr, 0
	.set _ZN9rocsparseL41csrgemm_numeric_fill_block_per_row_kernelILj512ELj32ELj1024ELj137ELj64EllfEEvT5_PKS1_S3_NS_24const_host_device_scalarIT6_EEPKT4_S3_PKS5_S9_S3_SB_S6_S9_S3_SB_S9_S3_PS5_21rocsparse_index_base_SD_SD_SD_bbb.numbered_sgpr, 56
	.set _ZN9rocsparseL41csrgemm_numeric_fill_block_per_row_kernelILj512ELj32ELj1024ELj137ELj64EllfEEvT5_PKS1_S3_NS_24const_host_device_scalarIT6_EEPKT4_S3_PKS5_S9_S3_SB_S6_S9_S3_SB_S9_S3_PS5_21rocsparse_index_base_SD_SD_SD_bbb.num_named_barrier, 0
	.set _ZN9rocsparseL41csrgemm_numeric_fill_block_per_row_kernelILj512ELj32ELj1024ELj137ELj64EllfEEvT5_PKS1_S3_NS_24const_host_device_scalarIT6_EEPKT4_S3_PKS5_S9_S3_SB_S6_S9_S3_SB_S9_S3_PS5_21rocsparse_index_base_SD_SD_SD_bbb.private_seg_size, 0
	.set _ZN9rocsparseL41csrgemm_numeric_fill_block_per_row_kernelILj512ELj32ELj1024ELj137ELj64EllfEEvT5_PKS1_S3_NS_24const_host_device_scalarIT6_EEPKT4_S3_PKS5_S9_S3_SB_S6_S9_S3_SB_S9_S3_PS5_21rocsparse_index_base_SD_SD_SD_bbb.uses_vcc, 1
	.set _ZN9rocsparseL41csrgemm_numeric_fill_block_per_row_kernelILj512ELj32ELj1024ELj137ELj64EllfEEvT5_PKS1_S3_NS_24const_host_device_scalarIT6_EEPKT4_S3_PKS5_S9_S3_SB_S6_S9_S3_SB_S9_S3_PS5_21rocsparse_index_base_SD_SD_SD_bbb.uses_flat_scratch, 0
	.set _ZN9rocsparseL41csrgemm_numeric_fill_block_per_row_kernelILj512ELj32ELj1024ELj137ELj64EllfEEvT5_PKS1_S3_NS_24const_host_device_scalarIT6_EEPKT4_S3_PKS5_S9_S3_SB_S6_S9_S3_SB_S9_S3_PS5_21rocsparse_index_base_SD_SD_SD_bbb.has_dyn_sized_stack, 0
	.set _ZN9rocsparseL41csrgemm_numeric_fill_block_per_row_kernelILj512ELj32ELj1024ELj137ELj64EllfEEvT5_PKS1_S3_NS_24const_host_device_scalarIT6_EEPKT4_S3_PKS5_S9_S3_SB_S6_S9_S3_SB_S9_S3_PS5_21rocsparse_index_base_SD_SD_SD_bbb.has_recursion, 0
	.set _ZN9rocsparseL41csrgemm_numeric_fill_block_per_row_kernelILj512ELj32ELj1024ELj137ELj64EllfEEvT5_PKS1_S3_NS_24const_host_device_scalarIT6_EEPKT4_S3_PKS5_S9_S3_SB_S6_S9_S3_SB_S9_S3_PS5_21rocsparse_index_base_SD_SD_SD_bbb.has_indirect_call, 0
	.section	.AMDGPU.csdata,"",@progbits
; Kernel info:
; codeLenInByte = 2748
; TotalNumSgprs: 62
; NumVgprs: 40
; NumAgprs: 0
; TotalNumVgprs: 40
; ScratchSize: 0
; MemoryBound: 0
; FloatMode: 240
; IeeeMode: 1
; LDSByteSize: 0 bytes/workgroup (compile time only)
; SGPRBlocks: 7
; VGPRBlocks: 4
; NumSGPRsForWavesPerEU: 62
; NumVGPRsForWavesPerEU: 40
; AccumOffset: 40
; Occupancy: 8
; WaveLimiterHint : 1
; COMPUTE_PGM_RSRC2:SCRATCH_EN: 0
; COMPUTE_PGM_RSRC2:USER_SGPR: 2
; COMPUTE_PGM_RSRC2:TRAP_HANDLER: 0
; COMPUTE_PGM_RSRC2:TGID_X_EN: 1
; COMPUTE_PGM_RSRC2:TGID_Y_EN: 0
; COMPUTE_PGM_RSRC2:TGID_Z_EN: 0
; COMPUTE_PGM_RSRC2:TIDIG_COMP_CNT: 0
; COMPUTE_PGM_RSRC3_GFX90A:ACCUM_OFFSET: 9
; COMPUTE_PGM_RSRC3_GFX90A:TG_SPLIT: 0
	.section	.text._ZN9rocsparseL41csrgemm_numeric_fill_block_per_row_kernelILj1024ELj32ELj2048ELj137ELj32EllfEEvT5_PKS1_S3_NS_24const_host_device_scalarIT6_EEPKT4_S3_PKS5_S9_S3_SB_S6_S9_S3_SB_S9_S3_PS5_21rocsparse_index_base_SD_SD_SD_bbb,"axG",@progbits,_ZN9rocsparseL41csrgemm_numeric_fill_block_per_row_kernelILj1024ELj32ELj2048ELj137ELj32EllfEEvT5_PKS1_S3_NS_24const_host_device_scalarIT6_EEPKT4_S3_PKS5_S9_S3_SB_S6_S9_S3_SB_S9_S3_PS5_21rocsparse_index_base_SD_SD_SD_bbb,comdat
	.globl	_ZN9rocsparseL41csrgemm_numeric_fill_block_per_row_kernelILj1024ELj32ELj2048ELj137ELj32EllfEEvT5_PKS1_S3_NS_24const_host_device_scalarIT6_EEPKT4_S3_PKS5_S9_S3_SB_S6_S9_S3_SB_S9_S3_PS5_21rocsparse_index_base_SD_SD_SD_bbb ; -- Begin function _ZN9rocsparseL41csrgemm_numeric_fill_block_per_row_kernelILj1024ELj32ELj2048ELj137ELj32EllfEEvT5_PKS1_S3_NS_24const_host_device_scalarIT6_EEPKT4_S3_PKS5_S9_S3_SB_S6_S9_S3_SB_S9_S3_PS5_21rocsparse_index_base_SD_SD_SD_bbb
	.p2align	8
	.type	_ZN9rocsparseL41csrgemm_numeric_fill_block_per_row_kernelILj1024ELj32ELj2048ELj137ELj32EllfEEvT5_PKS1_S3_NS_24const_host_device_scalarIT6_EEPKT4_S3_PKS5_S9_S3_SB_S6_S9_S3_SB_S9_S3_PS5_21rocsparse_index_base_SD_SD_SD_bbb,@function
_ZN9rocsparseL41csrgemm_numeric_fill_block_per_row_kernelILj1024ELj32ELj2048ELj137ELj32EllfEEvT5_PKS1_S3_NS_24const_host_device_scalarIT6_EEPKT4_S3_PKS5_S9_S3_SB_S6_S9_S3_SB_S9_S3_PS5_21rocsparse_index_base_SD_SD_SD_bbb: ; @_ZN9rocsparseL41csrgemm_numeric_fill_block_per_row_kernelILj1024ELj32ELj2048ELj137ELj32EllfEEvT5_PKS1_S3_NS_24const_host_device_scalarIT6_EEPKT4_S3_PKS5_S9_S3_SB_S6_S9_S3_SB_S9_S3_PS5_21rocsparse_index_base_SD_SD_SD_bbb
; %bb.0:
	s_load_dword s3, s[0:1], 0x98
	s_load_dwordx4 s[68:71], s[0:1], 0x88
	s_load_dwordx2 s[6:7], s[0:1], 0x18
	s_load_dwordx2 s[24:25], s[0:1], 0x50
	s_waitcnt lgkmcnt(0)
	s_bitcmp1_b32 s3, 0
	s_cselect_b64 s[4:5], -1, 0
	s_bitcmp1_b32 s3, 16
	s_cselect_b64 s[26:27], -1, 0
	s_xor_b64 s[8:9], s[4:5], -1
	s_or_b64 s[8:9], s[26:27], s[8:9]
	s_and_b64 vcc, exec, s[8:9]
	s_cbranch_vccnz .LBB88_2
; %bb.1:
	s_load_dword s6, s[6:7], 0x0
	s_waitcnt lgkmcnt(0)
	v_mov_b32_e32 v22, s6
	s_branch .LBB88_3
.LBB88_2:
	v_mov_b32_e32 v1, s6
	v_cndmask_b32_e64 v22, 0, v1, s[4:5]
.LBB88_3:
	s_load_dwordx2 s[72:73], s[0:1], 0x80
	s_load_dwordx8 s[60:67], s[0:1], 0x58
	s_load_dwordx4 s[16:19], s[0:1], 0x40
	s_load_dwordx4 s[20:23], s[0:1], 0x8
	s_load_dwordx8 s[8:15], s[0:1], 0x20
	s_bitcmp1_b32 s3, 8
	s_cselect_b64 s[6:7], -1, 0
	s_xor_b64 s[28:29], s[6:7], -1
	s_or_b64 s[26:27], s[26:27], s[28:29]
	s_and_b64 vcc, exec, s[26:27]
	s_cbranch_vccnz .LBB88_5
; %bb.4:
	s_load_dword s3, s[24:25], 0x0
	s_waitcnt lgkmcnt(0)
	v_mov_b32_e32 v20, s3
	s_branch .LBB88_6
.LBB88_5:
	v_mov_b32_e32 v1, s24
	v_cndmask_b32_e64 v20, 0, v1, s[6:7]
.LBB88_6:
	s_load_dwordx2 s[74:75], s[0:1], 0x0
	v_lshl_add_u32 v1, v0, 2, 0
	v_add_u32_e32 v1, 0x4000, v1
	v_or_b32_e32 v18, 0xfffffc00, v0
	v_lshl_add_u32 v19, v0, 3, 0
	s_mov_b64 s[0:1], 0
	s_waitcnt lgkmcnt(0)
	v_mov_b64_e32 v[6:7], s[74:75]
	v_mov_b32_e32 v2, 0
	v_mov_b32_e32 v3, v19
	;; [unrolled: 1-line block ×4, first 2 shown]
.LBB88_7:                               ; =>This Inner Loop Header: Depth=1
	v_add_co_u32_e32 v4, vcc, 0x400, v4
	s_xor_b64 s[24:25], vcc, -1
	s_and_b64 s[24:25], exec, s[24:25]
	ds_write_b64 v3, v[6:7]
	ds_write_b32 v5, v2
	v_add_u32_e32 v5, 0x1000, v5
	s_or_b64 s[0:1], s[24:25], s[0:1]
	v_add_u32_e32 v3, 0x2000, v3
	s_andn2_b64 exec, exec, s[0:1]
	s_cbranch_execnz .LBB88_7
; %bb.8:
	s_or_b64 exec, exec, s[0:1]
	s_waitcnt lgkmcnt(0)
	s_barrier
	s_load_dwordx2 s[0:1], s[20:21], 0x0
	s_mov_b32 s3, 0
	v_lshrrev_b32_e32 v21, 5, v0
	s_waitcnt lgkmcnt(0)
	s_lshl_b64 s[0:1], s[0:1], 3
	s_add_u32 s20, s22, s0
	s_addc_u32 s21, s23, s1
	s_lshl_b64 s[0:1], s[2:3], 3
	s_add_u32 s0, s20, s0
	s_addc_u32 s1, s21, s1
	s_load_dwordx2 s[76:77], s[0:1], 0x0
	s_and_b64 vcc, exec, s[4:5]
	s_cbranch_vccz .LBB88_28
; %bb.9:
	s_waitcnt lgkmcnt(0)
	s_lshl_b64 s[0:1], s[76:77], 3
	s_add_u32 s0, s8, s0
	s_addc_u32 s1, s9, s1
	s_load_dwordx4 s[20:23], s[0:1], 0x0
	v_subrev_co_u32_e32 v2, vcc, s68, v21
	s_nop 1
	v_subb_co_u32_e64 v3, s[0:1], 0, 0, vcc
	s_waitcnt lgkmcnt(0)
	s_sub_u32 s0, s22, s68
	s_subb_u32 s1, s23, 0
	v_lshl_add_u64 v[2:3], s[20:21], 0, v[2:3]
	v_cmp_gt_i64_e32 vcc, s[0:1], v[2:3]
	s_and_saveexec_b64 s[2:3], vcc
	s_cbranch_execz .LBB88_27
; %bb.10:
	v_and_b32_e32 v4, 31, v0
	v_subrev_co_u32_e32 v4, vcc, s69, v4
	s_mov_b32 s33, s69
	s_nop 0
	v_subb_co_u32_e64 v5, s[4:5], 0, 0, vcc
	s_mov_b64 s[4:5], 0
	s_movk_i32 s38, 0x89
	s_branch .LBB88_12
.LBB88_11:                              ;   in Loop: Header=BB88_12 Depth=1
	s_or_b64 exec, exec, s[8:9]
	v_lshl_add_u64 v[2:3], v[2:3], 0, 32
	v_cmp_le_i64_e32 vcc, s[0:1], v[2:3]
	s_or_b64 s[4:5], vcc, s[4:5]
	s_andn2_b64 exec, exec, s[4:5]
	s_cbranch_execz .LBB88_27
.LBB88_12:                              ; =>This Loop Header: Depth=1
                                        ;     Child Loop BB88_16 Depth 2
                                        ;       Child Loop BB88_19 Depth 3
	v_lshl_add_u64 v[6:7], v[2:3], 3, s[10:11]
	global_load_dwordx2 v[6:7], v[6:7], off
	s_waitcnt vmcnt(0)
	v_subrev_co_u32_e32 v6, vcc, s68, v6
	s_nop 1
	v_subbrev_co_u32_e32 v7, vcc, 0, v7, vcc
	v_lshl_add_u64 v[6:7], v[6:7], 3, s[14:15]
	global_load_dwordx4 v[8:11], v[6:7], off
	s_waitcnt vmcnt(0)
	v_subrev_co_u32_e32 v6, vcc, s33, v10
	s_nop 1
	v_subbrev_co_u32_e32 v7, vcc, 0, v11, vcc
	v_lshl_add_u64 v[8:9], v[8:9], 0, v[4:5]
	v_cmp_lt_i64_e32 vcc, v[8:9], v[6:7]
	s_and_saveexec_b64 s[8:9], vcc
	s_cbranch_execz .LBB88_11
; %bb.13:                               ;   in Loop: Header=BB88_12 Depth=1
	v_lshl_add_u64 v[10:11], v[2:3], 2, s[12:13]
	global_load_dword v10, v[10:11], off
	s_mov_b64 s[20:21], 0
	s_waitcnt vmcnt(0)
	v_mul_f32_e32 v23, v22, v10
	s_branch .LBB88_16
.LBB88_14:                              ;   in Loop: Header=BB88_16 Depth=2
	s_or_b64 exec, exec, s[24:25]
.LBB88_15:                              ;   in Loop: Header=BB88_16 Depth=2
	s_or_b64 exec, exec, s[22:23]
	s_waitcnt vmcnt(0)
	v_mul_f32_e32 v10, v23, v24
	v_lshl_add_u32 v11, v12, 2, 0
	ds_add_f32 v11, v10 offset:16384
	v_lshl_add_u64 v[8:9], v[8:9], 0, 32
	v_cmp_ge_i64_e32 vcc, v[8:9], v[6:7]
	s_or_b64 s[20:21], vcc, s[20:21]
	s_andn2_b64 exec, exec, s[20:21]
	s_cbranch_execz .LBB88_11
.LBB88_16:                              ;   Parent Loop BB88_12 Depth=1
                                        ; =>  This Loop Header: Depth=2
                                        ;       Child Loop BB88_19 Depth 3
	v_lshl_add_u64 v[10:11], v[8:9], 3, s[16:17]
	global_load_dwordx2 v[10:11], v[10:11], off
	v_lshl_add_u64 v[12:13], v[8:9], 2, s[18:19]
	global_load_dword v24, v[12:13], off
	s_waitcnt vmcnt(1)
	v_subrev_co_u32_e32 v10, vcc, s33, v10
	v_mul_lo_u32 v12, v10, s38
	v_and_b32_e32 v12, 0x7ff, v12
	v_lshl_add_u32 v25, v12, 3, 0
	ds_read_b64 v[16:17], v25
	v_subbrev_co_u32_e32 v11, vcc, 0, v11, vcc
	s_waitcnt lgkmcnt(0)
	v_cmp_ne_u64_e32 vcc, v[16:17], v[10:11]
	s_and_saveexec_b64 s[22:23], vcc
	s_cbranch_execz .LBB88_15
; %bb.17:                               ;   in Loop: Header=BB88_16 Depth=2
	s_mov_b64 s[24:25], 0
                                        ; implicit-def: $sgpr26_sgpr27
                                        ; implicit-def: $sgpr28_sgpr29
	s_branch .LBB88_19
.LBB88_18:                              ;   in Loop: Header=BB88_19 Depth=3
	s_or_b64 exec, exec, s[36:37]
	s_and_b64 s[30:31], exec, s[34:35]
	s_or_b64 s[24:25], s[30:31], s[24:25]
	s_andn2_b64 s[26:27], s[26:27], exec
	s_and_b64 s[30:31], s[28:29], exec
	s_or_b64 s[26:27], s[26:27], s[30:31]
	s_andn2_b64 exec, exec, s[24:25]
	s_cbranch_execz .LBB88_25
.LBB88_19:                              ;   Parent Loop BB88_12 Depth=1
                                        ;     Parent Loop BB88_16 Depth=2
                                        ; =>    This Inner Loop Header: Depth=3
	v_mov_b64_e32 v[14:15], v[12:13]
	v_cmp_ne_u64_e32 vcc, s[74:75], v[16:17]
	s_mov_b64 s[30:31], 0
                                        ; implicit-def: $vgpr12_vgpr13
	s_and_saveexec_b64 s[34:35], vcc
	s_xor_b64 s[34:35], exec, s[34:35]
; %bb.20:                               ;   in Loop: Header=BB88_19 Depth=3
	v_add_u32_e32 v12, 1, v14
	s_mov_b64 s[30:31], exec
	v_and_b32_e32 v12, 0x7ff, v12
                                        ; implicit-def: $vgpr25
; %bb.21:                               ;   in Loop: Header=BB88_19 Depth=3
	s_andn2_saveexec_b64 s[34:35], s[34:35]
	s_cbranch_execz .LBB88_23
; %bb.22:                               ;   in Loop: Header=BB88_19 Depth=3
	v_mov_b64_e32 v[12:13], s[74:75]
	ds_cmpst_rtn_b64 v[12:13], v25, v[12:13], v[10:11]
	s_andn2_b64 s[30:31], s[30:31], exec
	s_waitcnt lgkmcnt(0)
	v_cmp_ne_u64_e32 vcc, s[74:75], v[12:13]
	s_and_b64 s[36:37], vcc, exec
	s_or_b64 s[30:31], s[30:31], s[36:37]
	v_mov_b64_e32 v[12:13], v[14:15]
.LBB88_23:                              ;   in Loop: Header=BB88_19 Depth=3
	s_or_b64 exec, exec, s[34:35]
	s_mov_b64 s[34:35], -1
	s_or_b64 s[28:29], s[28:29], exec
                                        ; implicit-def: $vgpr25
                                        ; implicit-def: $vgpr16_vgpr17
	s_and_saveexec_b64 s[36:37], s[30:31]
	s_cbranch_execz .LBB88_18
; %bb.24:                               ;   in Loop: Header=BB88_19 Depth=3
	v_lshl_add_u32 v25, v12, 3, 0
	ds_read_b64 v[16:17], v25
	s_andn2_b64 s[28:29], s[28:29], exec
	s_waitcnt lgkmcnt(0)
	v_cmp_eq_u64_e32 vcc, v[16:17], v[10:11]
	s_orn2_b64 s[34:35], vcc, exec
	s_branch .LBB88_18
.LBB88_25:                              ;   in Loop: Header=BB88_16 Depth=2
	s_or_b64 exec, exec, s[24:25]
	s_and_saveexec_b64 s[24:25], s[26:27]
	s_xor_b64 s[24:25], exec, s[24:25]
	s_cbranch_execz .LBB88_14
; %bb.26:                               ;   in Loop: Header=BB88_16 Depth=2
	v_mov_b32_e32 v12, v14
	s_branch .LBB88_14
.LBB88_27:
	s_or_b64 exec, exec, s[2:3]
.LBB88_28:
	s_andn2_b64 vcc, exec, s[6:7]
	s_cbranch_vccnz .LBB88_45
; %bb.29:
	s_waitcnt lgkmcnt(0)
	s_lshl_b64 s[0:1], s[76:77], 3
	s_add_u32 s0, s60, s0
	s_addc_u32 s1, s61, s1
	s_load_dwordx4 s[4:7], s[0:1], 0x0
	v_subrev_co_u32_e32 v2, vcc, s71, v0
	s_waitcnt lgkmcnt(0)
	s_sub_u32 s0, s6, s71
	v_subb_co_u32_e64 v3, s[2:3], 0, 0, vcc
	s_subb_u32 s1, s7, 0
	v_lshl_add_u64 v[2:3], s[4:5], 0, v[2:3]
	v_cmp_gt_i64_e32 vcc, s[0:1], v[2:3]
	s_and_saveexec_b64 s[2:3], vcc
	s_cbranch_execz .LBB88_44
; %bb.30:
	s_mov_b32 s22, s71
	s_mov_b64 s[4:5], 0
	s_movk_i32 s23, 0x89
	s_mov_b64 s[6:7], 0x400
	s_branch .LBB88_33
.LBB88_31:                              ;   in Loop: Header=BB88_33 Depth=1
	s_or_b64 exec, exec, s[10:11]
.LBB88_32:                              ;   in Loop: Header=BB88_33 Depth=1
	s_or_b64 exec, exec, s[8:9]
	s_waitcnt vmcnt(0)
	v_mul_f32_e32 v4, v20, v12
	v_lshl_add_u32 v5, v6, 2, 0
	ds_add_f32 v5, v4 offset:16384
	v_lshl_add_u64 v[2:3], v[2:3], 0, s[6:7]
	v_cmp_le_i64_e32 vcc, s[0:1], v[2:3]
	s_or_b64 s[4:5], vcc, s[4:5]
	s_andn2_b64 exec, exec, s[4:5]
	s_cbranch_execz .LBB88_44
.LBB88_33:                              ; =>This Loop Header: Depth=1
                                        ;     Child Loop BB88_36 Depth 2
	v_lshl_add_u64 v[4:5], v[2:3], 3, s[62:63]
	global_load_dwordx2 v[4:5], v[4:5], off
	v_lshl_add_u64 v[6:7], v[2:3], 2, s[64:65]
	global_load_dword v12, v[6:7], off
	s_waitcnt vmcnt(1)
	v_subrev_co_u32_e32 v4, vcc, s22, v4
	v_mul_lo_u32 v6, v4, s23
	v_and_b32_e32 v6, 0x7ff, v6
	v_lshl_add_u32 v13, v6, 3, 0
	ds_read_b64 v[10:11], v13
	v_subbrev_co_u32_e32 v5, vcc, 0, v5, vcc
	s_waitcnt lgkmcnt(0)
	v_cmp_ne_u64_e32 vcc, v[10:11], v[4:5]
	s_and_saveexec_b64 s[8:9], vcc
	s_cbranch_execz .LBB88_32
; %bb.34:                               ;   in Loop: Header=BB88_33 Depth=1
	s_mov_b64 s[10:11], 0
                                        ; implicit-def: $sgpr12_sgpr13
                                        ; implicit-def: $sgpr14_sgpr15
	s_branch .LBB88_36
.LBB88_35:                              ;   in Loop: Header=BB88_36 Depth=2
	s_or_b64 exec, exec, s[20:21]
	s_and_b64 s[16:17], exec, s[18:19]
	s_or_b64 s[10:11], s[16:17], s[10:11]
	s_andn2_b64 s[12:13], s[12:13], exec
	s_and_b64 s[16:17], s[14:15], exec
	s_or_b64 s[12:13], s[12:13], s[16:17]
	s_andn2_b64 exec, exec, s[10:11]
	s_cbranch_execz .LBB88_42
.LBB88_36:                              ;   Parent Loop BB88_33 Depth=1
                                        ; =>  This Inner Loop Header: Depth=2
	v_mov_b64_e32 v[8:9], v[6:7]
	v_cmp_ne_u64_e32 vcc, s[74:75], v[10:11]
	s_mov_b64 s[16:17], 0
                                        ; implicit-def: $vgpr6_vgpr7
	s_and_saveexec_b64 s[18:19], vcc
	s_xor_b64 s[18:19], exec, s[18:19]
; %bb.37:                               ;   in Loop: Header=BB88_36 Depth=2
	v_add_u32_e32 v6, 1, v8
	s_mov_b64 s[16:17], exec
	v_and_b32_e32 v6, 0x7ff, v6
                                        ; implicit-def: $vgpr13
; %bb.38:                               ;   in Loop: Header=BB88_36 Depth=2
	s_andn2_saveexec_b64 s[18:19], s[18:19]
	s_cbranch_execz .LBB88_40
; %bb.39:                               ;   in Loop: Header=BB88_36 Depth=2
	v_mov_b64_e32 v[6:7], s[74:75]
	ds_cmpst_rtn_b64 v[6:7], v13, v[6:7], v[4:5]
	s_andn2_b64 s[16:17], s[16:17], exec
	s_waitcnt lgkmcnt(0)
	v_cmp_ne_u64_e32 vcc, s[74:75], v[6:7]
	s_and_b64 s[20:21], vcc, exec
	s_or_b64 s[16:17], s[16:17], s[20:21]
	v_mov_b64_e32 v[6:7], v[8:9]
.LBB88_40:                              ;   in Loop: Header=BB88_36 Depth=2
	s_or_b64 exec, exec, s[18:19]
	s_mov_b64 s[18:19], -1
	s_or_b64 s[14:15], s[14:15], exec
                                        ; implicit-def: $vgpr13
                                        ; implicit-def: $vgpr10_vgpr11
	s_and_saveexec_b64 s[20:21], s[16:17]
	s_cbranch_execz .LBB88_35
; %bb.41:                               ;   in Loop: Header=BB88_36 Depth=2
	v_lshl_add_u32 v13, v6, 3, 0
	ds_read_b64 v[10:11], v13
	s_andn2_b64 s[14:15], s[14:15], exec
	s_waitcnt lgkmcnt(0)
	v_cmp_eq_u64_e32 vcc, v[10:11], v[4:5]
	s_orn2_b64 s[18:19], vcc, exec
	s_branch .LBB88_35
.LBB88_42:                              ;   in Loop: Header=BB88_33 Depth=1
	s_or_b64 exec, exec, s[10:11]
	s_and_saveexec_b64 s[10:11], s[12:13]
	s_xor_b64 s[10:11], exec, s[10:11]
	s_cbranch_execz .LBB88_31
; %bb.43:                               ;   in Loop: Header=BB88_33 Depth=1
	v_mov_b32_e32 v6, v8
	s_branch .LBB88_31
.LBB88_44:
	s_or_b64 exec, exec, s[2:3]
.LBB88_45:
	s_movk_i32 s33, 0x1ff
	v_cmp_lt_u32_e64 s[34:35], s33, v0
	s_movk_i32 s33, 0x21f
	v_cmp_lt_u32_e64 s[36:37], s33, v0
	;; [unrolled: 2-line block ×12, first 2 shown]
	s_movk_i32 s33, 0x37f
	v_mbcnt_lo_u32_b32 v2, -1, 0
	v_cmp_lt_u32_e64 s[58:59], s33, v0
	s_movk_i32 s33, 0x39f
	v_mbcnt_hi_u32_b32 v2, -1, v2
	v_cmp_lt_u32_e64 s[60:61], s33, v0
	s_movk_i32 s33, 0x3bf
	v_sub_u32_e32 v2, 63, v2
	s_movk_i32 s0, 0x3ff
	s_movk_i32 s6, 0x5f
	;; [unrolled: 1-line block ×14, first 2 shown]
	v_cmp_lt_u32_e64 s[62:63], s33, v0
	s_movk_i32 s33, 0x3df
	v_mov_b32_e32 v3, 0
	v_lshrrev_b64 v[4:5], v2, -1
	v_lshl_add_u32 v12, v21, 3, 0
	v_cmp_eq_u32_e64 s[0:1], s0, v0
	v_cmp_lt_u32_e64 s[2:3], 31, v0
	v_cmp_lt_u32_e64 s[4:5], 63, v0
	;; [unrolled: 1-line block ×16, first 2 shown]
	s_mov_b64 s[68:69], 0
	v_mov_b64_e32 v[6:7], 0
	s_waitcnt lgkmcnt(0)
	s_barrier
	s_branch .LBB88_47
.LBB88_46:                              ;   in Loop: Header=BB88_47 Depth=1
	s_or_b64 exec, exec, s[78:79]
	s_waitcnt lgkmcnt(0)
	s_barrier
	ds_read_b64 v[8:9], v3 offset:24824
	v_add_co_u32_e32 v18, vcc, 0x400, v18
	s_xor_b64 s[78:79], vcc, -1
	s_and_b64 s[78:79], exec, s[78:79]
	v_add_u32_e32 v1, 0x1000, v1
	s_waitcnt lgkmcnt(0)
	v_lshl_add_u64 v[6:7], v[8:9], 0, v[6:7]
	s_or_b64 s[68:69], s[78:79], s[68:69]
	v_add_u32_e32 v19, 0x2000, v19
	s_andn2_b64 exec, exec, s[68:69]
	s_cbranch_execz .LBB88_113
.LBB88_47:                              ; =>This Inner Loop Header: Depth=1
	ds_read_b64 v[8:9], v19
	ds_read_b32 v13, v1
	s_waitcnt lgkmcnt(0)
	s_barrier
	v_cmp_gt_i64_e32 vcc, s[74:75], v[8:9]
	s_bcnt1_i32_b64 s33, vcc
	v_mov_b32_e32 v2, s33
	v_and_b32_e32 v11, vcc_lo, v4
	v_and_b32_e32 v10, vcc_hi, v5
	v_bcnt_u32_b32 v11, v11, 0
	v_bcnt_u32_b32 v10, v10, v11
	ds_write_b64 v12, v[2:3] offset:24576
	s_waitcnt lgkmcnt(0)
	s_barrier
	s_and_saveexec_b64 s[78:79], s[2:3]
	s_cbranch_execnz .LBB88_80
; %bb.48:                               ;   in Loop: Header=BB88_47 Depth=1
	s_or_b64 exec, exec, s[78:79]
	s_and_saveexec_b64 s[78:79], s[4:5]
	s_cbranch_execnz .LBB88_81
.LBB88_49:                              ;   in Loop: Header=BB88_47 Depth=1
	s_or_b64 exec, exec, s[78:79]
	s_and_saveexec_b64 s[78:79], s[6:7]
	s_cbranch_execnz .LBB88_82
.LBB88_50:                              ;   in Loop: Header=BB88_47 Depth=1
	s_or_b64 exec, exec, s[78:79]
	s_and_saveexec_b64 s[78:79], s[8:9]
	s_cbranch_execnz .LBB88_83
.LBB88_51:                              ;   in Loop: Header=BB88_47 Depth=1
	s_or_b64 exec, exec, s[78:79]
	s_and_saveexec_b64 s[78:79], s[10:11]
	s_cbranch_execnz .LBB88_84
.LBB88_52:                              ;   in Loop: Header=BB88_47 Depth=1
	s_or_b64 exec, exec, s[78:79]
	s_and_saveexec_b64 s[78:79], s[12:13]
	s_cbranch_execnz .LBB88_85
.LBB88_53:                              ;   in Loop: Header=BB88_47 Depth=1
	s_or_b64 exec, exec, s[78:79]
	s_and_saveexec_b64 s[78:79], s[14:15]
	s_cbranch_execnz .LBB88_86
.LBB88_54:                              ;   in Loop: Header=BB88_47 Depth=1
	s_or_b64 exec, exec, s[78:79]
	s_and_saveexec_b64 s[78:79], s[16:17]
	s_cbranch_execnz .LBB88_87
.LBB88_55:                              ;   in Loop: Header=BB88_47 Depth=1
	s_or_b64 exec, exec, s[78:79]
	s_and_saveexec_b64 s[78:79], s[18:19]
	s_cbranch_execnz .LBB88_88
.LBB88_56:                              ;   in Loop: Header=BB88_47 Depth=1
	s_or_b64 exec, exec, s[78:79]
	s_and_saveexec_b64 s[78:79], s[20:21]
	s_cbranch_execnz .LBB88_89
.LBB88_57:                              ;   in Loop: Header=BB88_47 Depth=1
	s_or_b64 exec, exec, s[78:79]
	s_and_saveexec_b64 s[78:79], s[22:23]
	s_cbranch_execnz .LBB88_90
.LBB88_58:                              ;   in Loop: Header=BB88_47 Depth=1
	s_or_b64 exec, exec, s[78:79]
	s_and_saveexec_b64 s[78:79], s[24:25]
	s_cbranch_execnz .LBB88_91
.LBB88_59:                              ;   in Loop: Header=BB88_47 Depth=1
	s_or_b64 exec, exec, s[78:79]
	s_and_saveexec_b64 s[78:79], s[26:27]
	s_cbranch_execnz .LBB88_92
.LBB88_60:                              ;   in Loop: Header=BB88_47 Depth=1
	s_or_b64 exec, exec, s[78:79]
	s_and_saveexec_b64 s[78:79], s[28:29]
	s_cbranch_execnz .LBB88_93
.LBB88_61:                              ;   in Loop: Header=BB88_47 Depth=1
	s_or_b64 exec, exec, s[78:79]
	s_and_saveexec_b64 s[78:79], s[30:31]
	s_cbranch_execnz .LBB88_94
.LBB88_62:                              ;   in Loop: Header=BB88_47 Depth=1
	s_or_b64 exec, exec, s[78:79]
	s_and_saveexec_b64 s[78:79], s[34:35]
	s_cbranch_execnz .LBB88_95
.LBB88_63:                              ;   in Loop: Header=BB88_47 Depth=1
	s_or_b64 exec, exec, s[78:79]
	s_and_saveexec_b64 s[78:79], s[36:37]
	s_cbranch_execnz .LBB88_96
.LBB88_64:                              ;   in Loop: Header=BB88_47 Depth=1
	s_or_b64 exec, exec, s[78:79]
	s_and_saveexec_b64 s[78:79], s[38:39]
	s_cbranch_execnz .LBB88_97
.LBB88_65:                              ;   in Loop: Header=BB88_47 Depth=1
	s_or_b64 exec, exec, s[78:79]
	s_and_saveexec_b64 s[78:79], s[40:41]
	s_cbranch_execnz .LBB88_98
.LBB88_66:                              ;   in Loop: Header=BB88_47 Depth=1
	s_or_b64 exec, exec, s[78:79]
	s_and_saveexec_b64 s[78:79], s[42:43]
	s_cbranch_execnz .LBB88_99
.LBB88_67:                              ;   in Loop: Header=BB88_47 Depth=1
	s_or_b64 exec, exec, s[78:79]
	s_and_saveexec_b64 s[78:79], s[44:45]
	s_cbranch_execnz .LBB88_100
.LBB88_68:                              ;   in Loop: Header=BB88_47 Depth=1
	s_or_b64 exec, exec, s[78:79]
	s_and_saveexec_b64 s[78:79], s[46:47]
	s_cbranch_execnz .LBB88_101
.LBB88_69:                              ;   in Loop: Header=BB88_47 Depth=1
	s_or_b64 exec, exec, s[78:79]
	s_and_saveexec_b64 s[78:79], s[48:49]
	s_cbranch_execnz .LBB88_102
.LBB88_70:                              ;   in Loop: Header=BB88_47 Depth=1
	s_or_b64 exec, exec, s[78:79]
	s_and_saveexec_b64 s[78:79], s[50:51]
	s_cbranch_execnz .LBB88_103
.LBB88_71:                              ;   in Loop: Header=BB88_47 Depth=1
	s_or_b64 exec, exec, s[78:79]
	s_and_saveexec_b64 s[78:79], s[52:53]
	s_cbranch_execnz .LBB88_104
.LBB88_72:                              ;   in Loop: Header=BB88_47 Depth=1
	s_or_b64 exec, exec, s[78:79]
	s_and_saveexec_b64 s[78:79], s[54:55]
	s_cbranch_execnz .LBB88_105
.LBB88_73:                              ;   in Loop: Header=BB88_47 Depth=1
	s_or_b64 exec, exec, s[78:79]
	s_and_saveexec_b64 s[78:79], s[56:57]
	s_cbranch_execnz .LBB88_106
.LBB88_74:                              ;   in Loop: Header=BB88_47 Depth=1
	s_or_b64 exec, exec, s[78:79]
	s_and_saveexec_b64 s[78:79], s[58:59]
	s_cbranch_execnz .LBB88_107
.LBB88_75:                              ;   in Loop: Header=BB88_47 Depth=1
	s_or_b64 exec, exec, s[78:79]
	s_and_saveexec_b64 s[78:79], s[60:61]
	s_cbranch_execnz .LBB88_108
.LBB88_76:                              ;   in Loop: Header=BB88_47 Depth=1
	s_or_b64 exec, exec, s[78:79]
	s_and_saveexec_b64 s[78:79], s[62:63]
	s_cbranch_execnz .LBB88_109
.LBB88_77:                              ;   in Loop: Header=BB88_47 Depth=1
	s_or_b64 exec, exec, s[78:79]
	s_and_saveexec_b64 s[78:79], s[64:65]
	s_cbranch_execnz .LBB88_110
.LBB88_78:                              ;   in Loop: Header=BB88_47 Depth=1
	s_or_b64 exec, exec, s[78:79]
	v_ashrrev_i32_e32 v11, 31, v10
	s_and_saveexec_b64 s[78:79], vcc
	s_cbranch_execnz .LBB88_111
.LBB88_79:                              ;   in Loop: Header=BB88_47 Depth=1
	s_or_b64 exec, exec, s[78:79]
	s_and_saveexec_b64 s[78:79], s[0:1]
	s_cbranch_execz .LBB88_46
	s_branch .LBB88_112
.LBB88_80:                              ;   in Loop: Header=BB88_47 Depth=1
	ds_read_b32 v2, v3 offset:24576
	s_waitcnt lgkmcnt(0)
	v_add_u32_e32 v10, v2, v10
	s_or_b64 exec, exec, s[78:79]
	s_and_saveexec_b64 s[78:79], s[4:5]
	s_cbranch_execz .LBB88_49
.LBB88_81:                              ;   in Loop: Header=BB88_47 Depth=1
	ds_read_b32 v2, v3 offset:24584
	s_waitcnt lgkmcnt(0)
	v_add_u32_e32 v10, v10, v2
	s_or_b64 exec, exec, s[78:79]
	s_and_saveexec_b64 s[78:79], s[6:7]
	s_cbranch_execz .LBB88_50
.LBB88_82:                              ;   in Loop: Header=BB88_47 Depth=1
	ds_read_b32 v2, v3 offset:24592
	s_waitcnt lgkmcnt(0)
	v_add_u32_e32 v10, v10, v2
	s_or_b64 exec, exec, s[78:79]
	s_and_saveexec_b64 s[78:79], s[8:9]
	s_cbranch_execz .LBB88_51
.LBB88_83:                              ;   in Loop: Header=BB88_47 Depth=1
	ds_read_b32 v2, v3 offset:24600
	s_waitcnt lgkmcnt(0)
	v_add_u32_e32 v10, v10, v2
	s_or_b64 exec, exec, s[78:79]
	s_and_saveexec_b64 s[78:79], s[10:11]
	s_cbranch_execz .LBB88_52
.LBB88_84:                              ;   in Loop: Header=BB88_47 Depth=1
	ds_read_b32 v2, v3 offset:24608
	s_waitcnt lgkmcnt(0)
	v_add_u32_e32 v10, v10, v2
	s_or_b64 exec, exec, s[78:79]
	s_and_saveexec_b64 s[78:79], s[12:13]
	s_cbranch_execz .LBB88_53
.LBB88_85:                              ;   in Loop: Header=BB88_47 Depth=1
	ds_read_b32 v2, v3 offset:24616
	s_waitcnt lgkmcnt(0)
	v_add_u32_e32 v10, v10, v2
	s_or_b64 exec, exec, s[78:79]
	s_and_saveexec_b64 s[78:79], s[14:15]
	s_cbranch_execz .LBB88_54
.LBB88_86:                              ;   in Loop: Header=BB88_47 Depth=1
	ds_read_b32 v2, v3 offset:24624
	s_waitcnt lgkmcnt(0)
	v_add_u32_e32 v10, v10, v2
	s_or_b64 exec, exec, s[78:79]
	s_and_saveexec_b64 s[78:79], s[16:17]
	s_cbranch_execz .LBB88_55
.LBB88_87:                              ;   in Loop: Header=BB88_47 Depth=1
	ds_read_b32 v2, v3 offset:24632
	s_waitcnt lgkmcnt(0)
	v_add_u32_e32 v10, v10, v2
	s_or_b64 exec, exec, s[78:79]
	s_and_saveexec_b64 s[78:79], s[18:19]
	s_cbranch_execz .LBB88_56
.LBB88_88:                              ;   in Loop: Header=BB88_47 Depth=1
	ds_read_b32 v2, v3 offset:24640
	s_waitcnt lgkmcnt(0)
	v_add_u32_e32 v10, v10, v2
	s_or_b64 exec, exec, s[78:79]
	s_and_saveexec_b64 s[78:79], s[20:21]
	s_cbranch_execz .LBB88_57
.LBB88_89:                              ;   in Loop: Header=BB88_47 Depth=1
	ds_read_b32 v2, v3 offset:24648
	s_waitcnt lgkmcnt(0)
	v_add_u32_e32 v10, v10, v2
	s_or_b64 exec, exec, s[78:79]
	s_and_saveexec_b64 s[78:79], s[22:23]
	s_cbranch_execz .LBB88_58
.LBB88_90:                              ;   in Loop: Header=BB88_47 Depth=1
	ds_read_b32 v2, v3 offset:24656
	s_waitcnt lgkmcnt(0)
	v_add_u32_e32 v10, v10, v2
	s_or_b64 exec, exec, s[78:79]
	s_and_saveexec_b64 s[78:79], s[24:25]
	s_cbranch_execz .LBB88_59
.LBB88_91:                              ;   in Loop: Header=BB88_47 Depth=1
	ds_read_b32 v2, v3 offset:24664
	s_waitcnt lgkmcnt(0)
	v_add_u32_e32 v10, v10, v2
	s_or_b64 exec, exec, s[78:79]
	s_and_saveexec_b64 s[78:79], s[26:27]
	s_cbranch_execz .LBB88_60
.LBB88_92:                              ;   in Loop: Header=BB88_47 Depth=1
	ds_read_b32 v2, v3 offset:24672
	s_waitcnt lgkmcnt(0)
	v_add_u32_e32 v10, v10, v2
	s_or_b64 exec, exec, s[78:79]
	s_and_saveexec_b64 s[78:79], s[28:29]
	s_cbranch_execz .LBB88_61
.LBB88_93:                              ;   in Loop: Header=BB88_47 Depth=1
	ds_read_b32 v2, v3 offset:24680
	s_waitcnt lgkmcnt(0)
	v_add_u32_e32 v10, v10, v2
	s_or_b64 exec, exec, s[78:79]
	s_and_saveexec_b64 s[78:79], s[30:31]
	s_cbranch_execz .LBB88_62
.LBB88_94:                              ;   in Loop: Header=BB88_47 Depth=1
	ds_read_b32 v2, v3 offset:24688
	s_waitcnt lgkmcnt(0)
	v_add_u32_e32 v10, v10, v2
	s_or_b64 exec, exec, s[78:79]
	s_and_saveexec_b64 s[78:79], s[34:35]
	s_cbranch_execz .LBB88_63
.LBB88_95:                              ;   in Loop: Header=BB88_47 Depth=1
	ds_read_b32 v2, v3 offset:24696
	s_waitcnt lgkmcnt(0)
	v_add_u32_e32 v10, v10, v2
	s_or_b64 exec, exec, s[78:79]
	s_and_saveexec_b64 s[78:79], s[36:37]
	s_cbranch_execz .LBB88_64
.LBB88_96:                              ;   in Loop: Header=BB88_47 Depth=1
	ds_read_b32 v2, v3 offset:24704
	s_waitcnt lgkmcnt(0)
	v_add_u32_e32 v10, v10, v2
	s_or_b64 exec, exec, s[78:79]
	s_and_saveexec_b64 s[78:79], s[38:39]
	s_cbranch_execz .LBB88_65
.LBB88_97:                              ;   in Loop: Header=BB88_47 Depth=1
	ds_read_b32 v2, v3 offset:24712
	s_waitcnt lgkmcnt(0)
	v_add_u32_e32 v10, v10, v2
	s_or_b64 exec, exec, s[78:79]
	s_and_saveexec_b64 s[78:79], s[40:41]
	s_cbranch_execz .LBB88_66
.LBB88_98:                              ;   in Loop: Header=BB88_47 Depth=1
	ds_read_b32 v2, v3 offset:24720
	s_waitcnt lgkmcnt(0)
	v_add_u32_e32 v10, v10, v2
	s_or_b64 exec, exec, s[78:79]
	s_and_saveexec_b64 s[78:79], s[42:43]
	s_cbranch_execz .LBB88_67
.LBB88_99:                              ;   in Loop: Header=BB88_47 Depth=1
	ds_read_b32 v2, v3 offset:24728
	s_waitcnt lgkmcnt(0)
	v_add_u32_e32 v10, v10, v2
	s_or_b64 exec, exec, s[78:79]
	s_and_saveexec_b64 s[78:79], s[44:45]
	s_cbranch_execz .LBB88_68
.LBB88_100:                             ;   in Loop: Header=BB88_47 Depth=1
	ds_read_b32 v2, v3 offset:24736
	s_waitcnt lgkmcnt(0)
	v_add_u32_e32 v10, v10, v2
	s_or_b64 exec, exec, s[78:79]
	s_and_saveexec_b64 s[78:79], s[46:47]
	s_cbranch_execz .LBB88_69
.LBB88_101:                             ;   in Loop: Header=BB88_47 Depth=1
	ds_read_b32 v2, v3 offset:24744
	s_waitcnt lgkmcnt(0)
	v_add_u32_e32 v10, v10, v2
	s_or_b64 exec, exec, s[78:79]
	s_and_saveexec_b64 s[78:79], s[48:49]
	s_cbranch_execz .LBB88_70
.LBB88_102:                             ;   in Loop: Header=BB88_47 Depth=1
	ds_read_b32 v2, v3 offset:24752
	s_waitcnt lgkmcnt(0)
	v_add_u32_e32 v10, v10, v2
	s_or_b64 exec, exec, s[78:79]
	s_and_saveexec_b64 s[78:79], s[50:51]
	s_cbranch_execz .LBB88_71
.LBB88_103:                             ;   in Loop: Header=BB88_47 Depth=1
	ds_read_b32 v2, v3 offset:24760
	s_waitcnt lgkmcnt(0)
	v_add_u32_e32 v10, v10, v2
	s_or_b64 exec, exec, s[78:79]
	s_and_saveexec_b64 s[78:79], s[52:53]
	s_cbranch_execz .LBB88_72
.LBB88_104:                             ;   in Loop: Header=BB88_47 Depth=1
	ds_read_b32 v2, v3 offset:24768
	s_waitcnt lgkmcnt(0)
	v_add_u32_e32 v10, v10, v2
	s_or_b64 exec, exec, s[78:79]
	s_and_saveexec_b64 s[78:79], s[54:55]
	s_cbranch_execz .LBB88_73
.LBB88_105:                             ;   in Loop: Header=BB88_47 Depth=1
	ds_read_b32 v2, v3 offset:24776
	s_waitcnt lgkmcnt(0)
	v_add_u32_e32 v10, v10, v2
	s_or_b64 exec, exec, s[78:79]
	s_and_saveexec_b64 s[78:79], s[56:57]
	s_cbranch_execz .LBB88_74
.LBB88_106:                             ;   in Loop: Header=BB88_47 Depth=1
	ds_read_b32 v2, v3 offset:24784
	s_waitcnt lgkmcnt(0)
	v_add_u32_e32 v10, v10, v2
	s_or_b64 exec, exec, s[78:79]
	s_and_saveexec_b64 s[78:79], s[58:59]
	s_cbranch_execz .LBB88_75
.LBB88_107:                             ;   in Loop: Header=BB88_47 Depth=1
	ds_read_b32 v2, v3 offset:24792
	s_waitcnt lgkmcnt(0)
	v_add_u32_e32 v10, v10, v2
	s_or_b64 exec, exec, s[78:79]
	s_and_saveexec_b64 s[78:79], s[60:61]
	s_cbranch_execz .LBB88_76
.LBB88_108:                             ;   in Loop: Header=BB88_47 Depth=1
	ds_read_b32 v2, v3 offset:24800
	s_waitcnt lgkmcnt(0)
	v_add_u32_e32 v10, v10, v2
	s_or_b64 exec, exec, s[78:79]
	s_and_saveexec_b64 s[78:79], s[62:63]
	s_cbranch_execz .LBB88_77
.LBB88_109:                             ;   in Loop: Header=BB88_47 Depth=1
	ds_read_b32 v2, v3 offset:24808
	s_waitcnt lgkmcnt(0)
	v_add_u32_e32 v10, v10, v2
	s_or_b64 exec, exec, s[78:79]
	s_and_saveexec_b64 s[78:79], s[64:65]
	s_cbranch_execz .LBB88_78
.LBB88_110:                             ;   in Loop: Header=BB88_47 Depth=1
	ds_read_b32 v2, v3 offset:24816
	s_waitcnt lgkmcnt(0)
	v_add_u32_e32 v10, v10, v2
	s_or_b64 exec, exec, s[78:79]
	v_ashrrev_i32_e32 v11, 31, v10
	s_and_saveexec_b64 s[78:79], vcc
	s_cbranch_execz .LBB88_79
.LBB88_111:                             ;   in Loop: Header=BB88_47 Depth=1
	v_add3_u32 v2, v6, -1, v10
	v_lshl_add_u32 v2, v2, 3, 0
	v_add_u32_e32 v14, v6, v10
	v_lshl_add_u32 v14, v14, 2, 0
	ds_write_b64 v2, v[8:9]
	ds_write_b32 v14, v13 offset:16380
	s_or_b64 exec, exec, s[78:79]
	s_and_saveexec_b64 s[78:79], s[0:1]
	s_cbranch_execz .LBB88_46
.LBB88_112:                             ;   in Loop: Header=BB88_47 Depth=1
	ds_write_b64 v3, v[10:11] offset:24824
	s_branch .LBB88_46
.LBB88_113:
	s_or_b64 exec, exec, s[68:69]
	s_lshl_b64 s[0:1], s[76:77], 3
	s_add_u32 s4, s66, s0
	s_addc_u32 s5, s67, s1
	s_load_dwordx4 s[0:3], s[4:5], 0x0
	v_mov_b32_e32 v1, 0
	s_waitcnt lgkmcnt(0)
	s_sub_u32 s4, s2, s0
	s_subb_u32 s5, s3, s1
	v_cmp_gt_i64_e32 vcc, s[4:5], v[0:1]
	s_and_saveexec_b64 s[6:7], vcc
	s_cbranch_execz .LBB88_123
; %bb.114:
	s_sub_u32 s8, s0, s70
	s_subb_u32 s9, s1, 0
	s_and_b32 s6, s4, 7
	s_sub_u32 s0, s0, s2
	s_mov_b32 s7, 0
	s_subb_u32 s1, s1, s3
	s_and_b32 s10, s4, -8
	s_cmp_lg_u64 s[6:7], 0
	v_cmp_lt_u64_e64 s[0:1], s[0:1], -7
	s_cselect_b64 s[2:3], -1, 0
	s_mov_b32 s11, s5
	v_cndmask_b32_e64 v2, 0, 1, s[0:1]
	v_cmp_ne_u32_e64 s[0:1], 1, v2
	v_cndmask_b32_e64 v2, 0, 1, s[2:3]
	s_mov_b64 s[12:13], 0
	v_cmp_ne_u32_e64 s[2:3], 1, v2
	s_mov_b64 s[14:15], 0x400
	s_branch .LBB88_116
.LBB88_115:                             ;   in Loop: Header=BB88_116 Depth=1
	v_lshl_add_u64 v[0:1], v[0:1], 0, s[14:15]
	v_cmp_le_i64_e32 vcc, s[4:5], v[0:1]
	s_waitcnt lgkmcnt(1)
	v_lshl_add_u64 v[2:3], v[4:5], 2, s[72:73]
	s_or_b64 s[12:13], vcc, s[12:13]
	s_waitcnt lgkmcnt(0)
	global_store_dword v[2:3], v6, off
	s_andn2_b64 exec, exec, s[12:13]
	s_cbranch_execz .LBB88_123
.LBB88_116:                             ; =>This Loop Header: Depth=1
                                        ;     Child Loop BB88_118 Depth 2
                                        ;     Child Loop BB88_122 Depth 2
	v_lshl_add_u32 v2, v0, 3, 0
	v_lshlrev_b32_e32 v3, 2, v0
	v_sub_u32_e32 v4, v2, v3
	ds_read_b64 v[2:3], v2
	ds_read_b32 v6, v4 offset:16384
	s_and_b64 vcc, exec, s[0:1]
	v_mov_b64_e32 v[4:5], s[8:9]
	s_mov_b64 s[16:17], 0
	s_cbranch_vccnz .LBB88_120
; %bb.117:                              ;   in Loop: Header=BB88_116 Depth=1
	s_mov_b32 s18, 0
	v_mov_b64_e32 v[4:5], s[8:9]
.LBB88_118:                             ;   Parent Loop BB88_116 Depth=1
                                        ; =>  This Inner Loop Header: Depth=2
	v_mov_b32_e32 v7, s18
	ds_read2_b64 v[8:11], v7 offset1:1
	ds_read2_b64 v[12:15], v7 offset0:2 offset1:3
	ds_read2_b64 v[16:19], v7 offset0:4 offset1:5
	;; [unrolled: 1-line block ×3, first 2 shown]
	v_mov_b32_e32 v25, s7
	s_waitcnt lgkmcnt(3)
	v_cmp_gt_i64_e32 vcc, v[2:3], v[8:9]
	v_mov_b32_e32 v27, s7
	v_mov_b32_e32 v29, s7
	v_cndmask_b32_e64 v24, 0, 1, vcc
	v_cmp_gt_i64_e32 vcc, v[2:3], v[10:11]
	v_lshl_add_u64 v[4:5], v[4:5], 0, v[24:25]
	v_mov_b32_e32 v31, s7
	v_cndmask_b32_e64 v26, 0, 1, vcc
	s_waitcnt lgkmcnt(2)
	v_cmp_gt_i64_e32 vcc, v[2:3], v[12:13]
	v_lshl_add_u64 v[4:5], v[4:5], 0, v[26:27]
	v_mov_b32_e32 v33, s7
	v_cndmask_b32_e64 v28, 0, 1, vcc
	v_cmp_gt_i64_e32 vcc, v[2:3], v[14:15]
	v_lshl_add_u64 v[4:5], v[4:5], 0, v[28:29]
	v_mov_b32_e32 v35, s7
	v_cndmask_b32_e64 v30, 0, 1, vcc
	s_waitcnt lgkmcnt(1)
	v_cmp_gt_i64_e32 vcc, v[2:3], v[16:17]
	v_lshl_add_u64 v[4:5], v[4:5], 0, v[30:31]
	v_mov_b32_e32 v37, s7
	v_cndmask_b32_e64 v32, 0, 1, vcc
	v_cmp_gt_i64_e32 vcc, v[2:3], v[18:19]
	v_lshl_add_u64 v[4:5], v[4:5], 0, v[32:33]
	s_add_u32 s16, s16, 8
	v_cndmask_b32_e64 v34, 0, 1, vcc
	s_waitcnt lgkmcnt(0)
	v_cmp_gt_i64_e32 vcc, v[2:3], v[20:21]
	v_lshl_add_u64 v[4:5], v[4:5], 0, v[34:35]
	v_mov_b32_e32 v39, s7
	v_cndmask_b32_e64 v36, 0, 1, vcc
	v_cmp_gt_i64_e32 vcc, v[2:3], v[22:23]
	s_addc_u32 s17, s17, 0
	s_add_i32 s18, s18, 64
	v_cndmask_b32_e64 v38, 0, 1, vcc
	v_lshl_add_u64 v[4:5], v[4:5], 0, v[36:37]
	s_cmp_eq_u64 s[10:11], s[16:17]
	v_lshl_add_u64 v[4:5], v[4:5], 0, v[38:39]
	s_cbranch_scc0 .LBB88_118
; %bb.119:                              ;   in Loop: Header=BB88_116 Depth=1
	s_mov_b64 s[16:17], s[10:11]
.LBB88_120:                             ;   in Loop: Header=BB88_116 Depth=1
	s_and_b64 vcc, exec, s[2:3]
	s_cbranch_vccnz .LBB88_115
; %bb.121:                              ;   in Loop: Header=BB88_116 Depth=1
	s_lshl_b32 s16, s16, 3
	s_add_i32 s18, s16, 0
	s_mov_b64 s[16:17], s[6:7]
.LBB88_122:                             ;   Parent Loop BB88_116 Depth=1
                                        ; =>  This Inner Loop Header: Depth=2
	v_mov_b32_e32 v7, s18
	ds_read_b64 v[10:11], v7
	s_add_i32 s18, s18, 8
	s_add_u32 s16, s16, -1
	v_mov_b32_e32 v9, s7
	s_addc_u32 s17, s17, -1
	s_waitcnt lgkmcnt(0)
	v_cmp_gt_i64_e32 vcc, v[2:3], v[10:11]
	s_cmp_lg_u64 s[16:17], 0
	s_nop 0
	v_cndmask_b32_e64 v8, 0, 1, vcc
	v_lshl_add_u64 v[4:5], v[4:5], 0, v[8:9]
	s_cbranch_scc1 .LBB88_122
	s_branch .LBB88_115
.LBB88_123:
	s_endpgm
	.section	.rodata,"a",@progbits
	.p2align	6, 0x0
	.amdhsa_kernel _ZN9rocsparseL41csrgemm_numeric_fill_block_per_row_kernelILj1024ELj32ELj2048ELj137ELj32EllfEEvT5_PKS1_S3_NS_24const_host_device_scalarIT6_EEPKT4_S3_PKS5_S9_S3_SB_S6_S9_S3_SB_S9_S3_PS5_21rocsparse_index_base_SD_SD_SD_bbb
		.amdhsa_group_segment_fixed_size 0
		.amdhsa_private_segment_fixed_size 0
		.amdhsa_kernarg_size 156
		.amdhsa_user_sgpr_count 2
		.amdhsa_user_sgpr_dispatch_ptr 0
		.amdhsa_user_sgpr_queue_ptr 0
		.amdhsa_user_sgpr_kernarg_segment_ptr 1
		.amdhsa_user_sgpr_dispatch_id 0
		.amdhsa_user_sgpr_kernarg_preload_length 0
		.amdhsa_user_sgpr_kernarg_preload_offset 0
		.amdhsa_user_sgpr_private_segment_size 0
		.amdhsa_uses_dynamic_stack 0
		.amdhsa_enable_private_segment 0
		.amdhsa_system_sgpr_workgroup_id_x 1
		.amdhsa_system_sgpr_workgroup_id_y 0
		.amdhsa_system_sgpr_workgroup_id_z 0
		.amdhsa_system_sgpr_workgroup_info 0
		.amdhsa_system_vgpr_workitem_id 0
		.amdhsa_next_free_vgpr 40
		.amdhsa_next_free_sgpr 80
		.amdhsa_accum_offset 40
		.amdhsa_reserve_vcc 1
		.amdhsa_float_round_mode_32 0
		.amdhsa_float_round_mode_16_64 0
		.amdhsa_float_denorm_mode_32 3
		.amdhsa_float_denorm_mode_16_64 3
		.amdhsa_dx10_clamp 1
		.amdhsa_ieee_mode 1
		.amdhsa_fp16_overflow 0
		.amdhsa_tg_split 0
		.amdhsa_exception_fp_ieee_invalid_op 0
		.amdhsa_exception_fp_denorm_src 0
		.amdhsa_exception_fp_ieee_div_zero 0
		.amdhsa_exception_fp_ieee_overflow 0
		.amdhsa_exception_fp_ieee_underflow 0
		.amdhsa_exception_fp_ieee_inexact 0
		.amdhsa_exception_int_div_zero 0
	.end_amdhsa_kernel
	.section	.text._ZN9rocsparseL41csrgemm_numeric_fill_block_per_row_kernelILj1024ELj32ELj2048ELj137ELj32EllfEEvT5_PKS1_S3_NS_24const_host_device_scalarIT6_EEPKT4_S3_PKS5_S9_S3_SB_S6_S9_S3_SB_S9_S3_PS5_21rocsparse_index_base_SD_SD_SD_bbb,"axG",@progbits,_ZN9rocsparseL41csrgemm_numeric_fill_block_per_row_kernelILj1024ELj32ELj2048ELj137ELj32EllfEEvT5_PKS1_S3_NS_24const_host_device_scalarIT6_EEPKT4_S3_PKS5_S9_S3_SB_S6_S9_S3_SB_S9_S3_PS5_21rocsparse_index_base_SD_SD_SD_bbb,comdat
.Lfunc_end88:
	.size	_ZN9rocsparseL41csrgemm_numeric_fill_block_per_row_kernelILj1024ELj32ELj2048ELj137ELj32EllfEEvT5_PKS1_S3_NS_24const_host_device_scalarIT6_EEPKT4_S3_PKS5_S9_S3_SB_S6_S9_S3_SB_S9_S3_PS5_21rocsparse_index_base_SD_SD_SD_bbb, .Lfunc_end88-_ZN9rocsparseL41csrgemm_numeric_fill_block_per_row_kernelILj1024ELj32ELj2048ELj137ELj32EllfEEvT5_PKS1_S3_NS_24const_host_device_scalarIT6_EEPKT4_S3_PKS5_S9_S3_SB_S6_S9_S3_SB_S9_S3_PS5_21rocsparse_index_base_SD_SD_SD_bbb
                                        ; -- End function
	.set _ZN9rocsparseL41csrgemm_numeric_fill_block_per_row_kernelILj1024ELj32ELj2048ELj137ELj32EllfEEvT5_PKS1_S3_NS_24const_host_device_scalarIT6_EEPKT4_S3_PKS5_S9_S3_SB_S6_S9_S3_SB_S9_S3_PS5_21rocsparse_index_base_SD_SD_SD_bbb.num_vgpr, 40
	.set _ZN9rocsparseL41csrgemm_numeric_fill_block_per_row_kernelILj1024ELj32ELj2048ELj137ELj32EllfEEvT5_PKS1_S3_NS_24const_host_device_scalarIT6_EEPKT4_S3_PKS5_S9_S3_SB_S6_S9_S3_SB_S9_S3_PS5_21rocsparse_index_base_SD_SD_SD_bbb.num_agpr, 0
	.set _ZN9rocsparseL41csrgemm_numeric_fill_block_per_row_kernelILj1024ELj32ELj2048ELj137ELj32EllfEEvT5_PKS1_S3_NS_24const_host_device_scalarIT6_EEPKT4_S3_PKS5_S9_S3_SB_S6_S9_S3_SB_S9_S3_PS5_21rocsparse_index_base_SD_SD_SD_bbb.numbered_sgpr, 80
	.set _ZN9rocsparseL41csrgemm_numeric_fill_block_per_row_kernelILj1024ELj32ELj2048ELj137ELj32EllfEEvT5_PKS1_S3_NS_24const_host_device_scalarIT6_EEPKT4_S3_PKS5_S9_S3_SB_S6_S9_S3_SB_S9_S3_PS5_21rocsparse_index_base_SD_SD_SD_bbb.num_named_barrier, 0
	.set _ZN9rocsparseL41csrgemm_numeric_fill_block_per_row_kernelILj1024ELj32ELj2048ELj137ELj32EllfEEvT5_PKS1_S3_NS_24const_host_device_scalarIT6_EEPKT4_S3_PKS5_S9_S3_SB_S6_S9_S3_SB_S9_S3_PS5_21rocsparse_index_base_SD_SD_SD_bbb.private_seg_size, 0
	.set _ZN9rocsparseL41csrgemm_numeric_fill_block_per_row_kernelILj1024ELj32ELj2048ELj137ELj32EllfEEvT5_PKS1_S3_NS_24const_host_device_scalarIT6_EEPKT4_S3_PKS5_S9_S3_SB_S6_S9_S3_SB_S9_S3_PS5_21rocsparse_index_base_SD_SD_SD_bbb.uses_vcc, 1
	.set _ZN9rocsparseL41csrgemm_numeric_fill_block_per_row_kernelILj1024ELj32ELj2048ELj137ELj32EllfEEvT5_PKS1_S3_NS_24const_host_device_scalarIT6_EEPKT4_S3_PKS5_S9_S3_SB_S6_S9_S3_SB_S9_S3_PS5_21rocsparse_index_base_SD_SD_SD_bbb.uses_flat_scratch, 0
	.set _ZN9rocsparseL41csrgemm_numeric_fill_block_per_row_kernelILj1024ELj32ELj2048ELj137ELj32EllfEEvT5_PKS1_S3_NS_24const_host_device_scalarIT6_EEPKT4_S3_PKS5_S9_S3_SB_S6_S9_S3_SB_S9_S3_PS5_21rocsparse_index_base_SD_SD_SD_bbb.has_dyn_sized_stack, 0
	.set _ZN9rocsparseL41csrgemm_numeric_fill_block_per_row_kernelILj1024ELj32ELj2048ELj137ELj32EllfEEvT5_PKS1_S3_NS_24const_host_device_scalarIT6_EEPKT4_S3_PKS5_S9_S3_SB_S6_S9_S3_SB_S9_S3_PS5_21rocsparse_index_base_SD_SD_SD_bbb.has_recursion, 0
	.set _ZN9rocsparseL41csrgemm_numeric_fill_block_per_row_kernelILj1024ELj32ELj2048ELj137ELj32EllfEEvT5_PKS1_S3_NS_24const_host_device_scalarIT6_EEPKT4_S3_PKS5_S9_S3_SB_S6_S9_S3_SB_S9_S3_PS5_21rocsparse_index_base_SD_SD_SD_bbb.has_indirect_call, 0
	.section	.AMDGPU.csdata,"",@progbits
; Kernel info:
; codeLenInByte = 3992
; TotalNumSgprs: 86
; NumVgprs: 40
; NumAgprs: 0
; TotalNumVgprs: 40
; ScratchSize: 0
; MemoryBound: 0
; FloatMode: 240
; IeeeMode: 1
; LDSByteSize: 0 bytes/workgroup (compile time only)
; SGPRBlocks: 10
; VGPRBlocks: 4
; NumSGPRsForWavesPerEU: 86
; NumVGPRsForWavesPerEU: 40
; AccumOffset: 40
; Occupancy: 8
; WaveLimiterHint : 1
; COMPUTE_PGM_RSRC2:SCRATCH_EN: 0
; COMPUTE_PGM_RSRC2:USER_SGPR: 2
; COMPUTE_PGM_RSRC2:TRAP_HANDLER: 0
; COMPUTE_PGM_RSRC2:TGID_X_EN: 1
; COMPUTE_PGM_RSRC2:TGID_Y_EN: 0
; COMPUTE_PGM_RSRC2:TGID_Z_EN: 0
; COMPUTE_PGM_RSRC2:TIDIG_COMP_CNT: 0
; COMPUTE_PGM_RSRC3_GFX90A:ACCUM_OFFSET: 9
; COMPUTE_PGM_RSRC3_GFX90A:TG_SPLIT: 0
	.section	.text._ZN9rocsparseL41csrgemm_numeric_fill_block_per_row_kernelILj1024ELj32ELj2048ELj137ELj64EllfEEvT5_PKS1_S3_NS_24const_host_device_scalarIT6_EEPKT4_S3_PKS5_S9_S3_SB_S6_S9_S3_SB_S9_S3_PS5_21rocsparse_index_base_SD_SD_SD_bbb,"axG",@progbits,_ZN9rocsparseL41csrgemm_numeric_fill_block_per_row_kernelILj1024ELj32ELj2048ELj137ELj64EllfEEvT5_PKS1_S3_NS_24const_host_device_scalarIT6_EEPKT4_S3_PKS5_S9_S3_SB_S6_S9_S3_SB_S9_S3_PS5_21rocsparse_index_base_SD_SD_SD_bbb,comdat
	.globl	_ZN9rocsparseL41csrgemm_numeric_fill_block_per_row_kernelILj1024ELj32ELj2048ELj137ELj64EllfEEvT5_PKS1_S3_NS_24const_host_device_scalarIT6_EEPKT4_S3_PKS5_S9_S3_SB_S6_S9_S3_SB_S9_S3_PS5_21rocsparse_index_base_SD_SD_SD_bbb ; -- Begin function _ZN9rocsparseL41csrgemm_numeric_fill_block_per_row_kernelILj1024ELj32ELj2048ELj137ELj64EllfEEvT5_PKS1_S3_NS_24const_host_device_scalarIT6_EEPKT4_S3_PKS5_S9_S3_SB_S6_S9_S3_SB_S9_S3_PS5_21rocsparse_index_base_SD_SD_SD_bbb
	.p2align	8
	.type	_ZN9rocsparseL41csrgemm_numeric_fill_block_per_row_kernelILj1024ELj32ELj2048ELj137ELj64EllfEEvT5_PKS1_S3_NS_24const_host_device_scalarIT6_EEPKT4_S3_PKS5_S9_S3_SB_S6_S9_S3_SB_S9_S3_PS5_21rocsparse_index_base_SD_SD_SD_bbb,@function
_ZN9rocsparseL41csrgemm_numeric_fill_block_per_row_kernelILj1024ELj32ELj2048ELj137ELj64EllfEEvT5_PKS1_S3_NS_24const_host_device_scalarIT6_EEPKT4_S3_PKS5_S9_S3_SB_S6_S9_S3_SB_S9_S3_PS5_21rocsparse_index_base_SD_SD_SD_bbb: ; @_ZN9rocsparseL41csrgemm_numeric_fill_block_per_row_kernelILj1024ELj32ELj2048ELj137ELj64EllfEEvT5_PKS1_S3_NS_24const_host_device_scalarIT6_EEPKT4_S3_PKS5_S9_S3_SB_S6_S9_S3_SB_S9_S3_PS5_21rocsparse_index_base_SD_SD_SD_bbb
; %bb.0:
	s_load_dword s3, s[0:1], 0x98
	s_load_dwordx4 s[44:47], s[0:1], 0x88
	s_load_dwordx2 s[6:7], s[0:1], 0x18
	s_load_dwordx2 s[24:25], s[0:1], 0x50
	s_waitcnt lgkmcnt(0)
	s_bitcmp1_b32 s3, 0
	s_cselect_b64 s[4:5], -1, 0
	s_bitcmp1_b32 s3, 16
	s_cselect_b64 s[26:27], -1, 0
	s_xor_b64 s[8:9], s[4:5], -1
	s_or_b64 s[8:9], s[26:27], s[8:9]
	s_and_b64 vcc, exec, s[8:9]
	s_cbranch_vccnz .LBB89_2
; %bb.1:
	s_load_dword s6, s[6:7], 0x0
	s_waitcnt lgkmcnt(0)
	v_mov_b32_e32 v21, s6
	s_branch .LBB89_3
.LBB89_2:
	v_mov_b32_e32 v1, s6
	v_cndmask_b32_e64 v21, 0, v1, s[4:5]
.LBB89_3:
	s_load_dwordx2 s[34:35], s[0:1], 0x80
	s_load_dwordx8 s[36:43], s[0:1], 0x58
	s_load_dwordx4 s[16:19], s[0:1], 0x40
	s_load_dwordx4 s[20:23], s[0:1], 0x8
	s_load_dwordx8 s[8:15], s[0:1], 0x20
	s_bitcmp1_b32 s3, 8
	s_cselect_b64 s[6:7], -1, 0
	s_xor_b64 s[28:29], s[6:7], -1
	s_or_b64 s[26:27], s[26:27], s[28:29]
	s_and_b64 vcc, exec, s[26:27]
	s_cbranch_vccnz .LBB89_5
; %bb.4:
	s_load_dword s3, s[24:25], 0x0
	s_waitcnt lgkmcnt(0)
	v_mov_b32_e32 v20, s3
	s_branch .LBB89_6
.LBB89_5:
	v_mov_b32_e32 v1, s24
	v_cndmask_b32_e64 v20, 0, v1, s[6:7]
.LBB89_6:
	s_load_dwordx2 s[48:49], s[0:1], 0x0
	v_lshl_add_u32 v1, v0, 2, 0
	v_add_u32_e32 v1, 0x4000, v1
	v_or_b32_e32 v18, 0xfffffc00, v0
	v_lshl_add_u32 v19, v0, 3, 0
	s_mov_b64 s[0:1], 0
	s_waitcnt lgkmcnt(0)
	v_mov_b64_e32 v[6:7], s[48:49]
	v_mov_b32_e32 v2, 0
	v_mov_b32_e32 v3, v19
	;; [unrolled: 1-line block ×4, first 2 shown]
.LBB89_7:                               ; =>This Inner Loop Header: Depth=1
	v_add_co_u32_e32 v4, vcc, 0x400, v4
	s_xor_b64 s[24:25], vcc, -1
	s_and_b64 s[24:25], exec, s[24:25]
	ds_write_b64 v3, v[6:7]
	ds_write_b32 v5, v2
	v_add_u32_e32 v5, 0x1000, v5
	s_or_b64 s[0:1], s[24:25], s[0:1]
	v_add_u32_e32 v3, 0x2000, v3
	s_andn2_b64 exec, exec, s[0:1]
	s_cbranch_execnz .LBB89_7
; %bb.8:
	s_or_b64 exec, exec, s[0:1]
	s_waitcnt lgkmcnt(0)
	s_barrier
	s_load_dwordx2 s[0:1], s[20:21], 0x0
	s_mov_b32 s3, 0
	s_waitcnt lgkmcnt(0)
	s_lshl_b64 s[0:1], s[0:1], 3
	s_add_u32 s20, s22, s0
	s_addc_u32 s21, s23, s1
	s_lshl_b64 s[0:1], s[2:3], 3
	s_add_u32 s0, s20, s0
	s_addc_u32 s1, s21, s1
	s_load_dwordx2 s[50:51], s[0:1], 0x0
	s_and_b64 vcc, exec, s[4:5]
	s_cbranch_vccz .LBB89_28
; %bb.9:
	s_waitcnt lgkmcnt(0)
	s_lshl_b64 s[0:1], s[50:51], 3
	s_add_u32 s0, s8, s0
	s_addc_u32 s1, s9, s1
	s_load_dwordx4 s[20:23], s[0:1], 0x0
	v_lshrrev_b32_e32 v2, 5, v0
	v_subrev_co_u32_e32 v2, vcc, s44, v2
	s_waitcnt lgkmcnt(0)
	s_sub_u32 s0, s22, s44
	v_subb_co_u32_e64 v3, s[2:3], 0, 0, vcc
	s_subb_u32 s1, s23, 0
	v_lshl_add_u64 v[2:3], s[20:21], 0, v[2:3]
	v_cmp_gt_i64_e32 vcc, s[0:1], v[2:3]
	s_and_saveexec_b64 s[2:3], vcc
	s_cbranch_execz .LBB89_27
; %bb.10:
	v_and_b32_e32 v4, 31, v0
	v_subrev_co_u32_e32 v4, vcc, s45, v4
	s_mov_b32 s33, s45
	s_nop 0
	v_subb_co_u32_e64 v5, s[4:5], 0, 0, vcc
	s_mov_b64 s[4:5], 0
	s_movk_i32 s45, 0x89
	s_branch .LBB89_12
.LBB89_11:                              ;   in Loop: Header=BB89_12 Depth=1
	s_or_b64 exec, exec, s[8:9]
	v_lshl_add_u64 v[2:3], v[2:3], 0, 32
	v_cmp_le_i64_e32 vcc, s[0:1], v[2:3]
	s_or_b64 s[4:5], vcc, s[4:5]
	s_andn2_b64 exec, exec, s[4:5]
	s_cbranch_execz .LBB89_27
.LBB89_12:                              ; =>This Loop Header: Depth=1
                                        ;     Child Loop BB89_16 Depth 2
                                        ;       Child Loop BB89_19 Depth 3
	v_lshl_add_u64 v[6:7], v[2:3], 3, s[10:11]
	global_load_dwordx2 v[6:7], v[6:7], off
	s_waitcnt vmcnt(0)
	v_subrev_co_u32_e32 v6, vcc, s44, v6
	s_nop 1
	v_subbrev_co_u32_e32 v7, vcc, 0, v7, vcc
	v_lshl_add_u64 v[6:7], v[6:7], 3, s[14:15]
	global_load_dwordx4 v[8:11], v[6:7], off
	s_waitcnt vmcnt(0)
	v_subrev_co_u32_e32 v6, vcc, s33, v10
	s_nop 1
	v_subbrev_co_u32_e32 v7, vcc, 0, v11, vcc
	v_lshl_add_u64 v[8:9], v[8:9], 0, v[4:5]
	v_cmp_lt_i64_e32 vcc, v[8:9], v[6:7]
	s_and_saveexec_b64 s[8:9], vcc
	s_cbranch_execz .LBB89_11
; %bb.13:                               ;   in Loop: Header=BB89_12 Depth=1
	v_lshl_add_u64 v[10:11], v[2:3], 2, s[12:13]
	global_load_dword v10, v[10:11], off
	s_mov_b64 s[20:21], 0
	s_waitcnt vmcnt(0)
	v_mul_f32_e32 v22, v21, v10
	s_branch .LBB89_16
.LBB89_14:                              ;   in Loop: Header=BB89_16 Depth=2
	s_or_b64 exec, exec, s[24:25]
.LBB89_15:                              ;   in Loop: Header=BB89_16 Depth=2
	s_or_b64 exec, exec, s[22:23]
	s_waitcnt vmcnt(0)
	v_mul_f32_e32 v10, v22, v23
	v_lshl_add_u32 v11, v12, 2, 0
	ds_add_f32 v11, v10 offset:16384
	v_lshl_add_u64 v[8:9], v[8:9], 0, 32
	v_cmp_ge_i64_e32 vcc, v[8:9], v[6:7]
	s_or_b64 s[20:21], vcc, s[20:21]
	s_andn2_b64 exec, exec, s[20:21]
	s_cbranch_execz .LBB89_11
.LBB89_16:                              ;   Parent Loop BB89_12 Depth=1
                                        ; =>  This Loop Header: Depth=2
                                        ;       Child Loop BB89_19 Depth 3
	v_lshl_add_u64 v[10:11], v[8:9], 3, s[16:17]
	global_load_dwordx2 v[10:11], v[10:11], off
	v_lshl_add_u64 v[12:13], v[8:9], 2, s[18:19]
	global_load_dword v23, v[12:13], off
	s_waitcnt vmcnt(1)
	v_subrev_co_u32_e32 v10, vcc, s33, v10
	v_mul_lo_u32 v12, v10, s45
	v_and_b32_e32 v12, 0x7ff, v12
	v_lshl_add_u32 v24, v12, 3, 0
	ds_read_b64 v[16:17], v24
	v_subbrev_co_u32_e32 v11, vcc, 0, v11, vcc
	s_waitcnt lgkmcnt(0)
	v_cmp_ne_u64_e32 vcc, v[16:17], v[10:11]
	s_and_saveexec_b64 s[22:23], vcc
	s_cbranch_execz .LBB89_15
; %bb.17:                               ;   in Loop: Header=BB89_16 Depth=2
	s_mov_b64 s[24:25], 0
                                        ; implicit-def: $sgpr26_sgpr27
                                        ; implicit-def: $sgpr28_sgpr29
	s_branch .LBB89_19
.LBB89_18:                              ;   in Loop: Header=BB89_19 Depth=3
	s_or_b64 exec, exec, s[54:55]
	s_and_b64 s[30:31], exec, s[52:53]
	s_or_b64 s[24:25], s[30:31], s[24:25]
	s_andn2_b64 s[26:27], s[26:27], exec
	s_and_b64 s[30:31], s[28:29], exec
	s_or_b64 s[26:27], s[26:27], s[30:31]
	s_andn2_b64 exec, exec, s[24:25]
	s_cbranch_execz .LBB89_25
.LBB89_19:                              ;   Parent Loop BB89_12 Depth=1
                                        ;     Parent Loop BB89_16 Depth=2
                                        ; =>    This Inner Loop Header: Depth=3
	v_mov_b64_e32 v[14:15], v[12:13]
	v_cmp_ne_u64_e32 vcc, s[48:49], v[16:17]
	s_mov_b64 s[30:31], 0
                                        ; implicit-def: $vgpr12_vgpr13
	s_and_saveexec_b64 s[52:53], vcc
	s_xor_b64 s[52:53], exec, s[52:53]
; %bb.20:                               ;   in Loop: Header=BB89_19 Depth=3
	v_add_u32_e32 v12, 1, v14
	s_mov_b64 s[30:31], exec
	v_and_b32_e32 v12, 0x7ff, v12
                                        ; implicit-def: $vgpr24
; %bb.21:                               ;   in Loop: Header=BB89_19 Depth=3
	s_andn2_saveexec_b64 s[52:53], s[52:53]
	s_cbranch_execz .LBB89_23
; %bb.22:                               ;   in Loop: Header=BB89_19 Depth=3
	v_mov_b64_e32 v[12:13], s[48:49]
	ds_cmpst_rtn_b64 v[12:13], v24, v[12:13], v[10:11]
	s_andn2_b64 s[30:31], s[30:31], exec
	s_waitcnt lgkmcnt(0)
	v_cmp_ne_u64_e32 vcc, s[48:49], v[12:13]
	s_and_b64 s[54:55], vcc, exec
	s_or_b64 s[30:31], s[30:31], s[54:55]
	v_mov_b64_e32 v[12:13], v[14:15]
.LBB89_23:                              ;   in Loop: Header=BB89_19 Depth=3
	s_or_b64 exec, exec, s[52:53]
	s_mov_b64 s[52:53], -1
	s_or_b64 s[28:29], s[28:29], exec
                                        ; implicit-def: $vgpr24
                                        ; implicit-def: $vgpr16_vgpr17
	s_and_saveexec_b64 s[54:55], s[30:31]
	s_cbranch_execz .LBB89_18
; %bb.24:                               ;   in Loop: Header=BB89_19 Depth=3
	v_lshl_add_u32 v24, v12, 3, 0
	ds_read_b64 v[16:17], v24
	s_andn2_b64 s[28:29], s[28:29], exec
	s_waitcnt lgkmcnt(0)
	v_cmp_eq_u64_e32 vcc, v[16:17], v[10:11]
	s_orn2_b64 s[52:53], vcc, exec
	s_branch .LBB89_18
.LBB89_25:                              ;   in Loop: Header=BB89_16 Depth=2
	s_or_b64 exec, exec, s[24:25]
	s_and_saveexec_b64 s[24:25], s[26:27]
	s_xor_b64 s[24:25], exec, s[24:25]
	s_cbranch_execz .LBB89_14
; %bb.26:                               ;   in Loop: Header=BB89_16 Depth=2
	v_mov_b32_e32 v12, v14
	s_branch .LBB89_14
.LBB89_27:
	s_or_b64 exec, exec, s[2:3]
.LBB89_28:
	s_andn2_b64 vcc, exec, s[6:7]
	s_cbranch_vccnz .LBB89_45
; %bb.29:
	s_waitcnt lgkmcnt(0)
	s_lshl_b64 s[0:1], s[50:51], 3
	s_add_u32 s0, s36, s0
	s_addc_u32 s1, s37, s1
	s_load_dwordx4 s[4:7], s[0:1], 0x0
	v_subrev_co_u32_e32 v2, vcc, s47, v0
	s_waitcnt lgkmcnt(0)
	s_sub_u32 s0, s6, s47
	v_subb_co_u32_e64 v3, s[2:3], 0, 0, vcc
	s_subb_u32 s1, s7, 0
	v_lshl_add_u64 v[2:3], s[4:5], 0, v[2:3]
	v_cmp_gt_i64_e32 vcc, s[0:1], v[2:3]
	s_and_saveexec_b64 s[2:3], vcc
	s_cbranch_execz .LBB89_44
; %bb.30:
	s_mov_b32 s22, s47
	s_mov_b64 s[4:5], 0
	s_movk_i32 s23, 0x89
	s_mov_b64 s[6:7], 0x400
	s_branch .LBB89_33
.LBB89_31:                              ;   in Loop: Header=BB89_33 Depth=1
	s_or_b64 exec, exec, s[10:11]
.LBB89_32:                              ;   in Loop: Header=BB89_33 Depth=1
	s_or_b64 exec, exec, s[8:9]
	s_waitcnt vmcnt(0)
	v_mul_f32_e32 v4, v20, v12
	v_lshl_add_u32 v5, v6, 2, 0
	ds_add_f32 v5, v4 offset:16384
	v_lshl_add_u64 v[2:3], v[2:3], 0, s[6:7]
	v_cmp_le_i64_e32 vcc, s[0:1], v[2:3]
	s_or_b64 s[4:5], vcc, s[4:5]
	s_andn2_b64 exec, exec, s[4:5]
	s_cbranch_execz .LBB89_44
.LBB89_33:                              ; =>This Loop Header: Depth=1
                                        ;     Child Loop BB89_36 Depth 2
	v_lshl_add_u64 v[4:5], v[2:3], 3, s[38:39]
	global_load_dwordx2 v[4:5], v[4:5], off
	v_lshl_add_u64 v[6:7], v[2:3], 2, s[40:41]
	global_load_dword v12, v[6:7], off
	s_waitcnt vmcnt(1)
	v_subrev_co_u32_e32 v4, vcc, s22, v4
	v_mul_lo_u32 v6, v4, s23
	v_and_b32_e32 v6, 0x7ff, v6
	v_lshl_add_u32 v13, v6, 3, 0
	ds_read_b64 v[10:11], v13
	v_subbrev_co_u32_e32 v5, vcc, 0, v5, vcc
	s_waitcnt lgkmcnt(0)
	v_cmp_ne_u64_e32 vcc, v[10:11], v[4:5]
	s_and_saveexec_b64 s[8:9], vcc
	s_cbranch_execz .LBB89_32
; %bb.34:                               ;   in Loop: Header=BB89_33 Depth=1
	s_mov_b64 s[10:11], 0
                                        ; implicit-def: $sgpr12_sgpr13
                                        ; implicit-def: $sgpr14_sgpr15
	s_branch .LBB89_36
.LBB89_35:                              ;   in Loop: Header=BB89_36 Depth=2
	s_or_b64 exec, exec, s[20:21]
	s_and_b64 s[16:17], exec, s[18:19]
	s_or_b64 s[10:11], s[16:17], s[10:11]
	s_andn2_b64 s[12:13], s[12:13], exec
	s_and_b64 s[16:17], s[14:15], exec
	s_or_b64 s[12:13], s[12:13], s[16:17]
	s_andn2_b64 exec, exec, s[10:11]
	s_cbranch_execz .LBB89_42
.LBB89_36:                              ;   Parent Loop BB89_33 Depth=1
                                        ; =>  This Inner Loop Header: Depth=2
	v_mov_b64_e32 v[8:9], v[6:7]
	v_cmp_ne_u64_e32 vcc, s[48:49], v[10:11]
	s_mov_b64 s[16:17], 0
                                        ; implicit-def: $vgpr6_vgpr7
	s_and_saveexec_b64 s[18:19], vcc
	s_xor_b64 s[18:19], exec, s[18:19]
; %bb.37:                               ;   in Loop: Header=BB89_36 Depth=2
	v_add_u32_e32 v6, 1, v8
	s_mov_b64 s[16:17], exec
	v_and_b32_e32 v6, 0x7ff, v6
                                        ; implicit-def: $vgpr13
; %bb.38:                               ;   in Loop: Header=BB89_36 Depth=2
	s_andn2_saveexec_b64 s[18:19], s[18:19]
	s_cbranch_execz .LBB89_40
; %bb.39:                               ;   in Loop: Header=BB89_36 Depth=2
	v_mov_b64_e32 v[6:7], s[48:49]
	ds_cmpst_rtn_b64 v[6:7], v13, v[6:7], v[4:5]
	s_andn2_b64 s[16:17], s[16:17], exec
	s_waitcnt lgkmcnt(0)
	v_cmp_ne_u64_e32 vcc, s[48:49], v[6:7]
	s_and_b64 s[20:21], vcc, exec
	s_or_b64 s[16:17], s[16:17], s[20:21]
	v_mov_b64_e32 v[6:7], v[8:9]
.LBB89_40:                              ;   in Loop: Header=BB89_36 Depth=2
	s_or_b64 exec, exec, s[18:19]
	s_mov_b64 s[18:19], -1
	s_or_b64 s[14:15], s[14:15], exec
                                        ; implicit-def: $vgpr13
                                        ; implicit-def: $vgpr10_vgpr11
	s_and_saveexec_b64 s[20:21], s[16:17]
	s_cbranch_execz .LBB89_35
; %bb.41:                               ;   in Loop: Header=BB89_36 Depth=2
	v_lshl_add_u32 v13, v6, 3, 0
	ds_read_b64 v[10:11], v13
	s_andn2_b64 s[14:15], s[14:15], exec
	s_waitcnt lgkmcnt(0)
	v_cmp_eq_u64_e32 vcc, v[10:11], v[4:5]
	s_orn2_b64 s[18:19], vcc, exec
	s_branch .LBB89_35
.LBB89_42:                              ;   in Loop: Header=BB89_33 Depth=1
	s_or_b64 exec, exec, s[10:11]
	s_and_saveexec_b64 s[10:11], s[12:13]
	s_xor_b64 s[10:11], exec, s[10:11]
	s_cbranch_execz .LBB89_31
; %bb.43:                               ;   in Loop: Header=BB89_33 Depth=1
	v_mov_b32_e32 v6, v8
	s_branch .LBB89_31
.LBB89_44:
	s_or_b64 exec, exec, s[2:3]
.LBB89_45:
	v_mbcnt_lo_u32_b32 v2, -1, 0
	v_mbcnt_hi_u32_b32 v2, -1, v2
	v_sub_u32_e32 v2, 63, v2
	v_lshrrev_b64 v[4:5], v2, -1
	v_lshrrev_b32_e32 v2, 3, v0
	v_and_b32_e32 v2, 0x78, v2
	s_movk_i32 s0, 0x3ff
	s_movk_i32 s4, 0x7f
	s_movk_i32 s6, 0xbf
	s_movk_i32 s8, 0xff
	s_movk_i32 s10, 0x13f
	s_movk_i32 s12, 0x17f
	s_movk_i32 s14, 0x1bf
	s_movk_i32 s16, 0x1ff
	s_movk_i32 s18, 0x23f
	s_movk_i32 s20, 0x27f
	s_movk_i32 s22, 0x2bf
	s_movk_i32 s24, 0x2ff
	s_movk_i32 s26, 0x33f
	s_movk_i32 s28, 0x37f
	s_movk_i32 s30, 0x3bf
	v_mov_b32_e32 v3, 0
	v_add_u32_e32 v12, 0, v2
	v_cmp_eq_u32_e64 s[0:1], s0, v0
	v_cmp_lt_u32_e64 s[2:3], 63, v0
	v_cmp_lt_u32_e64 s[4:5], s4, v0
	;; [unrolled: 1-line block ×15, first 2 shown]
	s_mov_b64 s[36:37], 0
	v_mov_b64_e32 v[6:7], 0
	s_waitcnt lgkmcnt(0)
	s_barrier
	s_branch .LBB89_47
.LBB89_46:                              ;   in Loop: Header=BB89_47 Depth=1
	s_or_b64 exec, exec, s[38:39]
	s_waitcnt lgkmcnt(0)
	s_barrier
	ds_read_b64 v[8:9], v3 offset:24696
	v_add_co_u32_e32 v18, vcc, 0x400, v18
	s_xor_b64 s[38:39], vcc, -1
	s_and_b64 s[38:39], exec, s[38:39]
	v_add_u32_e32 v1, 0x1000, v1
	s_waitcnt lgkmcnt(0)
	v_lshl_add_u64 v[6:7], v[8:9], 0, v[6:7]
	s_or_b64 s[36:37], s[38:39], s[36:37]
	v_add_u32_e32 v19, 0x2000, v19
	s_andn2_b64 exec, exec, s[36:37]
	s_cbranch_execz .LBB89_81
.LBB89_47:                              ; =>This Inner Loop Header: Depth=1
	ds_read_b64 v[8:9], v19
	ds_read_b32 v13, v1
	s_waitcnt lgkmcnt(0)
	s_barrier
	v_cmp_gt_i64_e32 vcc, s[48:49], v[8:9]
	s_bcnt1_i32_b64 s33, vcc
	v_mov_b32_e32 v2, s33
	v_and_b32_e32 v11, vcc_lo, v4
	v_and_b32_e32 v10, vcc_hi, v5
	v_bcnt_u32_b32 v11, v11, 0
	v_bcnt_u32_b32 v10, v10, v11
	ds_write_b64 v12, v[2:3] offset:24576
	s_waitcnt lgkmcnt(0)
	s_barrier
	s_and_saveexec_b64 s[38:39], s[2:3]
	s_cbranch_execnz .LBB89_64
; %bb.48:                               ;   in Loop: Header=BB89_47 Depth=1
	s_or_b64 exec, exec, s[38:39]
	s_and_saveexec_b64 s[38:39], s[4:5]
	s_cbranch_execnz .LBB89_65
.LBB89_49:                              ;   in Loop: Header=BB89_47 Depth=1
	s_or_b64 exec, exec, s[38:39]
	s_and_saveexec_b64 s[38:39], s[6:7]
	s_cbranch_execnz .LBB89_66
.LBB89_50:                              ;   in Loop: Header=BB89_47 Depth=1
	s_or_b64 exec, exec, s[38:39]
	s_and_saveexec_b64 s[38:39], s[8:9]
	s_cbranch_execnz .LBB89_67
.LBB89_51:                              ;   in Loop: Header=BB89_47 Depth=1
	s_or_b64 exec, exec, s[38:39]
	s_and_saveexec_b64 s[38:39], s[10:11]
	s_cbranch_execnz .LBB89_68
.LBB89_52:                              ;   in Loop: Header=BB89_47 Depth=1
	s_or_b64 exec, exec, s[38:39]
	s_and_saveexec_b64 s[38:39], s[12:13]
	s_cbranch_execnz .LBB89_69
.LBB89_53:                              ;   in Loop: Header=BB89_47 Depth=1
	s_or_b64 exec, exec, s[38:39]
	s_and_saveexec_b64 s[38:39], s[14:15]
	s_cbranch_execnz .LBB89_70
.LBB89_54:                              ;   in Loop: Header=BB89_47 Depth=1
	s_or_b64 exec, exec, s[38:39]
	s_and_saveexec_b64 s[38:39], s[16:17]
	s_cbranch_execnz .LBB89_71
.LBB89_55:                              ;   in Loop: Header=BB89_47 Depth=1
	s_or_b64 exec, exec, s[38:39]
	s_and_saveexec_b64 s[38:39], s[18:19]
	s_cbranch_execnz .LBB89_72
.LBB89_56:                              ;   in Loop: Header=BB89_47 Depth=1
	s_or_b64 exec, exec, s[38:39]
	s_and_saveexec_b64 s[38:39], s[20:21]
	s_cbranch_execnz .LBB89_73
.LBB89_57:                              ;   in Loop: Header=BB89_47 Depth=1
	s_or_b64 exec, exec, s[38:39]
	s_and_saveexec_b64 s[38:39], s[22:23]
	s_cbranch_execnz .LBB89_74
.LBB89_58:                              ;   in Loop: Header=BB89_47 Depth=1
	s_or_b64 exec, exec, s[38:39]
	s_and_saveexec_b64 s[38:39], s[24:25]
	s_cbranch_execnz .LBB89_75
.LBB89_59:                              ;   in Loop: Header=BB89_47 Depth=1
	s_or_b64 exec, exec, s[38:39]
	s_and_saveexec_b64 s[38:39], s[26:27]
	s_cbranch_execnz .LBB89_76
.LBB89_60:                              ;   in Loop: Header=BB89_47 Depth=1
	s_or_b64 exec, exec, s[38:39]
	s_and_saveexec_b64 s[38:39], s[28:29]
	s_cbranch_execnz .LBB89_77
.LBB89_61:                              ;   in Loop: Header=BB89_47 Depth=1
	s_or_b64 exec, exec, s[38:39]
	s_and_saveexec_b64 s[38:39], s[30:31]
	s_cbranch_execnz .LBB89_78
.LBB89_62:                              ;   in Loop: Header=BB89_47 Depth=1
	s_or_b64 exec, exec, s[38:39]
	v_ashrrev_i32_e32 v11, 31, v10
	s_and_saveexec_b64 s[38:39], vcc
	s_cbranch_execnz .LBB89_79
.LBB89_63:                              ;   in Loop: Header=BB89_47 Depth=1
	s_or_b64 exec, exec, s[38:39]
	s_and_saveexec_b64 s[38:39], s[0:1]
	s_cbranch_execz .LBB89_46
	s_branch .LBB89_80
.LBB89_64:                              ;   in Loop: Header=BB89_47 Depth=1
	ds_read_b32 v2, v3 offset:24576
	s_waitcnt lgkmcnt(0)
	v_add_u32_e32 v10, v2, v10
	s_or_b64 exec, exec, s[38:39]
	s_and_saveexec_b64 s[38:39], s[4:5]
	s_cbranch_execz .LBB89_49
.LBB89_65:                              ;   in Loop: Header=BB89_47 Depth=1
	ds_read_b32 v2, v3 offset:24584
	s_waitcnt lgkmcnt(0)
	v_add_u32_e32 v10, v10, v2
	s_or_b64 exec, exec, s[38:39]
	s_and_saveexec_b64 s[38:39], s[6:7]
	s_cbranch_execz .LBB89_50
.LBB89_66:                              ;   in Loop: Header=BB89_47 Depth=1
	ds_read_b32 v2, v3 offset:24592
	s_waitcnt lgkmcnt(0)
	v_add_u32_e32 v10, v10, v2
	s_or_b64 exec, exec, s[38:39]
	s_and_saveexec_b64 s[38:39], s[8:9]
	s_cbranch_execz .LBB89_51
.LBB89_67:                              ;   in Loop: Header=BB89_47 Depth=1
	ds_read_b32 v2, v3 offset:24600
	s_waitcnt lgkmcnt(0)
	v_add_u32_e32 v10, v10, v2
	s_or_b64 exec, exec, s[38:39]
	s_and_saveexec_b64 s[38:39], s[10:11]
	s_cbranch_execz .LBB89_52
.LBB89_68:                              ;   in Loop: Header=BB89_47 Depth=1
	ds_read_b32 v2, v3 offset:24608
	s_waitcnt lgkmcnt(0)
	v_add_u32_e32 v10, v10, v2
	s_or_b64 exec, exec, s[38:39]
	s_and_saveexec_b64 s[38:39], s[12:13]
	s_cbranch_execz .LBB89_53
.LBB89_69:                              ;   in Loop: Header=BB89_47 Depth=1
	ds_read_b32 v2, v3 offset:24616
	s_waitcnt lgkmcnt(0)
	v_add_u32_e32 v10, v10, v2
	s_or_b64 exec, exec, s[38:39]
	s_and_saveexec_b64 s[38:39], s[14:15]
	s_cbranch_execz .LBB89_54
.LBB89_70:                              ;   in Loop: Header=BB89_47 Depth=1
	ds_read_b32 v2, v3 offset:24624
	s_waitcnt lgkmcnt(0)
	v_add_u32_e32 v10, v10, v2
	s_or_b64 exec, exec, s[38:39]
	s_and_saveexec_b64 s[38:39], s[16:17]
	s_cbranch_execz .LBB89_55
.LBB89_71:                              ;   in Loop: Header=BB89_47 Depth=1
	ds_read_b32 v2, v3 offset:24632
	s_waitcnt lgkmcnt(0)
	v_add_u32_e32 v10, v10, v2
	s_or_b64 exec, exec, s[38:39]
	s_and_saveexec_b64 s[38:39], s[18:19]
	s_cbranch_execz .LBB89_56
.LBB89_72:                              ;   in Loop: Header=BB89_47 Depth=1
	ds_read_b32 v2, v3 offset:24640
	s_waitcnt lgkmcnt(0)
	v_add_u32_e32 v10, v10, v2
	s_or_b64 exec, exec, s[38:39]
	s_and_saveexec_b64 s[38:39], s[20:21]
	s_cbranch_execz .LBB89_57
.LBB89_73:                              ;   in Loop: Header=BB89_47 Depth=1
	ds_read_b32 v2, v3 offset:24648
	s_waitcnt lgkmcnt(0)
	v_add_u32_e32 v10, v10, v2
	s_or_b64 exec, exec, s[38:39]
	s_and_saveexec_b64 s[38:39], s[22:23]
	s_cbranch_execz .LBB89_58
.LBB89_74:                              ;   in Loop: Header=BB89_47 Depth=1
	ds_read_b32 v2, v3 offset:24656
	s_waitcnt lgkmcnt(0)
	v_add_u32_e32 v10, v10, v2
	s_or_b64 exec, exec, s[38:39]
	s_and_saveexec_b64 s[38:39], s[24:25]
	s_cbranch_execz .LBB89_59
.LBB89_75:                              ;   in Loop: Header=BB89_47 Depth=1
	ds_read_b32 v2, v3 offset:24664
	s_waitcnt lgkmcnt(0)
	v_add_u32_e32 v10, v10, v2
	s_or_b64 exec, exec, s[38:39]
	s_and_saveexec_b64 s[38:39], s[26:27]
	s_cbranch_execz .LBB89_60
.LBB89_76:                              ;   in Loop: Header=BB89_47 Depth=1
	ds_read_b32 v2, v3 offset:24672
	s_waitcnt lgkmcnt(0)
	v_add_u32_e32 v10, v10, v2
	s_or_b64 exec, exec, s[38:39]
	s_and_saveexec_b64 s[38:39], s[28:29]
	s_cbranch_execz .LBB89_61
.LBB89_77:                              ;   in Loop: Header=BB89_47 Depth=1
	ds_read_b32 v2, v3 offset:24680
	s_waitcnt lgkmcnt(0)
	v_add_u32_e32 v10, v10, v2
	s_or_b64 exec, exec, s[38:39]
	s_and_saveexec_b64 s[38:39], s[30:31]
	s_cbranch_execz .LBB89_62
.LBB89_78:                              ;   in Loop: Header=BB89_47 Depth=1
	ds_read_b32 v2, v3 offset:24688
	s_waitcnt lgkmcnt(0)
	v_add_u32_e32 v10, v10, v2
	s_or_b64 exec, exec, s[38:39]
	v_ashrrev_i32_e32 v11, 31, v10
	s_and_saveexec_b64 s[38:39], vcc
	s_cbranch_execz .LBB89_63
.LBB89_79:                              ;   in Loop: Header=BB89_47 Depth=1
	v_add3_u32 v2, v6, -1, v10
	v_lshl_add_u32 v2, v2, 3, 0
	v_add_u32_e32 v14, v6, v10
	v_lshl_add_u32 v14, v14, 2, 0
	ds_write_b64 v2, v[8:9]
	ds_write_b32 v14, v13 offset:16380
	s_or_b64 exec, exec, s[38:39]
	s_and_saveexec_b64 s[38:39], s[0:1]
	s_cbranch_execz .LBB89_46
.LBB89_80:                              ;   in Loop: Header=BB89_47 Depth=1
	ds_write_b64 v3, v[10:11] offset:24696
	s_branch .LBB89_46
.LBB89_81:
	s_or_b64 exec, exec, s[36:37]
	s_lshl_b64 s[0:1], s[50:51], 3
	s_add_u32 s4, s42, s0
	s_addc_u32 s5, s43, s1
	s_load_dwordx4 s[0:3], s[4:5], 0x0
	v_mov_b32_e32 v1, 0
	s_waitcnt lgkmcnt(0)
	s_sub_u32 s4, s2, s0
	s_subb_u32 s5, s3, s1
	v_cmp_gt_i64_e32 vcc, s[4:5], v[0:1]
	s_and_saveexec_b64 s[6:7], vcc
	s_cbranch_execz .LBB89_91
; %bb.82:
	s_sub_u32 s8, s0, s46
	s_subb_u32 s9, s1, 0
	s_and_b32 s6, s4, 7
	s_sub_u32 s0, s0, s2
	s_mov_b32 s7, 0
	s_subb_u32 s1, s1, s3
	s_and_b32 s10, s4, -8
	s_cmp_lg_u64 s[6:7], 0
	v_cmp_lt_u64_e64 s[0:1], s[0:1], -7
	s_cselect_b64 s[2:3], -1, 0
	s_mov_b32 s11, s5
	v_cndmask_b32_e64 v2, 0, 1, s[0:1]
	v_cmp_ne_u32_e64 s[0:1], 1, v2
	v_cndmask_b32_e64 v2, 0, 1, s[2:3]
	s_mov_b64 s[12:13], 0
	v_cmp_ne_u32_e64 s[2:3], 1, v2
	s_mov_b64 s[14:15], 0x400
	s_branch .LBB89_84
.LBB89_83:                              ;   in Loop: Header=BB89_84 Depth=1
	v_lshl_add_u64 v[0:1], v[0:1], 0, s[14:15]
	v_cmp_le_i64_e32 vcc, s[4:5], v[0:1]
	s_waitcnt lgkmcnt(1)
	v_lshl_add_u64 v[2:3], v[4:5], 2, s[34:35]
	s_or_b64 s[12:13], vcc, s[12:13]
	s_waitcnt lgkmcnt(0)
	global_store_dword v[2:3], v6, off
	s_andn2_b64 exec, exec, s[12:13]
	s_cbranch_execz .LBB89_91
.LBB89_84:                              ; =>This Loop Header: Depth=1
                                        ;     Child Loop BB89_86 Depth 2
                                        ;     Child Loop BB89_90 Depth 2
	v_lshl_add_u32 v2, v0, 3, 0
	v_lshlrev_b32_e32 v3, 2, v0
	v_sub_u32_e32 v4, v2, v3
	ds_read_b64 v[2:3], v2
	ds_read_b32 v6, v4 offset:16384
	s_and_b64 vcc, exec, s[0:1]
	v_mov_b64_e32 v[4:5], s[8:9]
	s_mov_b64 s[16:17], 0
	s_cbranch_vccnz .LBB89_88
; %bb.85:                               ;   in Loop: Header=BB89_84 Depth=1
	s_mov_b32 s18, 0
	v_mov_b64_e32 v[4:5], s[8:9]
.LBB89_86:                              ;   Parent Loop BB89_84 Depth=1
                                        ; =>  This Inner Loop Header: Depth=2
	v_mov_b32_e32 v7, s18
	ds_read2_b64 v[8:11], v7 offset1:1
	ds_read2_b64 v[12:15], v7 offset0:2 offset1:3
	ds_read2_b64 v[16:19], v7 offset0:4 offset1:5
	;; [unrolled: 1-line block ×3, first 2 shown]
	v_mov_b32_e32 v25, s7
	s_waitcnt lgkmcnt(3)
	v_cmp_gt_i64_e32 vcc, v[2:3], v[8:9]
	v_mov_b32_e32 v27, s7
	v_mov_b32_e32 v29, s7
	v_cndmask_b32_e64 v24, 0, 1, vcc
	v_cmp_gt_i64_e32 vcc, v[2:3], v[10:11]
	v_lshl_add_u64 v[4:5], v[4:5], 0, v[24:25]
	v_mov_b32_e32 v31, s7
	v_cndmask_b32_e64 v26, 0, 1, vcc
	s_waitcnt lgkmcnt(2)
	v_cmp_gt_i64_e32 vcc, v[2:3], v[12:13]
	v_lshl_add_u64 v[4:5], v[4:5], 0, v[26:27]
	v_mov_b32_e32 v33, s7
	v_cndmask_b32_e64 v28, 0, 1, vcc
	v_cmp_gt_i64_e32 vcc, v[2:3], v[14:15]
	v_lshl_add_u64 v[4:5], v[4:5], 0, v[28:29]
	v_mov_b32_e32 v35, s7
	v_cndmask_b32_e64 v30, 0, 1, vcc
	s_waitcnt lgkmcnt(1)
	v_cmp_gt_i64_e32 vcc, v[2:3], v[16:17]
	v_lshl_add_u64 v[4:5], v[4:5], 0, v[30:31]
	v_mov_b32_e32 v37, s7
	v_cndmask_b32_e64 v32, 0, 1, vcc
	v_cmp_gt_i64_e32 vcc, v[2:3], v[18:19]
	v_lshl_add_u64 v[4:5], v[4:5], 0, v[32:33]
	s_add_u32 s16, s16, 8
	v_cndmask_b32_e64 v34, 0, 1, vcc
	s_waitcnt lgkmcnt(0)
	v_cmp_gt_i64_e32 vcc, v[2:3], v[20:21]
	v_lshl_add_u64 v[4:5], v[4:5], 0, v[34:35]
	v_mov_b32_e32 v39, s7
	v_cndmask_b32_e64 v36, 0, 1, vcc
	v_cmp_gt_i64_e32 vcc, v[2:3], v[22:23]
	s_addc_u32 s17, s17, 0
	s_add_i32 s18, s18, 64
	v_cndmask_b32_e64 v38, 0, 1, vcc
	v_lshl_add_u64 v[4:5], v[4:5], 0, v[36:37]
	s_cmp_eq_u64 s[10:11], s[16:17]
	v_lshl_add_u64 v[4:5], v[4:5], 0, v[38:39]
	s_cbranch_scc0 .LBB89_86
; %bb.87:                               ;   in Loop: Header=BB89_84 Depth=1
	s_mov_b64 s[16:17], s[10:11]
.LBB89_88:                              ;   in Loop: Header=BB89_84 Depth=1
	s_and_b64 vcc, exec, s[2:3]
	s_cbranch_vccnz .LBB89_83
; %bb.89:                               ;   in Loop: Header=BB89_84 Depth=1
	s_lshl_b32 s16, s16, 3
	s_add_i32 s18, s16, 0
	s_mov_b64 s[16:17], s[6:7]
.LBB89_90:                              ;   Parent Loop BB89_84 Depth=1
                                        ; =>  This Inner Loop Header: Depth=2
	v_mov_b32_e32 v7, s18
	ds_read_b64 v[10:11], v7
	s_add_i32 s18, s18, 8
	s_add_u32 s16, s16, -1
	v_mov_b32_e32 v9, s7
	s_addc_u32 s17, s17, -1
	s_waitcnt lgkmcnt(0)
	v_cmp_gt_i64_e32 vcc, v[2:3], v[10:11]
	s_cmp_lg_u64 s[16:17], 0
	s_nop 0
	v_cndmask_b32_e64 v8, 0, 1, vcc
	v_lshl_add_u64 v[4:5], v[4:5], 0, v[8:9]
	s_cbranch_scc1 .LBB89_90
	s_branch .LBB89_83
.LBB89_91:
	s_endpgm
	.section	.rodata,"a",@progbits
	.p2align	6, 0x0
	.amdhsa_kernel _ZN9rocsparseL41csrgemm_numeric_fill_block_per_row_kernelILj1024ELj32ELj2048ELj137ELj64EllfEEvT5_PKS1_S3_NS_24const_host_device_scalarIT6_EEPKT4_S3_PKS5_S9_S3_SB_S6_S9_S3_SB_S9_S3_PS5_21rocsparse_index_base_SD_SD_SD_bbb
		.amdhsa_group_segment_fixed_size 0
		.amdhsa_private_segment_fixed_size 0
		.amdhsa_kernarg_size 156
		.amdhsa_user_sgpr_count 2
		.amdhsa_user_sgpr_dispatch_ptr 0
		.amdhsa_user_sgpr_queue_ptr 0
		.amdhsa_user_sgpr_kernarg_segment_ptr 1
		.amdhsa_user_sgpr_dispatch_id 0
		.amdhsa_user_sgpr_kernarg_preload_length 0
		.amdhsa_user_sgpr_kernarg_preload_offset 0
		.amdhsa_user_sgpr_private_segment_size 0
		.amdhsa_uses_dynamic_stack 0
		.amdhsa_enable_private_segment 0
		.amdhsa_system_sgpr_workgroup_id_x 1
		.amdhsa_system_sgpr_workgroup_id_y 0
		.amdhsa_system_sgpr_workgroup_id_z 0
		.amdhsa_system_sgpr_workgroup_info 0
		.amdhsa_system_vgpr_workitem_id 0
		.amdhsa_next_free_vgpr 40
		.amdhsa_next_free_sgpr 56
		.amdhsa_accum_offset 40
		.amdhsa_reserve_vcc 1
		.amdhsa_float_round_mode_32 0
		.amdhsa_float_round_mode_16_64 0
		.amdhsa_float_denorm_mode_32 3
		.amdhsa_float_denorm_mode_16_64 3
		.amdhsa_dx10_clamp 1
		.amdhsa_ieee_mode 1
		.amdhsa_fp16_overflow 0
		.amdhsa_tg_split 0
		.amdhsa_exception_fp_ieee_invalid_op 0
		.amdhsa_exception_fp_denorm_src 0
		.amdhsa_exception_fp_ieee_div_zero 0
		.amdhsa_exception_fp_ieee_overflow 0
		.amdhsa_exception_fp_ieee_underflow 0
		.amdhsa_exception_fp_ieee_inexact 0
		.amdhsa_exception_int_div_zero 0
	.end_amdhsa_kernel
	.section	.text._ZN9rocsparseL41csrgemm_numeric_fill_block_per_row_kernelILj1024ELj32ELj2048ELj137ELj64EllfEEvT5_PKS1_S3_NS_24const_host_device_scalarIT6_EEPKT4_S3_PKS5_S9_S3_SB_S6_S9_S3_SB_S9_S3_PS5_21rocsparse_index_base_SD_SD_SD_bbb,"axG",@progbits,_ZN9rocsparseL41csrgemm_numeric_fill_block_per_row_kernelILj1024ELj32ELj2048ELj137ELj64EllfEEvT5_PKS1_S3_NS_24const_host_device_scalarIT6_EEPKT4_S3_PKS5_S9_S3_SB_S6_S9_S3_SB_S9_S3_PS5_21rocsparse_index_base_SD_SD_SD_bbb,comdat
.Lfunc_end89:
	.size	_ZN9rocsparseL41csrgemm_numeric_fill_block_per_row_kernelILj1024ELj32ELj2048ELj137ELj64EllfEEvT5_PKS1_S3_NS_24const_host_device_scalarIT6_EEPKT4_S3_PKS5_S9_S3_SB_S6_S9_S3_SB_S9_S3_PS5_21rocsparse_index_base_SD_SD_SD_bbb, .Lfunc_end89-_ZN9rocsparseL41csrgemm_numeric_fill_block_per_row_kernelILj1024ELj32ELj2048ELj137ELj64EllfEEvT5_PKS1_S3_NS_24const_host_device_scalarIT6_EEPKT4_S3_PKS5_S9_S3_SB_S6_S9_S3_SB_S9_S3_PS5_21rocsparse_index_base_SD_SD_SD_bbb
                                        ; -- End function
	.set _ZN9rocsparseL41csrgemm_numeric_fill_block_per_row_kernelILj1024ELj32ELj2048ELj137ELj64EllfEEvT5_PKS1_S3_NS_24const_host_device_scalarIT6_EEPKT4_S3_PKS5_S9_S3_SB_S6_S9_S3_SB_S9_S3_PS5_21rocsparse_index_base_SD_SD_SD_bbb.num_vgpr, 40
	.set _ZN9rocsparseL41csrgemm_numeric_fill_block_per_row_kernelILj1024ELj32ELj2048ELj137ELj64EllfEEvT5_PKS1_S3_NS_24const_host_device_scalarIT6_EEPKT4_S3_PKS5_S9_S3_SB_S6_S9_S3_SB_S9_S3_PS5_21rocsparse_index_base_SD_SD_SD_bbb.num_agpr, 0
	.set _ZN9rocsparseL41csrgemm_numeric_fill_block_per_row_kernelILj1024ELj32ELj2048ELj137ELj64EllfEEvT5_PKS1_S3_NS_24const_host_device_scalarIT6_EEPKT4_S3_PKS5_S9_S3_SB_S6_S9_S3_SB_S9_S3_PS5_21rocsparse_index_base_SD_SD_SD_bbb.numbered_sgpr, 56
	.set _ZN9rocsparseL41csrgemm_numeric_fill_block_per_row_kernelILj1024ELj32ELj2048ELj137ELj64EllfEEvT5_PKS1_S3_NS_24const_host_device_scalarIT6_EEPKT4_S3_PKS5_S9_S3_SB_S6_S9_S3_SB_S9_S3_PS5_21rocsparse_index_base_SD_SD_SD_bbb.num_named_barrier, 0
	.set _ZN9rocsparseL41csrgemm_numeric_fill_block_per_row_kernelILj1024ELj32ELj2048ELj137ELj64EllfEEvT5_PKS1_S3_NS_24const_host_device_scalarIT6_EEPKT4_S3_PKS5_S9_S3_SB_S6_S9_S3_SB_S9_S3_PS5_21rocsparse_index_base_SD_SD_SD_bbb.private_seg_size, 0
	.set _ZN9rocsparseL41csrgemm_numeric_fill_block_per_row_kernelILj1024ELj32ELj2048ELj137ELj64EllfEEvT5_PKS1_S3_NS_24const_host_device_scalarIT6_EEPKT4_S3_PKS5_S9_S3_SB_S6_S9_S3_SB_S9_S3_PS5_21rocsparse_index_base_SD_SD_SD_bbb.uses_vcc, 1
	.set _ZN9rocsparseL41csrgemm_numeric_fill_block_per_row_kernelILj1024ELj32ELj2048ELj137ELj64EllfEEvT5_PKS1_S3_NS_24const_host_device_scalarIT6_EEPKT4_S3_PKS5_S9_S3_SB_S6_S9_S3_SB_S9_S3_PS5_21rocsparse_index_base_SD_SD_SD_bbb.uses_flat_scratch, 0
	.set _ZN9rocsparseL41csrgemm_numeric_fill_block_per_row_kernelILj1024ELj32ELj2048ELj137ELj64EllfEEvT5_PKS1_S3_NS_24const_host_device_scalarIT6_EEPKT4_S3_PKS5_S9_S3_SB_S6_S9_S3_SB_S9_S3_PS5_21rocsparse_index_base_SD_SD_SD_bbb.has_dyn_sized_stack, 0
	.set _ZN9rocsparseL41csrgemm_numeric_fill_block_per_row_kernelILj1024ELj32ELj2048ELj137ELj64EllfEEvT5_PKS1_S3_NS_24const_host_device_scalarIT6_EEPKT4_S3_PKS5_S9_S3_SB_S6_S9_S3_SB_S9_S3_PS5_21rocsparse_index_base_SD_SD_SD_bbb.has_recursion, 0
	.set _ZN9rocsparseL41csrgemm_numeric_fill_block_per_row_kernelILj1024ELj32ELj2048ELj137ELj64EllfEEvT5_PKS1_S3_NS_24const_host_device_scalarIT6_EEPKT4_S3_PKS5_S9_S3_SB_S6_S9_S3_SB_S9_S3_PS5_21rocsparse_index_base_SD_SD_SD_bbb.has_indirect_call, 0
	.section	.AMDGPU.csdata,"",@progbits
; Kernel info:
; codeLenInByte = 3168
; TotalNumSgprs: 62
; NumVgprs: 40
; NumAgprs: 0
; TotalNumVgprs: 40
; ScratchSize: 0
; MemoryBound: 0
; FloatMode: 240
; IeeeMode: 1
; LDSByteSize: 0 bytes/workgroup (compile time only)
; SGPRBlocks: 7
; VGPRBlocks: 4
; NumSGPRsForWavesPerEU: 62
; NumVGPRsForWavesPerEU: 40
; AccumOffset: 40
; Occupancy: 8
; WaveLimiterHint : 1
; COMPUTE_PGM_RSRC2:SCRATCH_EN: 0
; COMPUTE_PGM_RSRC2:USER_SGPR: 2
; COMPUTE_PGM_RSRC2:TRAP_HANDLER: 0
; COMPUTE_PGM_RSRC2:TGID_X_EN: 1
; COMPUTE_PGM_RSRC2:TGID_Y_EN: 0
; COMPUTE_PGM_RSRC2:TGID_Z_EN: 0
; COMPUTE_PGM_RSRC2:TIDIG_COMP_CNT: 0
; COMPUTE_PGM_RSRC3_GFX90A:ACCUM_OFFSET: 9
; COMPUTE_PGM_RSRC3_GFX90A:TG_SPLIT: 0
	.section	.text._ZN9rocsparseL41csrgemm_numeric_fill_block_per_row_kernelILj1024ELj64ELj4096ELj137ELj32EllfEEvT5_PKS1_S3_NS_24const_host_device_scalarIT6_EEPKT4_S3_PKS5_S9_S3_SB_S6_S9_S3_SB_S9_S3_PS5_21rocsparse_index_base_SD_SD_SD_bbb,"axG",@progbits,_ZN9rocsparseL41csrgemm_numeric_fill_block_per_row_kernelILj1024ELj64ELj4096ELj137ELj32EllfEEvT5_PKS1_S3_NS_24const_host_device_scalarIT6_EEPKT4_S3_PKS5_S9_S3_SB_S6_S9_S3_SB_S9_S3_PS5_21rocsparse_index_base_SD_SD_SD_bbb,comdat
	.globl	_ZN9rocsparseL41csrgemm_numeric_fill_block_per_row_kernelILj1024ELj64ELj4096ELj137ELj32EllfEEvT5_PKS1_S3_NS_24const_host_device_scalarIT6_EEPKT4_S3_PKS5_S9_S3_SB_S6_S9_S3_SB_S9_S3_PS5_21rocsparse_index_base_SD_SD_SD_bbb ; -- Begin function _ZN9rocsparseL41csrgemm_numeric_fill_block_per_row_kernelILj1024ELj64ELj4096ELj137ELj32EllfEEvT5_PKS1_S3_NS_24const_host_device_scalarIT6_EEPKT4_S3_PKS5_S9_S3_SB_S6_S9_S3_SB_S9_S3_PS5_21rocsparse_index_base_SD_SD_SD_bbb
	.p2align	8
	.type	_ZN9rocsparseL41csrgemm_numeric_fill_block_per_row_kernelILj1024ELj64ELj4096ELj137ELj32EllfEEvT5_PKS1_S3_NS_24const_host_device_scalarIT6_EEPKT4_S3_PKS5_S9_S3_SB_S6_S9_S3_SB_S9_S3_PS5_21rocsparse_index_base_SD_SD_SD_bbb,@function
_ZN9rocsparseL41csrgemm_numeric_fill_block_per_row_kernelILj1024ELj64ELj4096ELj137ELj32EllfEEvT5_PKS1_S3_NS_24const_host_device_scalarIT6_EEPKT4_S3_PKS5_S9_S3_SB_S6_S9_S3_SB_S9_S3_PS5_21rocsparse_index_base_SD_SD_SD_bbb: ; @_ZN9rocsparseL41csrgemm_numeric_fill_block_per_row_kernelILj1024ELj64ELj4096ELj137ELj32EllfEEvT5_PKS1_S3_NS_24const_host_device_scalarIT6_EEPKT4_S3_PKS5_S9_S3_SB_S6_S9_S3_SB_S9_S3_PS5_21rocsparse_index_base_SD_SD_SD_bbb
; %bb.0:
	s_load_dword s3, s[0:1], 0x98
	s_load_dwordx4 s[68:71], s[0:1], 0x88
	s_load_dwordx2 s[6:7], s[0:1], 0x18
	s_load_dwordx2 s[24:25], s[0:1], 0x50
	s_waitcnt lgkmcnt(0)
	s_bitcmp1_b32 s3, 0
	s_cselect_b64 s[4:5], -1, 0
	s_bitcmp1_b32 s3, 16
	s_cselect_b64 s[26:27], -1, 0
	s_xor_b64 s[8:9], s[4:5], -1
	s_or_b64 s[8:9], s[26:27], s[8:9]
	s_and_b64 vcc, exec, s[8:9]
	s_cbranch_vccnz .LBB90_2
; %bb.1:
	s_load_dword s6, s[6:7], 0x0
	s_waitcnt lgkmcnt(0)
	v_mov_b32_e32 v21, s6
	s_branch .LBB90_3
.LBB90_2:
	v_mov_b32_e32 v1, s6
	v_cndmask_b32_e64 v21, 0, v1, s[4:5]
.LBB90_3:
	s_load_dwordx2 s[72:73], s[0:1], 0x80
	s_load_dwordx8 s[60:67], s[0:1], 0x58
	s_load_dwordx4 s[16:19], s[0:1], 0x40
	s_load_dwordx4 s[20:23], s[0:1], 0x8
	s_load_dwordx8 s[8:15], s[0:1], 0x20
	s_bitcmp1_b32 s3, 8
	s_cselect_b64 s[6:7], -1, 0
	s_xor_b64 s[28:29], s[6:7], -1
	s_or_b64 s[26:27], s[26:27], s[28:29]
	s_and_b64 vcc, exec, s[26:27]
	s_cbranch_vccnz .LBB90_5
; %bb.4:
	s_load_dword s3, s[24:25], 0x0
	s_waitcnt lgkmcnt(0)
	v_mov_b32_e32 v20, s3
	s_branch .LBB90_6
.LBB90_5:
	v_mov_b32_e32 v1, s24
	v_cndmask_b32_e64 v20, 0, v1, s[6:7]
.LBB90_6:
	s_load_dwordx2 s[74:75], s[0:1], 0x0
	v_lshl_add_u32 v1, v0, 2, 0
	v_add_u32_e32 v1, 0x8000, v1
	v_or_b32_e32 v18, 0xfffffc00, v0
	v_lshl_add_u32 v19, v0, 3, 0
	s_mov_b64 s[0:1], 0
	s_waitcnt lgkmcnt(0)
	v_mov_b64_e32 v[6:7], s[74:75]
	v_mov_b32_e32 v2, 0
	s_movk_i32 s3, 0xbff
	v_mov_b32_e32 v3, v19
	v_mov_b32_e32 v4, v18
	;; [unrolled: 1-line block ×3, first 2 shown]
.LBB90_7:                               ; =>This Inner Loop Header: Depth=1
	v_add_u32_e32 v4, 0x400, v4
	v_cmp_lt_u32_e32 vcc, s3, v4
	ds_write_b64 v3, v[6:7]
	ds_write_b32 v5, v2
	v_add_u32_e32 v5, 0x1000, v5
	s_or_b64 s[0:1], vcc, s[0:1]
	v_add_u32_e32 v3, 0x2000, v3
	s_andn2_b64 exec, exec, s[0:1]
	s_cbranch_execnz .LBB90_7
; %bb.8:
	s_or_b64 exec, exec, s[0:1]
	s_waitcnt lgkmcnt(0)
	s_barrier
	s_load_dwordx2 s[0:1], s[20:21], 0x0
	s_mov_b32 s3, 0
	s_waitcnt lgkmcnt(0)
	s_lshl_b64 s[0:1], s[0:1], 3
	s_add_u32 s20, s22, s0
	s_addc_u32 s21, s23, s1
	s_lshl_b64 s[0:1], s[2:3], 3
	s_add_u32 s0, s20, s0
	s_addc_u32 s1, s21, s1
	s_load_dwordx2 s[76:77], s[0:1], 0x0
	s_and_b64 vcc, exec, s[4:5]
	s_cbranch_vccz .LBB90_28
; %bb.9:
	s_waitcnt lgkmcnt(0)
	s_lshl_b64 s[0:1], s[76:77], 3
	s_add_u32 s0, s8, s0
	s_addc_u32 s1, s9, s1
	s_load_dwordx4 s[20:23], s[0:1], 0x0
	v_lshrrev_b32_e32 v2, 6, v0
	v_subrev_co_u32_e32 v2, vcc, s68, v2
	s_waitcnt lgkmcnt(0)
	s_sub_u32 s0, s22, s68
	v_subb_co_u32_e64 v3, s[2:3], 0, 0, vcc
	s_subb_u32 s1, s23, 0
	v_lshl_add_u64 v[2:3], s[20:21], 0, v[2:3]
	v_cmp_gt_i64_e32 vcc, s[0:1], v[2:3]
	s_and_saveexec_b64 s[2:3], vcc
	s_cbranch_execz .LBB90_27
; %bb.10:
	v_and_b32_e32 v4, 63, v0
	v_subrev_co_u32_e32 v4, vcc, s69, v4
	s_mov_b32 s33, s69
	s_nop 0
	v_subb_co_u32_e64 v5, s[4:5], 0, 0, vcc
	s_mov_b64 s[4:5], 0
	s_movk_i32 s38, 0x89
	s_branch .LBB90_12
.LBB90_11:                              ;   in Loop: Header=BB90_12 Depth=1
	s_or_b64 exec, exec, s[8:9]
	v_lshl_add_u64 v[2:3], v[2:3], 0, 16
	v_cmp_le_i64_e32 vcc, s[0:1], v[2:3]
	s_or_b64 s[4:5], vcc, s[4:5]
	s_andn2_b64 exec, exec, s[4:5]
	s_cbranch_execz .LBB90_27
.LBB90_12:                              ; =>This Loop Header: Depth=1
                                        ;     Child Loop BB90_16 Depth 2
                                        ;       Child Loop BB90_19 Depth 3
	v_lshl_add_u64 v[6:7], v[2:3], 3, s[10:11]
	global_load_dwordx2 v[6:7], v[6:7], off
	s_waitcnt vmcnt(0)
	v_subrev_co_u32_e32 v6, vcc, s68, v6
	s_nop 1
	v_subbrev_co_u32_e32 v7, vcc, 0, v7, vcc
	v_lshl_add_u64 v[6:7], v[6:7], 3, s[14:15]
	global_load_dwordx4 v[8:11], v[6:7], off
	s_waitcnt vmcnt(0)
	v_subrev_co_u32_e32 v6, vcc, s33, v10
	s_nop 1
	v_subbrev_co_u32_e32 v7, vcc, 0, v11, vcc
	v_lshl_add_u64 v[8:9], v[8:9], 0, v[4:5]
	v_cmp_lt_i64_e32 vcc, v[8:9], v[6:7]
	s_and_saveexec_b64 s[8:9], vcc
	s_cbranch_execz .LBB90_11
; %bb.13:                               ;   in Loop: Header=BB90_12 Depth=1
	v_lshl_add_u64 v[10:11], v[2:3], 2, s[12:13]
	global_load_dword v10, v[10:11], off
	s_mov_b64 s[20:21], 0
	s_waitcnt vmcnt(0)
	v_mul_f32_e32 v22, v21, v10
	s_branch .LBB90_16
.LBB90_14:                              ;   in Loop: Header=BB90_16 Depth=2
	s_or_b64 exec, exec, s[24:25]
.LBB90_15:                              ;   in Loop: Header=BB90_16 Depth=2
	s_or_b64 exec, exec, s[22:23]
	s_waitcnt vmcnt(0)
	v_mul_f32_e32 v10, v22, v23
	v_lshl_add_u32 v11, v12, 2, 0
	ds_add_f32 v11, v10 offset:32768
	v_lshl_add_u64 v[8:9], v[8:9], 0, 64
	v_cmp_ge_i64_e32 vcc, v[8:9], v[6:7]
	s_or_b64 s[20:21], vcc, s[20:21]
	s_andn2_b64 exec, exec, s[20:21]
	s_cbranch_execz .LBB90_11
.LBB90_16:                              ;   Parent Loop BB90_12 Depth=1
                                        ; =>  This Loop Header: Depth=2
                                        ;       Child Loop BB90_19 Depth 3
	v_lshl_add_u64 v[10:11], v[8:9], 3, s[16:17]
	global_load_dwordx2 v[10:11], v[10:11], off
	v_lshl_add_u64 v[12:13], v[8:9], 2, s[18:19]
	global_load_dword v23, v[12:13], off
	s_waitcnt vmcnt(1)
	v_subrev_co_u32_e32 v10, vcc, s33, v10
	v_mul_lo_u32 v12, v10, s38
	v_and_b32_e32 v12, 0xfff, v12
	v_lshl_add_u32 v24, v12, 3, 0
	ds_read_b64 v[16:17], v24
	v_subbrev_co_u32_e32 v11, vcc, 0, v11, vcc
	s_waitcnt lgkmcnt(0)
	v_cmp_ne_u64_e32 vcc, v[16:17], v[10:11]
	s_and_saveexec_b64 s[22:23], vcc
	s_cbranch_execz .LBB90_15
; %bb.17:                               ;   in Loop: Header=BB90_16 Depth=2
	s_mov_b64 s[24:25], 0
                                        ; implicit-def: $sgpr26_sgpr27
                                        ; implicit-def: $sgpr28_sgpr29
	s_branch .LBB90_19
.LBB90_18:                              ;   in Loop: Header=BB90_19 Depth=3
	s_or_b64 exec, exec, s[36:37]
	s_and_b64 s[30:31], exec, s[34:35]
	s_or_b64 s[24:25], s[30:31], s[24:25]
	s_andn2_b64 s[26:27], s[26:27], exec
	s_and_b64 s[30:31], s[28:29], exec
	s_or_b64 s[26:27], s[26:27], s[30:31]
	s_andn2_b64 exec, exec, s[24:25]
	s_cbranch_execz .LBB90_25
.LBB90_19:                              ;   Parent Loop BB90_12 Depth=1
                                        ;     Parent Loop BB90_16 Depth=2
                                        ; =>    This Inner Loop Header: Depth=3
	v_mov_b64_e32 v[14:15], v[12:13]
	v_cmp_ne_u64_e32 vcc, s[74:75], v[16:17]
	s_mov_b64 s[30:31], 0
                                        ; implicit-def: $vgpr12_vgpr13
	s_and_saveexec_b64 s[34:35], vcc
	s_xor_b64 s[34:35], exec, s[34:35]
; %bb.20:                               ;   in Loop: Header=BB90_19 Depth=3
	v_add_u32_e32 v12, 1, v14
	s_mov_b64 s[30:31], exec
	v_and_b32_e32 v12, 0xfff, v12
                                        ; implicit-def: $vgpr24
; %bb.21:                               ;   in Loop: Header=BB90_19 Depth=3
	s_andn2_saveexec_b64 s[34:35], s[34:35]
	s_cbranch_execz .LBB90_23
; %bb.22:                               ;   in Loop: Header=BB90_19 Depth=3
	v_mov_b64_e32 v[12:13], s[74:75]
	ds_cmpst_rtn_b64 v[12:13], v24, v[12:13], v[10:11]
	s_andn2_b64 s[30:31], s[30:31], exec
	s_waitcnt lgkmcnt(0)
	v_cmp_ne_u64_e32 vcc, s[74:75], v[12:13]
	s_and_b64 s[36:37], vcc, exec
	s_or_b64 s[30:31], s[30:31], s[36:37]
	v_mov_b64_e32 v[12:13], v[14:15]
.LBB90_23:                              ;   in Loop: Header=BB90_19 Depth=3
	s_or_b64 exec, exec, s[34:35]
	s_mov_b64 s[34:35], -1
	s_or_b64 s[28:29], s[28:29], exec
                                        ; implicit-def: $vgpr24
                                        ; implicit-def: $vgpr16_vgpr17
	s_and_saveexec_b64 s[36:37], s[30:31]
	s_cbranch_execz .LBB90_18
; %bb.24:                               ;   in Loop: Header=BB90_19 Depth=3
	v_lshl_add_u32 v24, v12, 3, 0
	ds_read_b64 v[16:17], v24
	s_andn2_b64 s[28:29], s[28:29], exec
	s_waitcnt lgkmcnt(0)
	v_cmp_eq_u64_e32 vcc, v[16:17], v[10:11]
	s_orn2_b64 s[34:35], vcc, exec
	s_branch .LBB90_18
.LBB90_25:                              ;   in Loop: Header=BB90_16 Depth=2
	s_or_b64 exec, exec, s[24:25]
	s_and_saveexec_b64 s[24:25], s[26:27]
	s_xor_b64 s[24:25], exec, s[24:25]
	s_cbranch_execz .LBB90_14
; %bb.26:                               ;   in Loop: Header=BB90_16 Depth=2
	v_mov_b32_e32 v12, v14
	s_branch .LBB90_14
.LBB90_27:
	s_or_b64 exec, exec, s[2:3]
.LBB90_28:
	s_andn2_b64 vcc, exec, s[6:7]
	s_cbranch_vccnz .LBB90_45
; %bb.29:
	s_waitcnt lgkmcnt(0)
	s_lshl_b64 s[0:1], s[76:77], 3
	s_add_u32 s0, s60, s0
	s_addc_u32 s1, s61, s1
	s_load_dwordx4 s[4:7], s[0:1], 0x0
	v_subrev_co_u32_e32 v2, vcc, s71, v0
	s_waitcnt lgkmcnt(0)
	s_sub_u32 s0, s6, s71
	v_subb_co_u32_e64 v3, s[2:3], 0, 0, vcc
	s_subb_u32 s1, s7, 0
	v_lshl_add_u64 v[2:3], s[4:5], 0, v[2:3]
	v_cmp_gt_i64_e32 vcc, s[0:1], v[2:3]
	s_and_saveexec_b64 s[2:3], vcc
	s_cbranch_execz .LBB90_44
; %bb.30:
	s_mov_b32 s22, s71
	s_mov_b64 s[4:5], 0
	s_movk_i32 s23, 0x89
	s_mov_b64 s[6:7], 0x400
	s_branch .LBB90_33
.LBB90_31:                              ;   in Loop: Header=BB90_33 Depth=1
	s_or_b64 exec, exec, s[10:11]
.LBB90_32:                              ;   in Loop: Header=BB90_33 Depth=1
	s_or_b64 exec, exec, s[8:9]
	s_waitcnt vmcnt(0)
	v_mul_f32_e32 v4, v20, v12
	v_lshl_add_u32 v5, v6, 2, 0
	ds_add_f32 v5, v4 offset:32768
	v_lshl_add_u64 v[2:3], v[2:3], 0, s[6:7]
	v_cmp_le_i64_e32 vcc, s[0:1], v[2:3]
	s_or_b64 s[4:5], vcc, s[4:5]
	s_andn2_b64 exec, exec, s[4:5]
	s_cbranch_execz .LBB90_44
.LBB90_33:                              ; =>This Loop Header: Depth=1
                                        ;     Child Loop BB90_36 Depth 2
	v_lshl_add_u64 v[4:5], v[2:3], 3, s[62:63]
	global_load_dwordx2 v[4:5], v[4:5], off
	v_lshl_add_u64 v[6:7], v[2:3], 2, s[64:65]
	global_load_dword v12, v[6:7], off
	s_waitcnt vmcnt(1)
	v_subrev_co_u32_e32 v4, vcc, s22, v4
	v_mul_lo_u32 v6, v4, s23
	v_and_b32_e32 v6, 0xfff, v6
	v_lshl_add_u32 v13, v6, 3, 0
	ds_read_b64 v[10:11], v13
	v_subbrev_co_u32_e32 v5, vcc, 0, v5, vcc
	s_waitcnt lgkmcnt(0)
	v_cmp_ne_u64_e32 vcc, v[10:11], v[4:5]
	s_and_saveexec_b64 s[8:9], vcc
	s_cbranch_execz .LBB90_32
; %bb.34:                               ;   in Loop: Header=BB90_33 Depth=1
	s_mov_b64 s[10:11], 0
                                        ; implicit-def: $sgpr12_sgpr13
                                        ; implicit-def: $sgpr14_sgpr15
	s_branch .LBB90_36
.LBB90_35:                              ;   in Loop: Header=BB90_36 Depth=2
	s_or_b64 exec, exec, s[20:21]
	s_and_b64 s[16:17], exec, s[18:19]
	s_or_b64 s[10:11], s[16:17], s[10:11]
	s_andn2_b64 s[12:13], s[12:13], exec
	s_and_b64 s[16:17], s[14:15], exec
	s_or_b64 s[12:13], s[12:13], s[16:17]
	s_andn2_b64 exec, exec, s[10:11]
	s_cbranch_execz .LBB90_42
.LBB90_36:                              ;   Parent Loop BB90_33 Depth=1
                                        ; =>  This Inner Loop Header: Depth=2
	v_mov_b64_e32 v[8:9], v[6:7]
	v_cmp_ne_u64_e32 vcc, s[74:75], v[10:11]
	s_mov_b64 s[16:17], 0
                                        ; implicit-def: $vgpr6_vgpr7
	s_and_saveexec_b64 s[18:19], vcc
	s_xor_b64 s[18:19], exec, s[18:19]
; %bb.37:                               ;   in Loop: Header=BB90_36 Depth=2
	v_add_u32_e32 v6, 1, v8
	s_mov_b64 s[16:17], exec
	v_and_b32_e32 v6, 0xfff, v6
                                        ; implicit-def: $vgpr13
; %bb.38:                               ;   in Loop: Header=BB90_36 Depth=2
	s_andn2_saveexec_b64 s[18:19], s[18:19]
	s_cbranch_execz .LBB90_40
; %bb.39:                               ;   in Loop: Header=BB90_36 Depth=2
	v_mov_b64_e32 v[6:7], s[74:75]
	ds_cmpst_rtn_b64 v[6:7], v13, v[6:7], v[4:5]
	s_andn2_b64 s[16:17], s[16:17], exec
	s_waitcnt lgkmcnt(0)
	v_cmp_ne_u64_e32 vcc, s[74:75], v[6:7]
	s_and_b64 s[20:21], vcc, exec
	s_or_b64 s[16:17], s[16:17], s[20:21]
	v_mov_b64_e32 v[6:7], v[8:9]
.LBB90_40:                              ;   in Loop: Header=BB90_36 Depth=2
	s_or_b64 exec, exec, s[18:19]
	s_mov_b64 s[18:19], -1
	s_or_b64 s[14:15], s[14:15], exec
                                        ; implicit-def: $vgpr13
                                        ; implicit-def: $vgpr10_vgpr11
	s_and_saveexec_b64 s[20:21], s[16:17]
	s_cbranch_execz .LBB90_35
; %bb.41:                               ;   in Loop: Header=BB90_36 Depth=2
	v_lshl_add_u32 v13, v6, 3, 0
	ds_read_b64 v[10:11], v13
	s_andn2_b64 s[14:15], s[14:15], exec
	s_waitcnt lgkmcnt(0)
	v_cmp_eq_u64_e32 vcc, v[10:11], v[4:5]
	s_orn2_b64 s[18:19], vcc, exec
	s_branch .LBB90_35
.LBB90_42:                              ;   in Loop: Header=BB90_33 Depth=1
	s_or_b64 exec, exec, s[10:11]
	s_and_saveexec_b64 s[10:11], s[12:13]
	s_xor_b64 s[10:11], exec, s[10:11]
	s_cbranch_execz .LBB90_31
; %bb.43:                               ;   in Loop: Header=BB90_33 Depth=1
	v_mov_b32_e32 v6, v8
	s_branch .LBB90_31
.LBB90_44:
	s_or_b64 exec, exec, s[2:3]
.LBB90_45:
	s_movk_i32 s33, 0x21f
	v_cmp_lt_u32_e64 s[34:35], s33, v0
	s_movk_i32 s33, 0x23f
	v_cmp_lt_u32_e64 s[36:37], s33, v0
	s_movk_i32 s33, 0x25f
	v_cmp_lt_u32_e64 s[38:39], s33, v0
	s_movk_i32 s33, 0x27f
	v_cmp_lt_u32_e64 s[40:41], s33, v0
	s_movk_i32 s33, 0x29f
	v_cmp_lt_u32_e64 s[42:43], s33, v0
	s_movk_i32 s33, 0x2bf
	v_cmp_lt_u32_e64 s[44:45], s33, v0
	s_movk_i32 s33, 0x2df
	v_cmp_lt_u32_e64 s[46:47], s33, v0
	s_movk_i32 s33, 0x2ff
	v_cmp_lt_u32_e64 s[48:49], s33, v0
	s_movk_i32 s33, 0x31f
	v_cmp_lt_u32_e64 s[50:51], s33, v0
	s_movk_i32 s33, 0x33f
	v_mbcnt_lo_u32_b32 v2, -1, 0
	v_cmp_lt_u32_e64 s[52:53], s33, v0
	s_movk_i32 s33, 0x35f
	v_mbcnt_hi_u32_b32 v2, -1, v2
	v_cmp_lt_u32_e64 s[54:55], s33, v0
	s_movk_i32 s33, 0x37f
	v_sub_u32_e32 v2, 63, v2
	v_cmp_lt_u32_e64 s[56:57], s33, v0
	s_movk_i32 s33, 0x39f
	v_lshrrev_b64 v[4:5], v2, -1
	v_lshrrev_b32_e32 v2, 2, v0
	v_cmp_lt_u32_e64 s[58:59], s33, v0
	s_movk_i32 s33, 0x3bf
	v_and_b32_e32 v2, 0xf8, v2
	s_movk_i32 s0, 0x3ff
	s_movk_i32 s4, 0x5f
	;; [unrolled: 1-line block ×15, first 2 shown]
	v_cmp_lt_u32_e64 s[60:61], s33, v0
	s_movk_i32 s33, 0x3df
	v_mov_b32_e32 v3, 0
	v_add_u32_e32 v12, 0, v2
	v_cmp_eq_u32_e32 vcc, s0, v0
	v_cmp_lt_u32_e64 s[0:1], 31, v0
	v_cmp_lt_u32_e64 s[2:3], 63, v0
	;; [unrolled: 1-line block ×17, first 2 shown]
	s_mov_b64 s[68:69], 0
	v_mov_b64_e32 v[6:7], 0
	s_movk_i32 s33, 0xbff
	s_waitcnt lgkmcnt(0)
	s_barrier
	s_branch .LBB90_47
.LBB90_46:                              ;   in Loop: Header=BB90_47 Depth=1
	s_or_b64 exec, exec, s[64:65]
	s_waitcnt lgkmcnt(0)
	s_barrier
	ds_read_b64 v[8:9], v3 offset:49400
	v_add_u32_e32 v18, 0x400, v18
	v_cmp_lt_u32_e64 s[64:65], s33, v18
	v_add_u32_e32 v1, 0x1000, v1
	s_or_b64 s[68:69], s[64:65], s[68:69]
	s_waitcnt lgkmcnt(0)
	v_lshl_add_u64 v[6:7], v[8:9], 0, v[6:7]
	v_add_u32_e32 v19, 0x2000, v19
	s_andn2_b64 exec, exec, s[68:69]
	s_cbranch_execz .LBB90_113
.LBB90_47:                              ; =>This Inner Loop Header: Depth=1
	ds_read_b64 v[8:9], v19
	ds_read_b32 v13, v1
	s_waitcnt lgkmcnt(0)
	s_barrier
	v_cmp_gt_i64_e64 s[64:65], s[74:75], v[8:9]
	s_bcnt1_i32_b64 s71, s[64:65]
	v_mov_b32_e32 v2, s71
	v_and_b32_e32 v11, s64, v4
	v_and_b32_e32 v10, s65, v5
	v_bcnt_u32_b32 v11, v11, 0
	v_bcnt_u32_b32 v10, v10, v11
	ds_write_b64 v12, v[2:3] offset:49152
	s_waitcnt lgkmcnt(0)
	s_barrier
	s_and_saveexec_b64 s[78:79], s[0:1]
	s_cbranch_execnz .LBB90_80
; %bb.48:                               ;   in Loop: Header=BB90_47 Depth=1
	s_or_b64 exec, exec, s[78:79]
	s_and_saveexec_b64 s[78:79], s[2:3]
	s_cbranch_execnz .LBB90_81
.LBB90_49:                              ;   in Loop: Header=BB90_47 Depth=1
	s_or_b64 exec, exec, s[78:79]
	s_and_saveexec_b64 s[78:79], s[4:5]
	s_cbranch_execnz .LBB90_82
.LBB90_50:                              ;   in Loop: Header=BB90_47 Depth=1
	s_or_b64 exec, exec, s[78:79]
	s_and_saveexec_b64 s[78:79], s[6:7]
	s_cbranch_execnz .LBB90_83
.LBB90_51:                              ;   in Loop: Header=BB90_47 Depth=1
	s_or_b64 exec, exec, s[78:79]
	s_and_saveexec_b64 s[78:79], s[8:9]
	s_cbranch_execnz .LBB90_84
.LBB90_52:                              ;   in Loop: Header=BB90_47 Depth=1
	s_or_b64 exec, exec, s[78:79]
	s_and_saveexec_b64 s[78:79], s[10:11]
	s_cbranch_execnz .LBB90_85
.LBB90_53:                              ;   in Loop: Header=BB90_47 Depth=1
	s_or_b64 exec, exec, s[78:79]
	s_and_saveexec_b64 s[78:79], s[12:13]
	s_cbranch_execnz .LBB90_86
.LBB90_54:                              ;   in Loop: Header=BB90_47 Depth=1
	s_or_b64 exec, exec, s[78:79]
	s_and_saveexec_b64 s[78:79], s[14:15]
	s_cbranch_execnz .LBB90_87
.LBB90_55:                              ;   in Loop: Header=BB90_47 Depth=1
	s_or_b64 exec, exec, s[78:79]
	s_and_saveexec_b64 s[78:79], s[16:17]
	s_cbranch_execnz .LBB90_88
.LBB90_56:                              ;   in Loop: Header=BB90_47 Depth=1
	s_or_b64 exec, exec, s[78:79]
	s_and_saveexec_b64 s[78:79], s[18:19]
	s_cbranch_execnz .LBB90_89
.LBB90_57:                              ;   in Loop: Header=BB90_47 Depth=1
	s_or_b64 exec, exec, s[78:79]
	s_and_saveexec_b64 s[78:79], s[20:21]
	s_cbranch_execnz .LBB90_90
.LBB90_58:                              ;   in Loop: Header=BB90_47 Depth=1
	s_or_b64 exec, exec, s[78:79]
	s_and_saveexec_b64 s[78:79], s[22:23]
	s_cbranch_execnz .LBB90_91
.LBB90_59:                              ;   in Loop: Header=BB90_47 Depth=1
	s_or_b64 exec, exec, s[78:79]
	s_and_saveexec_b64 s[78:79], s[24:25]
	s_cbranch_execnz .LBB90_92
.LBB90_60:                              ;   in Loop: Header=BB90_47 Depth=1
	s_or_b64 exec, exec, s[78:79]
	s_and_saveexec_b64 s[78:79], s[26:27]
	s_cbranch_execnz .LBB90_93
.LBB90_61:                              ;   in Loop: Header=BB90_47 Depth=1
	s_or_b64 exec, exec, s[78:79]
	s_and_saveexec_b64 s[78:79], s[28:29]
	s_cbranch_execnz .LBB90_94
.LBB90_62:                              ;   in Loop: Header=BB90_47 Depth=1
	s_or_b64 exec, exec, s[78:79]
	s_and_saveexec_b64 s[78:79], s[30:31]
	s_cbranch_execnz .LBB90_95
.LBB90_63:                              ;   in Loop: Header=BB90_47 Depth=1
	s_or_b64 exec, exec, s[78:79]
	s_and_saveexec_b64 s[78:79], s[34:35]
	s_cbranch_execnz .LBB90_96
.LBB90_64:                              ;   in Loop: Header=BB90_47 Depth=1
	s_or_b64 exec, exec, s[78:79]
	s_and_saveexec_b64 s[78:79], s[36:37]
	s_cbranch_execnz .LBB90_97
.LBB90_65:                              ;   in Loop: Header=BB90_47 Depth=1
	s_or_b64 exec, exec, s[78:79]
	s_and_saveexec_b64 s[78:79], s[38:39]
	s_cbranch_execnz .LBB90_98
.LBB90_66:                              ;   in Loop: Header=BB90_47 Depth=1
	s_or_b64 exec, exec, s[78:79]
	s_and_saveexec_b64 s[78:79], s[40:41]
	s_cbranch_execnz .LBB90_99
.LBB90_67:                              ;   in Loop: Header=BB90_47 Depth=1
	s_or_b64 exec, exec, s[78:79]
	s_and_saveexec_b64 s[78:79], s[42:43]
	s_cbranch_execnz .LBB90_100
.LBB90_68:                              ;   in Loop: Header=BB90_47 Depth=1
	s_or_b64 exec, exec, s[78:79]
	s_and_saveexec_b64 s[78:79], s[44:45]
	s_cbranch_execnz .LBB90_101
.LBB90_69:                              ;   in Loop: Header=BB90_47 Depth=1
	s_or_b64 exec, exec, s[78:79]
	s_and_saveexec_b64 s[78:79], s[46:47]
	s_cbranch_execnz .LBB90_102
.LBB90_70:                              ;   in Loop: Header=BB90_47 Depth=1
	s_or_b64 exec, exec, s[78:79]
	s_and_saveexec_b64 s[78:79], s[48:49]
	s_cbranch_execnz .LBB90_103
.LBB90_71:                              ;   in Loop: Header=BB90_47 Depth=1
	s_or_b64 exec, exec, s[78:79]
	s_and_saveexec_b64 s[78:79], s[50:51]
	s_cbranch_execnz .LBB90_104
.LBB90_72:                              ;   in Loop: Header=BB90_47 Depth=1
	s_or_b64 exec, exec, s[78:79]
	s_and_saveexec_b64 s[78:79], s[52:53]
	s_cbranch_execnz .LBB90_105
.LBB90_73:                              ;   in Loop: Header=BB90_47 Depth=1
	s_or_b64 exec, exec, s[78:79]
	s_and_saveexec_b64 s[78:79], s[54:55]
	s_cbranch_execnz .LBB90_106
.LBB90_74:                              ;   in Loop: Header=BB90_47 Depth=1
	s_or_b64 exec, exec, s[78:79]
	s_and_saveexec_b64 s[78:79], s[56:57]
	s_cbranch_execnz .LBB90_107
.LBB90_75:                              ;   in Loop: Header=BB90_47 Depth=1
	s_or_b64 exec, exec, s[78:79]
	s_and_saveexec_b64 s[78:79], s[58:59]
	s_cbranch_execnz .LBB90_108
.LBB90_76:                              ;   in Loop: Header=BB90_47 Depth=1
	s_or_b64 exec, exec, s[78:79]
	s_and_saveexec_b64 s[78:79], s[60:61]
	s_cbranch_execnz .LBB90_109
.LBB90_77:                              ;   in Loop: Header=BB90_47 Depth=1
	s_or_b64 exec, exec, s[78:79]
	s_and_saveexec_b64 s[78:79], s[62:63]
	s_cbranch_execnz .LBB90_110
.LBB90_78:                              ;   in Loop: Header=BB90_47 Depth=1
	s_or_b64 exec, exec, s[78:79]
	v_ashrrev_i32_e32 v11, 31, v10
	s_and_saveexec_b64 s[78:79], s[64:65]
	s_cbranch_execnz .LBB90_111
.LBB90_79:                              ;   in Loop: Header=BB90_47 Depth=1
	s_or_b64 exec, exec, s[78:79]
	s_and_saveexec_b64 s[64:65], vcc
	s_cbranch_execz .LBB90_46
	s_branch .LBB90_112
.LBB90_80:                              ;   in Loop: Header=BB90_47 Depth=1
	ds_read_b32 v2, v3 offset:49152
	s_waitcnt lgkmcnt(0)
	v_add_u32_e32 v10, v2, v10
	s_or_b64 exec, exec, s[78:79]
	s_and_saveexec_b64 s[78:79], s[2:3]
	s_cbranch_execz .LBB90_49
.LBB90_81:                              ;   in Loop: Header=BB90_47 Depth=1
	ds_read_b32 v2, v3 offset:49160
	s_waitcnt lgkmcnt(0)
	v_add_u32_e32 v10, v10, v2
	s_or_b64 exec, exec, s[78:79]
	s_and_saveexec_b64 s[78:79], s[4:5]
	s_cbranch_execz .LBB90_50
.LBB90_82:                              ;   in Loop: Header=BB90_47 Depth=1
	ds_read_b32 v2, v3 offset:49168
	s_waitcnt lgkmcnt(0)
	v_add_u32_e32 v10, v10, v2
	s_or_b64 exec, exec, s[78:79]
	s_and_saveexec_b64 s[78:79], s[6:7]
	s_cbranch_execz .LBB90_51
.LBB90_83:                              ;   in Loop: Header=BB90_47 Depth=1
	ds_read_b32 v2, v3 offset:49176
	s_waitcnt lgkmcnt(0)
	v_add_u32_e32 v10, v10, v2
	s_or_b64 exec, exec, s[78:79]
	s_and_saveexec_b64 s[78:79], s[8:9]
	s_cbranch_execz .LBB90_52
.LBB90_84:                              ;   in Loop: Header=BB90_47 Depth=1
	ds_read_b32 v2, v3 offset:49184
	s_waitcnt lgkmcnt(0)
	v_add_u32_e32 v10, v10, v2
	s_or_b64 exec, exec, s[78:79]
	s_and_saveexec_b64 s[78:79], s[10:11]
	s_cbranch_execz .LBB90_53
.LBB90_85:                              ;   in Loop: Header=BB90_47 Depth=1
	ds_read_b32 v2, v3 offset:49192
	s_waitcnt lgkmcnt(0)
	v_add_u32_e32 v10, v10, v2
	s_or_b64 exec, exec, s[78:79]
	s_and_saveexec_b64 s[78:79], s[12:13]
	s_cbranch_execz .LBB90_54
.LBB90_86:                              ;   in Loop: Header=BB90_47 Depth=1
	ds_read_b32 v2, v3 offset:49200
	s_waitcnt lgkmcnt(0)
	v_add_u32_e32 v10, v10, v2
	s_or_b64 exec, exec, s[78:79]
	s_and_saveexec_b64 s[78:79], s[14:15]
	s_cbranch_execz .LBB90_55
.LBB90_87:                              ;   in Loop: Header=BB90_47 Depth=1
	ds_read_b32 v2, v3 offset:49208
	s_waitcnt lgkmcnt(0)
	v_add_u32_e32 v10, v10, v2
	s_or_b64 exec, exec, s[78:79]
	s_and_saveexec_b64 s[78:79], s[16:17]
	s_cbranch_execz .LBB90_56
.LBB90_88:                              ;   in Loop: Header=BB90_47 Depth=1
	ds_read_b32 v2, v3 offset:49216
	s_waitcnt lgkmcnt(0)
	v_add_u32_e32 v10, v10, v2
	s_or_b64 exec, exec, s[78:79]
	s_and_saveexec_b64 s[78:79], s[18:19]
	s_cbranch_execz .LBB90_57
.LBB90_89:                              ;   in Loop: Header=BB90_47 Depth=1
	ds_read_b32 v2, v3 offset:49224
	s_waitcnt lgkmcnt(0)
	v_add_u32_e32 v10, v10, v2
	s_or_b64 exec, exec, s[78:79]
	s_and_saveexec_b64 s[78:79], s[20:21]
	s_cbranch_execz .LBB90_58
.LBB90_90:                              ;   in Loop: Header=BB90_47 Depth=1
	ds_read_b32 v2, v3 offset:49232
	s_waitcnt lgkmcnt(0)
	v_add_u32_e32 v10, v10, v2
	s_or_b64 exec, exec, s[78:79]
	s_and_saveexec_b64 s[78:79], s[22:23]
	s_cbranch_execz .LBB90_59
.LBB90_91:                              ;   in Loop: Header=BB90_47 Depth=1
	ds_read_b32 v2, v3 offset:49240
	s_waitcnt lgkmcnt(0)
	v_add_u32_e32 v10, v10, v2
	s_or_b64 exec, exec, s[78:79]
	s_and_saveexec_b64 s[78:79], s[24:25]
	s_cbranch_execz .LBB90_60
.LBB90_92:                              ;   in Loop: Header=BB90_47 Depth=1
	ds_read_b32 v2, v3 offset:49248
	s_waitcnt lgkmcnt(0)
	v_add_u32_e32 v10, v10, v2
	s_or_b64 exec, exec, s[78:79]
	s_and_saveexec_b64 s[78:79], s[26:27]
	s_cbranch_execz .LBB90_61
.LBB90_93:                              ;   in Loop: Header=BB90_47 Depth=1
	ds_read_b32 v2, v3 offset:49256
	s_waitcnt lgkmcnt(0)
	v_add_u32_e32 v10, v10, v2
	s_or_b64 exec, exec, s[78:79]
	s_and_saveexec_b64 s[78:79], s[28:29]
	s_cbranch_execz .LBB90_62
.LBB90_94:                              ;   in Loop: Header=BB90_47 Depth=1
	ds_read_b32 v2, v3 offset:49264
	s_waitcnt lgkmcnt(0)
	v_add_u32_e32 v10, v10, v2
	s_or_b64 exec, exec, s[78:79]
	s_and_saveexec_b64 s[78:79], s[30:31]
	s_cbranch_execz .LBB90_63
.LBB90_95:                              ;   in Loop: Header=BB90_47 Depth=1
	ds_read_b32 v2, v3 offset:49272
	s_waitcnt lgkmcnt(0)
	v_add_u32_e32 v10, v10, v2
	s_or_b64 exec, exec, s[78:79]
	s_and_saveexec_b64 s[78:79], s[34:35]
	s_cbranch_execz .LBB90_64
.LBB90_96:                              ;   in Loop: Header=BB90_47 Depth=1
	ds_read_b32 v2, v3 offset:49280
	s_waitcnt lgkmcnt(0)
	v_add_u32_e32 v10, v10, v2
	s_or_b64 exec, exec, s[78:79]
	s_and_saveexec_b64 s[78:79], s[36:37]
	s_cbranch_execz .LBB90_65
.LBB90_97:                              ;   in Loop: Header=BB90_47 Depth=1
	ds_read_b32 v2, v3 offset:49288
	s_waitcnt lgkmcnt(0)
	v_add_u32_e32 v10, v10, v2
	s_or_b64 exec, exec, s[78:79]
	s_and_saveexec_b64 s[78:79], s[38:39]
	s_cbranch_execz .LBB90_66
.LBB90_98:                              ;   in Loop: Header=BB90_47 Depth=1
	ds_read_b32 v2, v3 offset:49296
	s_waitcnt lgkmcnt(0)
	v_add_u32_e32 v10, v10, v2
	s_or_b64 exec, exec, s[78:79]
	s_and_saveexec_b64 s[78:79], s[40:41]
	s_cbranch_execz .LBB90_67
.LBB90_99:                              ;   in Loop: Header=BB90_47 Depth=1
	ds_read_b32 v2, v3 offset:49304
	s_waitcnt lgkmcnt(0)
	v_add_u32_e32 v10, v10, v2
	s_or_b64 exec, exec, s[78:79]
	s_and_saveexec_b64 s[78:79], s[42:43]
	s_cbranch_execz .LBB90_68
.LBB90_100:                             ;   in Loop: Header=BB90_47 Depth=1
	ds_read_b32 v2, v3 offset:49312
	s_waitcnt lgkmcnt(0)
	v_add_u32_e32 v10, v10, v2
	s_or_b64 exec, exec, s[78:79]
	s_and_saveexec_b64 s[78:79], s[44:45]
	s_cbranch_execz .LBB90_69
.LBB90_101:                             ;   in Loop: Header=BB90_47 Depth=1
	ds_read_b32 v2, v3 offset:49320
	s_waitcnt lgkmcnt(0)
	v_add_u32_e32 v10, v10, v2
	s_or_b64 exec, exec, s[78:79]
	s_and_saveexec_b64 s[78:79], s[46:47]
	s_cbranch_execz .LBB90_70
.LBB90_102:                             ;   in Loop: Header=BB90_47 Depth=1
	ds_read_b32 v2, v3 offset:49328
	s_waitcnt lgkmcnt(0)
	v_add_u32_e32 v10, v10, v2
	s_or_b64 exec, exec, s[78:79]
	s_and_saveexec_b64 s[78:79], s[48:49]
	s_cbranch_execz .LBB90_71
.LBB90_103:                             ;   in Loop: Header=BB90_47 Depth=1
	ds_read_b32 v2, v3 offset:49336
	s_waitcnt lgkmcnt(0)
	v_add_u32_e32 v10, v10, v2
	s_or_b64 exec, exec, s[78:79]
	s_and_saveexec_b64 s[78:79], s[50:51]
	s_cbranch_execz .LBB90_72
.LBB90_104:                             ;   in Loop: Header=BB90_47 Depth=1
	ds_read_b32 v2, v3 offset:49344
	s_waitcnt lgkmcnt(0)
	v_add_u32_e32 v10, v10, v2
	s_or_b64 exec, exec, s[78:79]
	s_and_saveexec_b64 s[78:79], s[52:53]
	s_cbranch_execz .LBB90_73
.LBB90_105:                             ;   in Loop: Header=BB90_47 Depth=1
	ds_read_b32 v2, v3 offset:49352
	s_waitcnt lgkmcnt(0)
	v_add_u32_e32 v10, v10, v2
	s_or_b64 exec, exec, s[78:79]
	s_and_saveexec_b64 s[78:79], s[54:55]
	s_cbranch_execz .LBB90_74
.LBB90_106:                             ;   in Loop: Header=BB90_47 Depth=1
	ds_read_b32 v2, v3 offset:49360
	s_waitcnt lgkmcnt(0)
	v_add_u32_e32 v10, v10, v2
	s_or_b64 exec, exec, s[78:79]
	s_and_saveexec_b64 s[78:79], s[56:57]
	s_cbranch_execz .LBB90_75
.LBB90_107:                             ;   in Loop: Header=BB90_47 Depth=1
	ds_read_b32 v2, v3 offset:49368
	s_waitcnt lgkmcnt(0)
	v_add_u32_e32 v10, v10, v2
	s_or_b64 exec, exec, s[78:79]
	s_and_saveexec_b64 s[78:79], s[58:59]
	s_cbranch_execz .LBB90_76
.LBB90_108:                             ;   in Loop: Header=BB90_47 Depth=1
	ds_read_b32 v2, v3 offset:49376
	s_waitcnt lgkmcnt(0)
	v_add_u32_e32 v10, v10, v2
	s_or_b64 exec, exec, s[78:79]
	s_and_saveexec_b64 s[78:79], s[60:61]
	s_cbranch_execz .LBB90_77
.LBB90_109:                             ;   in Loop: Header=BB90_47 Depth=1
	ds_read_b32 v2, v3 offset:49384
	s_waitcnt lgkmcnt(0)
	v_add_u32_e32 v10, v10, v2
	s_or_b64 exec, exec, s[78:79]
	s_and_saveexec_b64 s[78:79], s[62:63]
	s_cbranch_execz .LBB90_78
.LBB90_110:                             ;   in Loop: Header=BB90_47 Depth=1
	ds_read_b32 v2, v3 offset:49392
	s_waitcnt lgkmcnt(0)
	v_add_u32_e32 v10, v10, v2
	s_or_b64 exec, exec, s[78:79]
	v_ashrrev_i32_e32 v11, 31, v10
	s_and_saveexec_b64 s[78:79], s[64:65]
	s_cbranch_execz .LBB90_79
.LBB90_111:                             ;   in Loop: Header=BB90_47 Depth=1
	v_add3_u32 v2, v6, -1, v10
	v_lshl_add_u32 v2, v2, 3, 0
	v_add_u32_e32 v14, v6, v10
	v_lshl_add_u32 v14, v14, 2, 0
	ds_write_b64 v2, v[8:9]
	ds_write_b32 v14, v13 offset:32764
	s_or_b64 exec, exec, s[78:79]
	s_and_saveexec_b64 s[64:65], vcc
	s_cbranch_execz .LBB90_46
.LBB90_112:                             ;   in Loop: Header=BB90_47 Depth=1
	ds_write_b64 v3, v[10:11] offset:49400
	s_branch .LBB90_46
.LBB90_113:
	s_or_b64 exec, exec, s[68:69]
	s_lshl_b64 s[0:1], s[76:77], 3
	s_add_u32 s4, s66, s0
	s_addc_u32 s5, s67, s1
	s_load_dwordx4 s[0:3], s[4:5], 0x0
	v_mov_b32_e32 v1, 0
	s_waitcnt lgkmcnt(0)
	s_sub_u32 s4, s2, s0
	s_subb_u32 s5, s3, s1
	v_cmp_gt_i64_e32 vcc, s[4:5], v[0:1]
	s_and_saveexec_b64 s[6:7], vcc
	s_cbranch_execz .LBB90_123
; %bb.114:
	s_sub_u32 s8, s0, s70
	s_subb_u32 s9, s1, 0
	s_and_b32 s6, s4, 7
	s_sub_u32 s0, s0, s2
	s_mov_b32 s7, 0
	s_subb_u32 s1, s1, s3
	s_and_b32 s10, s4, -8
	s_cmp_lg_u64 s[6:7], 0
	v_cmp_lt_u64_e64 s[0:1], s[0:1], -7
	s_cselect_b64 s[2:3], -1, 0
	s_mov_b32 s11, s5
	v_cndmask_b32_e64 v2, 0, 1, s[0:1]
	v_cmp_ne_u32_e64 s[0:1], 1, v2
	v_cndmask_b32_e64 v2, 0, 1, s[2:3]
	s_mov_b64 s[12:13], 0
	v_cmp_ne_u32_e64 s[2:3], 1, v2
	s_mov_b64 s[14:15], 0x400
	s_branch .LBB90_116
.LBB90_115:                             ;   in Loop: Header=BB90_116 Depth=1
	v_lshl_add_u64 v[0:1], v[0:1], 0, s[14:15]
	v_cmp_le_i64_e32 vcc, s[4:5], v[0:1]
	s_waitcnt lgkmcnt(1)
	v_lshl_add_u64 v[2:3], v[4:5], 2, s[72:73]
	s_or_b64 s[12:13], vcc, s[12:13]
	s_waitcnt lgkmcnt(0)
	global_store_dword v[2:3], v6, off
	s_andn2_b64 exec, exec, s[12:13]
	s_cbranch_execz .LBB90_123
.LBB90_116:                             ; =>This Loop Header: Depth=1
                                        ;     Child Loop BB90_118 Depth 2
                                        ;     Child Loop BB90_122 Depth 2
	v_lshl_add_u32 v2, v0, 3, 0
	v_lshlrev_b32_e32 v3, 2, v0
	v_sub_u32_e32 v4, v2, v3
	ds_read_b64 v[2:3], v2
	ds_read_b32 v6, v4 offset:32768
	s_and_b64 vcc, exec, s[0:1]
	v_mov_b64_e32 v[4:5], s[8:9]
	s_mov_b64 s[16:17], 0
	s_cbranch_vccnz .LBB90_120
; %bb.117:                              ;   in Loop: Header=BB90_116 Depth=1
	s_mov_b32 s18, 0
	v_mov_b64_e32 v[4:5], s[8:9]
.LBB90_118:                             ;   Parent Loop BB90_116 Depth=1
                                        ; =>  This Inner Loop Header: Depth=2
	v_mov_b32_e32 v7, s18
	ds_read2_b64 v[8:11], v7 offset1:1
	ds_read2_b64 v[12:15], v7 offset0:2 offset1:3
	ds_read2_b64 v[16:19], v7 offset0:4 offset1:5
	;; [unrolled: 1-line block ×3, first 2 shown]
	v_mov_b32_e32 v25, s7
	s_waitcnt lgkmcnt(3)
	v_cmp_gt_i64_e32 vcc, v[2:3], v[8:9]
	v_mov_b32_e32 v27, s7
	v_mov_b32_e32 v29, s7
	v_cndmask_b32_e64 v24, 0, 1, vcc
	v_cmp_gt_i64_e32 vcc, v[2:3], v[10:11]
	v_lshl_add_u64 v[4:5], v[4:5], 0, v[24:25]
	v_mov_b32_e32 v31, s7
	v_cndmask_b32_e64 v26, 0, 1, vcc
	s_waitcnt lgkmcnt(2)
	v_cmp_gt_i64_e32 vcc, v[2:3], v[12:13]
	v_lshl_add_u64 v[4:5], v[4:5], 0, v[26:27]
	v_mov_b32_e32 v33, s7
	v_cndmask_b32_e64 v28, 0, 1, vcc
	v_cmp_gt_i64_e32 vcc, v[2:3], v[14:15]
	v_lshl_add_u64 v[4:5], v[4:5], 0, v[28:29]
	v_mov_b32_e32 v35, s7
	v_cndmask_b32_e64 v30, 0, 1, vcc
	s_waitcnt lgkmcnt(1)
	v_cmp_gt_i64_e32 vcc, v[2:3], v[16:17]
	v_lshl_add_u64 v[4:5], v[4:5], 0, v[30:31]
	v_mov_b32_e32 v37, s7
	v_cndmask_b32_e64 v32, 0, 1, vcc
	v_cmp_gt_i64_e32 vcc, v[2:3], v[18:19]
	v_lshl_add_u64 v[4:5], v[4:5], 0, v[32:33]
	s_add_u32 s16, s16, 8
	v_cndmask_b32_e64 v34, 0, 1, vcc
	s_waitcnt lgkmcnt(0)
	v_cmp_gt_i64_e32 vcc, v[2:3], v[20:21]
	v_lshl_add_u64 v[4:5], v[4:5], 0, v[34:35]
	v_mov_b32_e32 v39, s7
	v_cndmask_b32_e64 v36, 0, 1, vcc
	v_cmp_gt_i64_e32 vcc, v[2:3], v[22:23]
	s_addc_u32 s17, s17, 0
	s_add_i32 s18, s18, 64
	v_cndmask_b32_e64 v38, 0, 1, vcc
	v_lshl_add_u64 v[4:5], v[4:5], 0, v[36:37]
	s_cmp_eq_u64 s[10:11], s[16:17]
	v_lshl_add_u64 v[4:5], v[4:5], 0, v[38:39]
	s_cbranch_scc0 .LBB90_118
; %bb.119:                              ;   in Loop: Header=BB90_116 Depth=1
	s_mov_b64 s[16:17], s[10:11]
.LBB90_120:                             ;   in Loop: Header=BB90_116 Depth=1
	s_and_b64 vcc, exec, s[2:3]
	s_cbranch_vccnz .LBB90_115
; %bb.121:                              ;   in Loop: Header=BB90_116 Depth=1
	s_lshl_b32 s16, s16, 3
	s_add_i32 s18, s16, 0
	s_mov_b64 s[16:17], s[6:7]
.LBB90_122:                             ;   Parent Loop BB90_116 Depth=1
                                        ; =>  This Inner Loop Header: Depth=2
	v_mov_b32_e32 v7, s18
	ds_read_b64 v[10:11], v7
	s_add_i32 s18, s18, 8
	s_add_u32 s16, s16, -1
	v_mov_b32_e32 v9, s7
	s_addc_u32 s17, s17, -1
	s_waitcnt lgkmcnt(0)
	v_cmp_gt_i64_e32 vcc, v[2:3], v[10:11]
	s_cmp_lg_u64 s[16:17], 0
	s_nop 0
	v_cndmask_b32_e64 v8, 0, 1, vcc
	v_lshl_add_u64 v[4:5], v[4:5], 0, v[8:9]
	s_cbranch_scc1 .LBB90_122
	s_branch .LBB90_115
.LBB90_123:
	s_endpgm
	.section	.rodata,"a",@progbits
	.p2align	6, 0x0
	.amdhsa_kernel _ZN9rocsparseL41csrgemm_numeric_fill_block_per_row_kernelILj1024ELj64ELj4096ELj137ELj32EllfEEvT5_PKS1_S3_NS_24const_host_device_scalarIT6_EEPKT4_S3_PKS5_S9_S3_SB_S6_S9_S3_SB_S9_S3_PS5_21rocsparse_index_base_SD_SD_SD_bbb
		.amdhsa_group_segment_fixed_size 0
		.amdhsa_private_segment_fixed_size 0
		.amdhsa_kernarg_size 156
		.amdhsa_user_sgpr_count 2
		.amdhsa_user_sgpr_dispatch_ptr 0
		.amdhsa_user_sgpr_queue_ptr 0
		.amdhsa_user_sgpr_kernarg_segment_ptr 1
		.amdhsa_user_sgpr_dispatch_id 0
		.amdhsa_user_sgpr_kernarg_preload_length 0
		.amdhsa_user_sgpr_kernarg_preload_offset 0
		.amdhsa_user_sgpr_private_segment_size 0
		.amdhsa_uses_dynamic_stack 0
		.amdhsa_enable_private_segment 0
		.amdhsa_system_sgpr_workgroup_id_x 1
		.amdhsa_system_sgpr_workgroup_id_y 0
		.amdhsa_system_sgpr_workgroup_id_z 0
		.amdhsa_system_sgpr_workgroup_info 0
		.amdhsa_system_vgpr_workitem_id 0
		.amdhsa_next_free_vgpr 40
		.amdhsa_next_free_sgpr 80
		.amdhsa_accum_offset 40
		.amdhsa_reserve_vcc 1
		.amdhsa_float_round_mode_32 0
		.amdhsa_float_round_mode_16_64 0
		.amdhsa_float_denorm_mode_32 3
		.amdhsa_float_denorm_mode_16_64 3
		.amdhsa_dx10_clamp 1
		.amdhsa_ieee_mode 1
		.amdhsa_fp16_overflow 0
		.amdhsa_tg_split 0
		.amdhsa_exception_fp_ieee_invalid_op 0
		.amdhsa_exception_fp_denorm_src 0
		.amdhsa_exception_fp_ieee_div_zero 0
		.amdhsa_exception_fp_ieee_overflow 0
		.amdhsa_exception_fp_ieee_underflow 0
		.amdhsa_exception_fp_ieee_inexact 0
		.amdhsa_exception_int_div_zero 0
	.end_amdhsa_kernel
	.section	.text._ZN9rocsparseL41csrgemm_numeric_fill_block_per_row_kernelILj1024ELj64ELj4096ELj137ELj32EllfEEvT5_PKS1_S3_NS_24const_host_device_scalarIT6_EEPKT4_S3_PKS5_S9_S3_SB_S6_S9_S3_SB_S9_S3_PS5_21rocsparse_index_base_SD_SD_SD_bbb,"axG",@progbits,_ZN9rocsparseL41csrgemm_numeric_fill_block_per_row_kernelILj1024ELj64ELj4096ELj137ELj32EllfEEvT5_PKS1_S3_NS_24const_host_device_scalarIT6_EEPKT4_S3_PKS5_S9_S3_SB_S6_S9_S3_SB_S9_S3_PS5_21rocsparse_index_base_SD_SD_SD_bbb,comdat
.Lfunc_end90:
	.size	_ZN9rocsparseL41csrgemm_numeric_fill_block_per_row_kernelILj1024ELj64ELj4096ELj137ELj32EllfEEvT5_PKS1_S3_NS_24const_host_device_scalarIT6_EEPKT4_S3_PKS5_S9_S3_SB_S6_S9_S3_SB_S9_S3_PS5_21rocsparse_index_base_SD_SD_SD_bbb, .Lfunc_end90-_ZN9rocsparseL41csrgemm_numeric_fill_block_per_row_kernelILj1024ELj64ELj4096ELj137ELj32EllfEEvT5_PKS1_S3_NS_24const_host_device_scalarIT6_EEPKT4_S3_PKS5_S9_S3_SB_S6_S9_S3_SB_S9_S3_PS5_21rocsparse_index_base_SD_SD_SD_bbb
                                        ; -- End function
	.set _ZN9rocsparseL41csrgemm_numeric_fill_block_per_row_kernelILj1024ELj64ELj4096ELj137ELj32EllfEEvT5_PKS1_S3_NS_24const_host_device_scalarIT6_EEPKT4_S3_PKS5_S9_S3_SB_S6_S9_S3_SB_S9_S3_PS5_21rocsparse_index_base_SD_SD_SD_bbb.num_vgpr, 40
	.set _ZN9rocsparseL41csrgemm_numeric_fill_block_per_row_kernelILj1024ELj64ELj4096ELj137ELj32EllfEEvT5_PKS1_S3_NS_24const_host_device_scalarIT6_EEPKT4_S3_PKS5_S9_S3_SB_S6_S9_S3_SB_S9_S3_PS5_21rocsparse_index_base_SD_SD_SD_bbb.num_agpr, 0
	.set _ZN9rocsparseL41csrgemm_numeric_fill_block_per_row_kernelILj1024ELj64ELj4096ELj137ELj32EllfEEvT5_PKS1_S3_NS_24const_host_device_scalarIT6_EEPKT4_S3_PKS5_S9_S3_SB_S6_S9_S3_SB_S9_S3_PS5_21rocsparse_index_base_SD_SD_SD_bbb.numbered_sgpr, 80
	.set _ZN9rocsparseL41csrgemm_numeric_fill_block_per_row_kernelILj1024ELj64ELj4096ELj137ELj32EllfEEvT5_PKS1_S3_NS_24const_host_device_scalarIT6_EEPKT4_S3_PKS5_S9_S3_SB_S6_S9_S3_SB_S9_S3_PS5_21rocsparse_index_base_SD_SD_SD_bbb.num_named_barrier, 0
	.set _ZN9rocsparseL41csrgemm_numeric_fill_block_per_row_kernelILj1024ELj64ELj4096ELj137ELj32EllfEEvT5_PKS1_S3_NS_24const_host_device_scalarIT6_EEPKT4_S3_PKS5_S9_S3_SB_S6_S9_S3_SB_S9_S3_PS5_21rocsparse_index_base_SD_SD_SD_bbb.private_seg_size, 0
	.set _ZN9rocsparseL41csrgemm_numeric_fill_block_per_row_kernelILj1024ELj64ELj4096ELj137ELj32EllfEEvT5_PKS1_S3_NS_24const_host_device_scalarIT6_EEPKT4_S3_PKS5_S9_S3_SB_S6_S9_S3_SB_S9_S3_PS5_21rocsparse_index_base_SD_SD_SD_bbb.uses_vcc, 1
	.set _ZN9rocsparseL41csrgemm_numeric_fill_block_per_row_kernelILj1024ELj64ELj4096ELj137ELj32EllfEEvT5_PKS1_S3_NS_24const_host_device_scalarIT6_EEPKT4_S3_PKS5_S9_S3_SB_S6_S9_S3_SB_S9_S3_PS5_21rocsparse_index_base_SD_SD_SD_bbb.uses_flat_scratch, 0
	.set _ZN9rocsparseL41csrgemm_numeric_fill_block_per_row_kernelILj1024ELj64ELj4096ELj137ELj32EllfEEvT5_PKS1_S3_NS_24const_host_device_scalarIT6_EEPKT4_S3_PKS5_S9_S3_SB_S6_S9_S3_SB_S9_S3_PS5_21rocsparse_index_base_SD_SD_SD_bbb.has_dyn_sized_stack, 0
	.set _ZN9rocsparseL41csrgemm_numeric_fill_block_per_row_kernelILj1024ELj64ELj4096ELj137ELj32EllfEEvT5_PKS1_S3_NS_24const_host_device_scalarIT6_EEPKT4_S3_PKS5_S9_S3_SB_S6_S9_S3_SB_S9_S3_PS5_21rocsparse_index_base_SD_SD_SD_bbb.has_recursion, 0
	.set _ZN9rocsparseL41csrgemm_numeric_fill_block_per_row_kernelILj1024ELj64ELj4096ELj137ELj32EllfEEvT5_PKS1_S3_NS_24const_host_device_scalarIT6_EEPKT4_S3_PKS5_S9_S3_SB_S6_S9_S3_SB_S9_S3_PS5_21rocsparse_index_base_SD_SD_SD_bbb.has_indirect_call, 0
	.section	.AMDGPU.csdata,"",@progbits
; Kernel info:
; codeLenInByte = 4000
; TotalNumSgprs: 86
; NumVgprs: 40
; NumAgprs: 0
; TotalNumVgprs: 40
; ScratchSize: 0
; MemoryBound: 0
; FloatMode: 240
; IeeeMode: 1
; LDSByteSize: 0 bytes/workgroup (compile time only)
; SGPRBlocks: 10
; VGPRBlocks: 4
; NumSGPRsForWavesPerEU: 86
; NumVGPRsForWavesPerEU: 40
; AccumOffset: 40
; Occupancy: 8
; WaveLimiterHint : 1
; COMPUTE_PGM_RSRC2:SCRATCH_EN: 0
; COMPUTE_PGM_RSRC2:USER_SGPR: 2
; COMPUTE_PGM_RSRC2:TRAP_HANDLER: 0
; COMPUTE_PGM_RSRC2:TGID_X_EN: 1
; COMPUTE_PGM_RSRC2:TGID_Y_EN: 0
; COMPUTE_PGM_RSRC2:TGID_Z_EN: 0
; COMPUTE_PGM_RSRC2:TIDIG_COMP_CNT: 0
; COMPUTE_PGM_RSRC3_GFX90A:ACCUM_OFFSET: 9
; COMPUTE_PGM_RSRC3_GFX90A:TG_SPLIT: 0
	.section	.text._ZN9rocsparseL41csrgemm_numeric_fill_block_per_row_kernelILj1024ELj64ELj4096ELj137ELj64EllfEEvT5_PKS1_S3_NS_24const_host_device_scalarIT6_EEPKT4_S3_PKS5_S9_S3_SB_S6_S9_S3_SB_S9_S3_PS5_21rocsparse_index_base_SD_SD_SD_bbb,"axG",@progbits,_ZN9rocsparseL41csrgemm_numeric_fill_block_per_row_kernelILj1024ELj64ELj4096ELj137ELj64EllfEEvT5_PKS1_S3_NS_24const_host_device_scalarIT6_EEPKT4_S3_PKS5_S9_S3_SB_S6_S9_S3_SB_S9_S3_PS5_21rocsparse_index_base_SD_SD_SD_bbb,comdat
	.globl	_ZN9rocsparseL41csrgemm_numeric_fill_block_per_row_kernelILj1024ELj64ELj4096ELj137ELj64EllfEEvT5_PKS1_S3_NS_24const_host_device_scalarIT6_EEPKT4_S3_PKS5_S9_S3_SB_S6_S9_S3_SB_S9_S3_PS5_21rocsparse_index_base_SD_SD_SD_bbb ; -- Begin function _ZN9rocsparseL41csrgemm_numeric_fill_block_per_row_kernelILj1024ELj64ELj4096ELj137ELj64EllfEEvT5_PKS1_S3_NS_24const_host_device_scalarIT6_EEPKT4_S3_PKS5_S9_S3_SB_S6_S9_S3_SB_S9_S3_PS5_21rocsparse_index_base_SD_SD_SD_bbb
	.p2align	8
	.type	_ZN9rocsparseL41csrgemm_numeric_fill_block_per_row_kernelILj1024ELj64ELj4096ELj137ELj64EllfEEvT5_PKS1_S3_NS_24const_host_device_scalarIT6_EEPKT4_S3_PKS5_S9_S3_SB_S6_S9_S3_SB_S9_S3_PS5_21rocsparse_index_base_SD_SD_SD_bbb,@function
_ZN9rocsparseL41csrgemm_numeric_fill_block_per_row_kernelILj1024ELj64ELj4096ELj137ELj64EllfEEvT5_PKS1_S3_NS_24const_host_device_scalarIT6_EEPKT4_S3_PKS5_S9_S3_SB_S6_S9_S3_SB_S9_S3_PS5_21rocsparse_index_base_SD_SD_SD_bbb: ; @_ZN9rocsparseL41csrgemm_numeric_fill_block_per_row_kernelILj1024ELj64ELj4096ELj137ELj64EllfEEvT5_PKS1_S3_NS_24const_host_device_scalarIT6_EEPKT4_S3_PKS5_S9_S3_SB_S6_S9_S3_SB_S9_S3_PS5_21rocsparse_index_base_SD_SD_SD_bbb
; %bb.0:
	s_load_dword s3, s[0:1], 0x98
	s_load_dwordx4 s[44:47], s[0:1], 0x88
	s_load_dwordx2 s[6:7], s[0:1], 0x18
	s_load_dwordx2 s[24:25], s[0:1], 0x50
	s_waitcnt lgkmcnt(0)
	s_bitcmp1_b32 s3, 0
	s_cselect_b64 s[4:5], -1, 0
	s_bitcmp1_b32 s3, 16
	s_cselect_b64 s[26:27], -1, 0
	s_xor_b64 s[8:9], s[4:5], -1
	s_or_b64 s[8:9], s[26:27], s[8:9]
	s_and_b64 vcc, exec, s[8:9]
	s_cbranch_vccnz .LBB91_2
; %bb.1:
	s_load_dword s6, s[6:7], 0x0
	s_waitcnt lgkmcnt(0)
	v_mov_b32_e32 v22, s6
	s_branch .LBB91_3
.LBB91_2:
	v_mov_b32_e32 v1, s6
	v_cndmask_b32_e64 v22, 0, v1, s[4:5]
.LBB91_3:
	s_load_dwordx2 s[34:35], s[0:1], 0x80
	s_load_dwordx8 s[36:43], s[0:1], 0x58
	s_load_dwordx4 s[16:19], s[0:1], 0x40
	s_load_dwordx4 s[20:23], s[0:1], 0x8
	s_load_dwordx8 s[8:15], s[0:1], 0x20
	s_bitcmp1_b32 s3, 8
	s_cselect_b64 s[6:7], -1, 0
	s_xor_b64 s[28:29], s[6:7], -1
	s_or_b64 s[26:27], s[26:27], s[28:29]
	s_and_b64 vcc, exec, s[26:27]
	s_cbranch_vccnz .LBB91_5
; %bb.4:
	s_load_dword s3, s[24:25], 0x0
	s_waitcnt lgkmcnt(0)
	v_mov_b32_e32 v20, s3
	s_branch .LBB91_6
.LBB91_5:
	v_mov_b32_e32 v1, s24
	v_cndmask_b32_e64 v20, 0, v1, s[6:7]
.LBB91_6:
	s_load_dwordx2 s[48:49], s[0:1], 0x0
	v_lshl_add_u32 v1, v0, 2, 0
	v_add_u32_e32 v1, 0x8000, v1
	v_or_b32_e32 v18, 0xfffffc00, v0
	v_lshl_add_u32 v19, v0, 3, 0
	s_mov_b64 s[0:1], 0
	s_waitcnt lgkmcnt(0)
	v_mov_b64_e32 v[6:7], s[48:49]
	v_mov_b32_e32 v2, 0
	s_movk_i32 s3, 0xbff
	v_mov_b32_e32 v3, v19
	v_mov_b32_e32 v4, v18
	;; [unrolled: 1-line block ×3, first 2 shown]
.LBB91_7:                               ; =>This Inner Loop Header: Depth=1
	v_add_u32_e32 v4, 0x400, v4
	v_cmp_lt_u32_e32 vcc, s3, v4
	ds_write_b64 v3, v[6:7]
	ds_write_b32 v5, v2
	v_add_u32_e32 v5, 0x1000, v5
	s_or_b64 s[0:1], vcc, s[0:1]
	v_add_u32_e32 v3, 0x2000, v3
	s_andn2_b64 exec, exec, s[0:1]
	s_cbranch_execnz .LBB91_7
; %bb.8:
	s_or_b64 exec, exec, s[0:1]
	s_waitcnt lgkmcnt(0)
	s_barrier
	s_load_dwordx2 s[0:1], s[20:21], 0x0
	s_mov_b32 s3, 0
	v_lshrrev_b32_e32 v21, 6, v0
	s_waitcnt lgkmcnt(0)
	s_lshl_b64 s[0:1], s[0:1], 3
	s_add_u32 s20, s22, s0
	s_addc_u32 s21, s23, s1
	s_lshl_b64 s[0:1], s[2:3], 3
	s_add_u32 s0, s20, s0
	s_addc_u32 s1, s21, s1
	s_load_dwordx2 s[50:51], s[0:1], 0x0
	s_and_b64 vcc, exec, s[4:5]
	s_cbranch_vccz .LBB91_28
; %bb.9:
	s_waitcnt lgkmcnt(0)
	s_lshl_b64 s[0:1], s[50:51], 3
	s_add_u32 s0, s8, s0
	s_addc_u32 s1, s9, s1
	s_load_dwordx4 s[20:23], s[0:1], 0x0
	v_subrev_co_u32_e32 v2, vcc, s44, v21
	s_nop 1
	v_subb_co_u32_e64 v3, s[0:1], 0, 0, vcc
	s_waitcnt lgkmcnt(0)
	s_sub_u32 s0, s22, s44
	s_subb_u32 s1, s23, 0
	v_lshl_add_u64 v[2:3], s[20:21], 0, v[2:3]
	v_cmp_gt_i64_e32 vcc, s[0:1], v[2:3]
	s_and_saveexec_b64 s[2:3], vcc
	s_cbranch_execz .LBB91_27
; %bb.10:
	v_and_b32_e32 v4, 63, v0
	v_subrev_co_u32_e32 v4, vcc, s45, v4
	s_mov_b32 s33, s45
	s_nop 0
	v_subb_co_u32_e64 v5, s[4:5], 0, 0, vcc
	s_mov_b64 s[4:5], 0
	s_movk_i32 s45, 0x89
	s_branch .LBB91_12
.LBB91_11:                              ;   in Loop: Header=BB91_12 Depth=1
	s_or_b64 exec, exec, s[8:9]
	v_lshl_add_u64 v[2:3], v[2:3], 0, 16
	v_cmp_le_i64_e32 vcc, s[0:1], v[2:3]
	s_or_b64 s[4:5], vcc, s[4:5]
	s_andn2_b64 exec, exec, s[4:5]
	s_cbranch_execz .LBB91_27
.LBB91_12:                              ; =>This Loop Header: Depth=1
                                        ;     Child Loop BB91_16 Depth 2
                                        ;       Child Loop BB91_19 Depth 3
	v_lshl_add_u64 v[6:7], v[2:3], 3, s[10:11]
	global_load_dwordx2 v[6:7], v[6:7], off
	s_waitcnt vmcnt(0)
	v_subrev_co_u32_e32 v6, vcc, s44, v6
	s_nop 1
	v_subbrev_co_u32_e32 v7, vcc, 0, v7, vcc
	v_lshl_add_u64 v[6:7], v[6:7], 3, s[14:15]
	global_load_dwordx4 v[8:11], v[6:7], off
	s_waitcnt vmcnt(0)
	v_subrev_co_u32_e32 v6, vcc, s33, v10
	s_nop 1
	v_subbrev_co_u32_e32 v7, vcc, 0, v11, vcc
	v_lshl_add_u64 v[8:9], v[8:9], 0, v[4:5]
	v_cmp_lt_i64_e32 vcc, v[8:9], v[6:7]
	s_and_saveexec_b64 s[8:9], vcc
	s_cbranch_execz .LBB91_11
; %bb.13:                               ;   in Loop: Header=BB91_12 Depth=1
	v_lshl_add_u64 v[10:11], v[2:3], 2, s[12:13]
	global_load_dword v10, v[10:11], off
	s_mov_b64 s[20:21], 0
	s_waitcnt vmcnt(0)
	v_mul_f32_e32 v23, v22, v10
	s_branch .LBB91_16
.LBB91_14:                              ;   in Loop: Header=BB91_16 Depth=2
	s_or_b64 exec, exec, s[24:25]
.LBB91_15:                              ;   in Loop: Header=BB91_16 Depth=2
	s_or_b64 exec, exec, s[22:23]
	s_waitcnt vmcnt(0)
	v_mul_f32_e32 v10, v23, v24
	v_lshl_add_u32 v11, v12, 2, 0
	ds_add_f32 v11, v10 offset:32768
	v_lshl_add_u64 v[8:9], v[8:9], 0, 64
	v_cmp_ge_i64_e32 vcc, v[8:9], v[6:7]
	s_or_b64 s[20:21], vcc, s[20:21]
	s_andn2_b64 exec, exec, s[20:21]
	s_cbranch_execz .LBB91_11
.LBB91_16:                              ;   Parent Loop BB91_12 Depth=1
                                        ; =>  This Loop Header: Depth=2
                                        ;       Child Loop BB91_19 Depth 3
	v_lshl_add_u64 v[10:11], v[8:9], 3, s[16:17]
	global_load_dwordx2 v[10:11], v[10:11], off
	v_lshl_add_u64 v[12:13], v[8:9], 2, s[18:19]
	global_load_dword v24, v[12:13], off
	s_waitcnt vmcnt(1)
	v_subrev_co_u32_e32 v10, vcc, s33, v10
	v_mul_lo_u32 v12, v10, s45
	v_and_b32_e32 v12, 0xfff, v12
	v_lshl_add_u32 v25, v12, 3, 0
	ds_read_b64 v[16:17], v25
	v_subbrev_co_u32_e32 v11, vcc, 0, v11, vcc
	s_waitcnt lgkmcnt(0)
	v_cmp_ne_u64_e32 vcc, v[16:17], v[10:11]
	s_and_saveexec_b64 s[22:23], vcc
	s_cbranch_execz .LBB91_15
; %bb.17:                               ;   in Loop: Header=BB91_16 Depth=2
	s_mov_b64 s[24:25], 0
                                        ; implicit-def: $sgpr26_sgpr27
                                        ; implicit-def: $sgpr28_sgpr29
	s_branch .LBB91_19
.LBB91_18:                              ;   in Loop: Header=BB91_19 Depth=3
	s_or_b64 exec, exec, s[54:55]
	s_and_b64 s[30:31], exec, s[52:53]
	s_or_b64 s[24:25], s[30:31], s[24:25]
	s_andn2_b64 s[26:27], s[26:27], exec
	s_and_b64 s[30:31], s[28:29], exec
	s_or_b64 s[26:27], s[26:27], s[30:31]
	s_andn2_b64 exec, exec, s[24:25]
	s_cbranch_execz .LBB91_25
.LBB91_19:                              ;   Parent Loop BB91_12 Depth=1
                                        ;     Parent Loop BB91_16 Depth=2
                                        ; =>    This Inner Loop Header: Depth=3
	v_mov_b64_e32 v[14:15], v[12:13]
	v_cmp_ne_u64_e32 vcc, s[48:49], v[16:17]
	s_mov_b64 s[30:31], 0
                                        ; implicit-def: $vgpr12_vgpr13
	s_and_saveexec_b64 s[52:53], vcc
	s_xor_b64 s[52:53], exec, s[52:53]
; %bb.20:                               ;   in Loop: Header=BB91_19 Depth=3
	v_add_u32_e32 v12, 1, v14
	s_mov_b64 s[30:31], exec
	v_and_b32_e32 v12, 0xfff, v12
                                        ; implicit-def: $vgpr25
; %bb.21:                               ;   in Loop: Header=BB91_19 Depth=3
	s_andn2_saveexec_b64 s[52:53], s[52:53]
	s_cbranch_execz .LBB91_23
; %bb.22:                               ;   in Loop: Header=BB91_19 Depth=3
	v_mov_b64_e32 v[12:13], s[48:49]
	ds_cmpst_rtn_b64 v[12:13], v25, v[12:13], v[10:11]
	s_andn2_b64 s[30:31], s[30:31], exec
	s_waitcnt lgkmcnt(0)
	v_cmp_ne_u64_e32 vcc, s[48:49], v[12:13]
	s_and_b64 s[54:55], vcc, exec
	s_or_b64 s[30:31], s[30:31], s[54:55]
	v_mov_b64_e32 v[12:13], v[14:15]
.LBB91_23:                              ;   in Loop: Header=BB91_19 Depth=3
	s_or_b64 exec, exec, s[52:53]
	s_mov_b64 s[52:53], -1
	s_or_b64 s[28:29], s[28:29], exec
                                        ; implicit-def: $vgpr25
                                        ; implicit-def: $vgpr16_vgpr17
	s_and_saveexec_b64 s[54:55], s[30:31]
	s_cbranch_execz .LBB91_18
; %bb.24:                               ;   in Loop: Header=BB91_19 Depth=3
	v_lshl_add_u32 v25, v12, 3, 0
	ds_read_b64 v[16:17], v25
	s_andn2_b64 s[28:29], s[28:29], exec
	s_waitcnt lgkmcnt(0)
	v_cmp_eq_u64_e32 vcc, v[16:17], v[10:11]
	s_orn2_b64 s[52:53], vcc, exec
	s_branch .LBB91_18
.LBB91_25:                              ;   in Loop: Header=BB91_16 Depth=2
	s_or_b64 exec, exec, s[24:25]
	s_and_saveexec_b64 s[24:25], s[26:27]
	s_xor_b64 s[24:25], exec, s[24:25]
	s_cbranch_execz .LBB91_14
; %bb.26:                               ;   in Loop: Header=BB91_16 Depth=2
	v_mov_b32_e32 v12, v14
	s_branch .LBB91_14
.LBB91_27:
	s_or_b64 exec, exec, s[2:3]
.LBB91_28:
	s_andn2_b64 vcc, exec, s[6:7]
	s_cbranch_vccnz .LBB91_45
; %bb.29:
	s_waitcnt lgkmcnt(0)
	s_lshl_b64 s[0:1], s[50:51], 3
	s_add_u32 s0, s36, s0
	s_addc_u32 s1, s37, s1
	s_load_dwordx4 s[4:7], s[0:1], 0x0
	v_subrev_co_u32_e32 v2, vcc, s47, v0
	s_waitcnt lgkmcnt(0)
	s_sub_u32 s0, s6, s47
	v_subb_co_u32_e64 v3, s[2:3], 0, 0, vcc
	s_subb_u32 s1, s7, 0
	v_lshl_add_u64 v[2:3], s[4:5], 0, v[2:3]
	v_cmp_gt_i64_e32 vcc, s[0:1], v[2:3]
	s_and_saveexec_b64 s[2:3], vcc
	s_cbranch_execz .LBB91_44
; %bb.30:
	s_mov_b32 s22, s47
	s_mov_b64 s[4:5], 0
	s_movk_i32 s23, 0x89
	s_mov_b64 s[6:7], 0x400
	s_branch .LBB91_33
.LBB91_31:                              ;   in Loop: Header=BB91_33 Depth=1
	s_or_b64 exec, exec, s[10:11]
.LBB91_32:                              ;   in Loop: Header=BB91_33 Depth=1
	s_or_b64 exec, exec, s[8:9]
	s_waitcnt vmcnt(0)
	v_mul_f32_e32 v4, v20, v12
	v_lshl_add_u32 v5, v6, 2, 0
	ds_add_f32 v5, v4 offset:32768
	v_lshl_add_u64 v[2:3], v[2:3], 0, s[6:7]
	v_cmp_le_i64_e32 vcc, s[0:1], v[2:3]
	s_or_b64 s[4:5], vcc, s[4:5]
	s_andn2_b64 exec, exec, s[4:5]
	s_cbranch_execz .LBB91_44
.LBB91_33:                              ; =>This Loop Header: Depth=1
                                        ;     Child Loop BB91_36 Depth 2
	v_lshl_add_u64 v[4:5], v[2:3], 3, s[38:39]
	global_load_dwordx2 v[4:5], v[4:5], off
	v_lshl_add_u64 v[6:7], v[2:3], 2, s[40:41]
	global_load_dword v12, v[6:7], off
	s_waitcnt vmcnt(1)
	v_subrev_co_u32_e32 v4, vcc, s22, v4
	v_mul_lo_u32 v6, v4, s23
	v_and_b32_e32 v6, 0xfff, v6
	v_lshl_add_u32 v13, v6, 3, 0
	ds_read_b64 v[10:11], v13
	v_subbrev_co_u32_e32 v5, vcc, 0, v5, vcc
	s_waitcnt lgkmcnt(0)
	v_cmp_ne_u64_e32 vcc, v[10:11], v[4:5]
	s_and_saveexec_b64 s[8:9], vcc
	s_cbranch_execz .LBB91_32
; %bb.34:                               ;   in Loop: Header=BB91_33 Depth=1
	s_mov_b64 s[10:11], 0
                                        ; implicit-def: $sgpr12_sgpr13
                                        ; implicit-def: $sgpr14_sgpr15
	s_branch .LBB91_36
.LBB91_35:                              ;   in Loop: Header=BB91_36 Depth=2
	s_or_b64 exec, exec, s[20:21]
	s_and_b64 s[16:17], exec, s[18:19]
	s_or_b64 s[10:11], s[16:17], s[10:11]
	s_andn2_b64 s[12:13], s[12:13], exec
	s_and_b64 s[16:17], s[14:15], exec
	s_or_b64 s[12:13], s[12:13], s[16:17]
	s_andn2_b64 exec, exec, s[10:11]
	s_cbranch_execz .LBB91_42
.LBB91_36:                              ;   Parent Loop BB91_33 Depth=1
                                        ; =>  This Inner Loop Header: Depth=2
	v_mov_b64_e32 v[8:9], v[6:7]
	v_cmp_ne_u64_e32 vcc, s[48:49], v[10:11]
	s_mov_b64 s[16:17], 0
                                        ; implicit-def: $vgpr6_vgpr7
	s_and_saveexec_b64 s[18:19], vcc
	s_xor_b64 s[18:19], exec, s[18:19]
; %bb.37:                               ;   in Loop: Header=BB91_36 Depth=2
	v_add_u32_e32 v6, 1, v8
	s_mov_b64 s[16:17], exec
	v_and_b32_e32 v6, 0xfff, v6
                                        ; implicit-def: $vgpr13
; %bb.38:                               ;   in Loop: Header=BB91_36 Depth=2
	s_andn2_saveexec_b64 s[18:19], s[18:19]
	s_cbranch_execz .LBB91_40
; %bb.39:                               ;   in Loop: Header=BB91_36 Depth=2
	v_mov_b64_e32 v[6:7], s[48:49]
	ds_cmpst_rtn_b64 v[6:7], v13, v[6:7], v[4:5]
	s_andn2_b64 s[16:17], s[16:17], exec
	s_waitcnt lgkmcnt(0)
	v_cmp_ne_u64_e32 vcc, s[48:49], v[6:7]
	s_and_b64 s[20:21], vcc, exec
	s_or_b64 s[16:17], s[16:17], s[20:21]
	v_mov_b64_e32 v[6:7], v[8:9]
.LBB91_40:                              ;   in Loop: Header=BB91_36 Depth=2
	s_or_b64 exec, exec, s[18:19]
	s_mov_b64 s[18:19], -1
	s_or_b64 s[14:15], s[14:15], exec
                                        ; implicit-def: $vgpr13
                                        ; implicit-def: $vgpr10_vgpr11
	s_and_saveexec_b64 s[20:21], s[16:17]
	s_cbranch_execz .LBB91_35
; %bb.41:                               ;   in Loop: Header=BB91_36 Depth=2
	v_lshl_add_u32 v13, v6, 3, 0
	ds_read_b64 v[10:11], v13
	s_andn2_b64 s[14:15], s[14:15], exec
	s_waitcnt lgkmcnt(0)
	v_cmp_eq_u64_e32 vcc, v[10:11], v[4:5]
	s_orn2_b64 s[18:19], vcc, exec
	s_branch .LBB91_35
.LBB91_42:                              ;   in Loop: Header=BB91_33 Depth=1
	s_or_b64 exec, exec, s[10:11]
	s_and_saveexec_b64 s[10:11], s[12:13]
	s_xor_b64 s[10:11], exec, s[10:11]
	s_cbranch_execz .LBB91_31
; %bb.43:                               ;   in Loop: Header=BB91_33 Depth=1
	v_mov_b32_e32 v6, v8
	s_branch .LBB91_31
.LBB91_44:
	s_or_b64 exec, exec, s[2:3]
.LBB91_45:
	v_mbcnt_lo_u32_b32 v2, -1, 0
	v_mbcnt_hi_u32_b32 v2, -1, v2
	v_sub_u32_e32 v2, 63, v2
	s_movk_i32 s0, 0x3ff
	s_movk_i32 s2, 0x7f
	;; [unrolled: 1-line block ×15, first 2 shown]
	v_mov_b32_e32 v3, 0
	v_lshrrev_b64 v[4:5], v2, -1
	v_lshl_add_u32 v12, v21, 3, 0
	v_cmp_eq_u32_e32 vcc, s0, v0
	v_cmp_lt_u32_e64 s[0:1], 63, v0
	v_cmp_lt_u32_e64 s[2:3], s2, v0
	;; [unrolled: 1-line block ×15, first 2 shown]
	s_mov_b64 s[36:37], 0
	v_mov_b64_e32 v[6:7], 0
	s_movk_i32 s33, 0xbff
	s_waitcnt lgkmcnt(0)
	s_barrier
	s_branch .LBB91_47
.LBB91_46:                              ;   in Loop: Header=BB91_47 Depth=1
	s_or_b64 exec, exec, s[30:31]
	s_waitcnt lgkmcnt(0)
	s_barrier
	ds_read_b64 v[8:9], v3 offset:49272
	v_add_u32_e32 v18, 0x400, v18
	v_cmp_lt_u32_e64 s[30:31], s33, v18
	v_add_u32_e32 v1, 0x1000, v1
	s_or_b64 s[36:37], s[30:31], s[36:37]
	s_waitcnt lgkmcnt(0)
	v_lshl_add_u64 v[6:7], v[8:9], 0, v[6:7]
	v_add_u32_e32 v19, 0x2000, v19
	s_andn2_b64 exec, exec, s[36:37]
	s_cbranch_execz .LBB91_81
.LBB91_47:                              ; =>This Inner Loop Header: Depth=1
	ds_read_b64 v[8:9], v19
	ds_read_b32 v13, v1
	s_waitcnt lgkmcnt(0)
	s_barrier
	v_cmp_gt_i64_e64 s[30:31], s[48:49], v[8:9]
	s_bcnt1_i32_b64 s38, s[30:31]
	v_mov_b32_e32 v2, s38
	v_and_b32_e32 v11, s30, v4
	v_and_b32_e32 v10, s31, v5
	v_bcnt_u32_b32 v11, v11, 0
	v_bcnt_u32_b32 v10, v10, v11
	ds_write_b64 v12, v[2:3] offset:49152
	s_waitcnt lgkmcnt(0)
	s_barrier
	s_and_saveexec_b64 s[38:39], s[0:1]
	s_cbranch_execnz .LBB91_64
; %bb.48:                               ;   in Loop: Header=BB91_47 Depth=1
	s_or_b64 exec, exec, s[38:39]
	s_and_saveexec_b64 s[38:39], s[2:3]
	s_cbranch_execnz .LBB91_65
.LBB91_49:                              ;   in Loop: Header=BB91_47 Depth=1
	s_or_b64 exec, exec, s[38:39]
	s_and_saveexec_b64 s[38:39], s[4:5]
	s_cbranch_execnz .LBB91_66
.LBB91_50:                              ;   in Loop: Header=BB91_47 Depth=1
	s_or_b64 exec, exec, s[38:39]
	s_and_saveexec_b64 s[38:39], s[6:7]
	s_cbranch_execnz .LBB91_67
.LBB91_51:                              ;   in Loop: Header=BB91_47 Depth=1
	s_or_b64 exec, exec, s[38:39]
	s_and_saveexec_b64 s[38:39], s[8:9]
	s_cbranch_execnz .LBB91_68
.LBB91_52:                              ;   in Loop: Header=BB91_47 Depth=1
	s_or_b64 exec, exec, s[38:39]
	s_and_saveexec_b64 s[38:39], s[10:11]
	s_cbranch_execnz .LBB91_69
.LBB91_53:                              ;   in Loop: Header=BB91_47 Depth=1
	s_or_b64 exec, exec, s[38:39]
	s_and_saveexec_b64 s[38:39], s[12:13]
	s_cbranch_execnz .LBB91_70
.LBB91_54:                              ;   in Loop: Header=BB91_47 Depth=1
	s_or_b64 exec, exec, s[38:39]
	s_and_saveexec_b64 s[38:39], s[14:15]
	s_cbranch_execnz .LBB91_71
.LBB91_55:                              ;   in Loop: Header=BB91_47 Depth=1
	s_or_b64 exec, exec, s[38:39]
	s_and_saveexec_b64 s[38:39], s[16:17]
	s_cbranch_execnz .LBB91_72
.LBB91_56:                              ;   in Loop: Header=BB91_47 Depth=1
	s_or_b64 exec, exec, s[38:39]
	s_and_saveexec_b64 s[38:39], s[18:19]
	s_cbranch_execnz .LBB91_73
.LBB91_57:                              ;   in Loop: Header=BB91_47 Depth=1
	s_or_b64 exec, exec, s[38:39]
	s_and_saveexec_b64 s[38:39], s[20:21]
	s_cbranch_execnz .LBB91_74
.LBB91_58:                              ;   in Loop: Header=BB91_47 Depth=1
	s_or_b64 exec, exec, s[38:39]
	s_and_saveexec_b64 s[38:39], s[22:23]
	s_cbranch_execnz .LBB91_75
.LBB91_59:                              ;   in Loop: Header=BB91_47 Depth=1
	s_or_b64 exec, exec, s[38:39]
	s_and_saveexec_b64 s[38:39], s[24:25]
	s_cbranch_execnz .LBB91_76
.LBB91_60:                              ;   in Loop: Header=BB91_47 Depth=1
	s_or_b64 exec, exec, s[38:39]
	s_and_saveexec_b64 s[38:39], s[26:27]
	s_cbranch_execnz .LBB91_77
.LBB91_61:                              ;   in Loop: Header=BB91_47 Depth=1
	s_or_b64 exec, exec, s[38:39]
	s_and_saveexec_b64 s[38:39], s[28:29]
	s_cbranch_execnz .LBB91_78
.LBB91_62:                              ;   in Loop: Header=BB91_47 Depth=1
	s_or_b64 exec, exec, s[38:39]
	v_ashrrev_i32_e32 v11, 31, v10
	s_and_saveexec_b64 s[38:39], s[30:31]
	s_cbranch_execnz .LBB91_79
.LBB91_63:                              ;   in Loop: Header=BB91_47 Depth=1
	s_or_b64 exec, exec, s[38:39]
	s_and_saveexec_b64 s[30:31], vcc
	s_cbranch_execz .LBB91_46
	s_branch .LBB91_80
.LBB91_64:                              ;   in Loop: Header=BB91_47 Depth=1
	ds_read_b32 v2, v3 offset:49152
	s_waitcnt lgkmcnt(0)
	v_add_u32_e32 v10, v2, v10
	s_or_b64 exec, exec, s[38:39]
	s_and_saveexec_b64 s[38:39], s[2:3]
	s_cbranch_execz .LBB91_49
.LBB91_65:                              ;   in Loop: Header=BB91_47 Depth=1
	ds_read_b32 v2, v3 offset:49160
	s_waitcnt lgkmcnt(0)
	v_add_u32_e32 v10, v10, v2
	s_or_b64 exec, exec, s[38:39]
	s_and_saveexec_b64 s[38:39], s[4:5]
	s_cbranch_execz .LBB91_50
.LBB91_66:                              ;   in Loop: Header=BB91_47 Depth=1
	ds_read_b32 v2, v3 offset:49168
	s_waitcnt lgkmcnt(0)
	v_add_u32_e32 v10, v10, v2
	s_or_b64 exec, exec, s[38:39]
	s_and_saveexec_b64 s[38:39], s[6:7]
	s_cbranch_execz .LBB91_51
.LBB91_67:                              ;   in Loop: Header=BB91_47 Depth=1
	ds_read_b32 v2, v3 offset:49176
	s_waitcnt lgkmcnt(0)
	v_add_u32_e32 v10, v10, v2
	s_or_b64 exec, exec, s[38:39]
	s_and_saveexec_b64 s[38:39], s[8:9]
	s_cbranch_execz .LBB91_52
.LBB91_68:                              ;   in Loop: Header=BB91_47 Depth=1
	ds_read_b32 v2, v3 offset:49184
	s_waitcnt lgkmcnt(0)
	v_add_u32_e32 v10, v10, v2
	s_or_b64 exec, exec, s[38:39]
	s_and_saveexec_b64 s[38:39], s[10:11]
	s_cbranch_execz .LBB91_53
.LBB91_69:                              ;   in Loop: Header=BB91_47 Depth=1
	ds_read_b32 v2, v3 offset:49192
	s_waitcnt lgkmcnt(0)
	v_add_u32_e32 v10, v10, v2
	s_or_b64 exec, exec, s[38:39]
	s_and_saveexec_b64 s[38:39], s[12:13]
	s_cbranch_execz .LBB91_54
.LBB91_70:                              ;   in Loop: Header=BB91_47 Depth=1
	ds_read_b32 v2, v3 offset:49200
	s_waitcnt lgkmcnt(0)
	v_add_u32_e32 v10, v10, v2
	s_or_b64 exec, exec, s[38:39]
	s_and_saveexec_b64 s[38:39], s[14:15]
	s_cbranch_execz .LBB91_55
.LBB91_71:                              ;   in Loop: Header=BB91_47 Depth=1
	ds_read_b32 v2, v3 offset:49208
	s_waitcnt lgkmcnt(0)
	v_add_u32_e32 v10, v10, v2
	s_or_b64 exec, exec, s[38:39]
	s_and_saveexec_b64 s[38:39], s[16:17]
	s_cbranch_execz .LBB91_56
.LBB91_72:                              ;   in Loop: Header=BB91_47 Depth=1
	ds_read_b32 v2, v3 offset:49216
	s_waitcnt lgkmcnt(0)
	v_add_u32_e32 v10, v10, v2
	s_or_b64 exec, exec, s[38:39]
	s_and_saveexec_b64 s[38:39], s[18:19]
	s_cbranch_execz .LBB91_57
.LBB91_73:                              ;   in Loop: Header=BB91_47 Depth=1
	ds_read_b32 v2, v3 offset:49224
	s_waitcnt lgkmcnt(0)
	v_add_u32_e32 v10, v10, v2
	s_or_b64 exec, exec, s[38:39]
	s_and_saveexec_b64 s[38:39], s[20:21]
	s_cbranch_execz .LBB91_58
.LBB91_74:                              ;   in Loop: Header=BB91_47 Depth=1
	ds_read_b32 v2, v3 offset:49232
	s_waitcnt lgkmcnt(0)
	v_add_u32_e32 v10, v10, v2
	s_or_b64 exec, exec, s[38:39]
	s_and_saveexec_b64 s[38:39], s[22:23]
	s_cbranch_execz .LBB91_59
.LBB91_75:                              ;   in Loop: Header=BB91_47 Depth=1
	ds_read_b32 v2, v3 offset:49240
	s_waitcnt lgkmcnt(0)
	v_add_u32_e32 v10, v10, v2
	s_or_b64 exec, exec, s[38:39]
	s_and_saveexec_b64 s[38:39], s[24:25]
	s_cbranch_execz .LBB91_60
.LBB91_76:                              ;   in Loop: Header=BB91_47 Depth=1
	ds_read_b32 v2, v3 offset:49248
	s_waitcnt lgkmcnt(0)
	v_add_u32_e32 v10, v10, v2
	s_or_b64 exec, exec, s[38:39]
	s_and_saveexec_b64 s[38:39], s[26:27]
	s_cbranch_execz .LBB91_61
.LBB91_77:                              ;   in Loop: Header=BB91_47 Depth=1
	ds_read_b32 v2, v3 offset:49256
	s_waitcnt lgkmcnt(0)
	v_add_u32_e32 v10, v10, v2
	s_or_b64 exec, exec, s[38:39]
	s_and_saveexec_b64 s[38:39], s[28:29]
	s_cbranch_execz .LBB91_62
.LBB91_78:                              ;   in Loop: Header=BB91_47 Depth=1
	ds_read_b32 v2, v3 offset:49264
	s_waitcnt lgkmcnt(0)
	v_add_u32_e32 v10, v10, v2
	s_or_b64 exec, exec, s[38:39]
	v_ashrrev_i32_e32 v11, 31, v10
	s_and_saveexec_b64 s[38:39], s[30:31]
	s_cbranch_execz .LBB91_63
.LBB91_79:                              ;   in Loop: Header=BB91_47 Depth=1
	v_add3_u32 v2, v6, -1, v10
	v_lshl_add_u32 v2, v2, 3, 0
	v_add_u32_e32 v14, v6, v10
	v_lshl_add_u32 v14, v14, 2, 0
	ds_write_b64 v2, v[8:9]
	ds_write_b32 v14, v13 offset:32764
	s_or_b64 exec, exec, s[38:39]
	s_and_saveexec_b64 s[30:31], vcc
	s_cbranch_execz .LBB91_46
.LBB91_80:                              ;   in Loop: Header=BB91_47 Depth=1
	ds_write_b64 v3, v[10:11] offset:49272
	s_branch .LBB91_46
.LBB91_81:
	s_or_b64 exec, exec, s[36:37]
	s_lshl_b64 s[0:1], s[50:51], 3
	s_add_u32 s4, s42, s0
	s_addc_u32 s5, s43, s1
	s_load_dwordx4 s[0:3], s[4:5], 0x0
	v_mov_b32_e32 v1, 0
	s_waitcnt lgkmcnt(0)
	s_sub_u32 s4, s2, s0
	s_subb_u32 s5, s3, s1
	v_cmp_gt_i64_e32 vcc, s[4:5], v[0:1]
	s_and_saveexec_b64 s[6:7], vcc
	s_cbranch_execz .LBB91_91
; %bb.82:
	s_sub_u32 s8, s0, s46
	s_subb_u32 s9, s1, 0
	s_and_b32 s6, s4, 7
	s_sub_u32 s0, s0, s2
	s_mov_b32 s7, 0
	s_subb_u32 s1, s1, s3
	s_and_b32 s10, s4, -8
	s_cmp_lg_u64 s[6:7], 0
	v_cmp_lt_u64_e64 s[0:1], s[0:1], -7
	s_cselect_b64 s[2:3], -1, 0
	s_mov_b32 s11, s5
	v_cndmask_b32_e64 v2, 0, 1, s[0:1]
	v_cmp_ne_u32_e64 s[0:1], 1, v2
	v_cndmask_b32_e64 v2, 0, 1, s[2:3]
	s_mov_b64 s[12:13], 0
	v_cmp_ne_u32_e64 s[2:3], 1, v2
	s_mov_b64 s[14:15], 0x400
	s_branch .LBB91_84
.LBB91_83:                              ;   in Loop: Header=BB91_84 Depth=1
	v_lshl_add_u64 v[0:1], v[0:1], 0, s[14:15]
	v_cmp_le_i64_e32 vcc, s[4:5], v[0:1]
	s_waitcnt lgkmcnt(1)
	v_lshl_add_u64 v[2:3], v[4:5], 2, s[34:35]
	s_or_b64 s[12:13], vcc, s[12:13]
	s_waitcnt lgkmcnt(0)
	global_store_dword v[2:3], v6, off
	s_andn2_b64 exec, exec, s[12:13]
	s_cbranch_execz .LBB91_91
.LBB91_84:                              ; =>This Loop Header: Depth=1
                                        ;     Child Loop BB91_86 Depth 2
                                        ;     Child Loop BB91_90 Depth 2
	v_lshl_add_u32 v2, v0, 3, 0
	v_lshlrev_b32_e32 v3, 2, v0
	v_sub_u32_e32 v4, v2, v3
	ds_read_b64 v[2:3], v2
	ds_read_b32 v6, v4 offset:32768
	s_and_b64 vcc, exec, s[0:1]
	v_mov_b64_e32 v[4:5], s[8:9]
	s_mov_b64 s[16:17], 0
	s_cbranch_vccnz .LBB91_88
; %bb.85:                               ;   in Loop: Header=BB91_84 Depth=1
	s_mov_b32 s18, 0
	v_mov_b64_e32 v[4:5], s[8:9]
.LBB91_86:                              ;   Parent Loop BB91_84 Depth=1
                                        ; =>  This Inner Loop Header: Depth=2
	v_mov_b32_e32 v7, s18
	ds_read2_b64 v[8:11], v7 offset1:1
	ds_read2_b64 v[12:15], v7 offset0:2 offset1:3
	ds_read2_b64 v[16:19], v7 offset0:4 offset1:5
	;; [unrolled: 1-line block ×3, first 2 shown]
	v_mov_b32_e32 v25, s7
	s_waitcnt lgkmcnt(3)
	v_cmp_gt_i64_e32 vcc, v[2:3], v[8:9]
	v_mov_b32_e32 v27, s7
	v_mov_b32_e32 v29, s7
	v_cndmask_b32_e64 v24, 0, 1, vcc
	v_cmp_gt_i64_e32 vcc, v[2:3], v[10:11]
	v_lshl_add_u64 v[4:5], v[4:5], 0, v[24:25]
	v_mov_b32_e32 v31, s7
	v_cndmask_b32_e64 v26, 0, 1, vcc
	s_waitcnt lgkmcnt(2)
	v_cmp_gt_i64_e32 vcc, v[2:3], v[12:13]
	v_lshl_add_u64 v[4:5], v[4:5], 0, v[26:27]
	v_mov_b32_e32 v33, s7
	v_cndmask_b32_e64 v28, 0, 1, vcc
	v_cmp_gt_i64_e32 vcc, v[2:3], v[14:15]
	v_lshl_add_u64 v[4:5], v[4:5], 0, v[28:29]
	v_mov_b32_e32 v35, s7
	v_cndmask_b32_e64 v30, 0, 1, vcc
	s_waitcnt lgkmcnt(1)
	v_cmp_gt_i64_e32 vcc, v[2:3], v[16:17]
	v_lshl_add_u64 v[4:5], v[4:5], 0, v[30:31]
	v_mov_b32_e32 v37, s7
	v_cndmask_b32_e64 v32, 0, 1, vcc
	v_cmp_gt_i64_e32 vcc, v[2:3], v[18:19]
	v_lshl_add_u64 v[4:5], v[4:5], 0, v[32:33]
	s_add_u32 s16, s16, 8
	v_cndmask_b32_e64 v34, 0, 1, vcc
	s_waitcnt lgkmcnt(0)
	v_cmp_gt_i64_e32 vcc, v[2:3], v[20:21]
	v_lshl_add_u64 v[4:5], v[4:5], 0, v[34:35]
	v_mov_b32_e32 v39, s7
	v_cndmask_b32_e64 v36, 0, 1, vcc
	v_cmp_gt_i64_e32 vcc, v[2:3], v[22:23]
	s_addc_u32 s17, s17, 0
	s_add_i32 s18, s18, 64
	v_cndmask_b32_e64 v38, 0, 1, vcc
	v_lshl_add_u64 v[4:5], v[4:5], 0, v[36:37]
	s_cmp_eq_u64 s[10:11], s[16:17]
	v_lshl_add_u64 v[4:5], v[4:5], 0, v[38:39]
	s_cbranch_scc0 .LBB91_86
; %bb.87:                               ;   in Loop: Header=BB91_84 Depth=1
	s_mov_b64 s[16:17], s[10:11]
.LBB91_88:                              ;   in Loop: Header=BB91_84 Depth=1
	s_and_b64 vcc, exec, s[2:3]
	s_cbranch_vccnz .LBB91_83
; %bb.89:                               ;   in Loop: Header=BB91_84 Depth=1
	s_lshl_b32 s16, s16, 3
	s_add_i32 s18, s16, 0
	s_mov_b64 s[16:17], s[6:7]
.LBB91_90:                              ;   Parent Loop BB91_84 Depth=1
                                        ; =>  This Inner Loop Header: Depth=2
	v_mov_b32_e32 v7, s18
	ds_read_b64 v[10:11], v7
	s_add_i32 s18, s18, 8
	s_add_u32 s16, s16, -1
	v_mov_b32_e32 v9, s7
	s_addc_u32 s17, s17, -1
	s_waitcnt lgkmcnt(0)
	v_cmp_gt_i64_e32 vcc, v[2:3], v[10:11]
	s_cmp_lg_u64 s[16:17], 0
	s_nop 0
	v_cndmask_b32_e64 v8, 0, 1, vcc
	v_lshl_add_u64 v[4:5], v[4:5], 0, v[8:9]
	s_cbranch_scc1 .LBB91_90
	s_branch .LBB91_83
.LBB91_91:
	s_endpgm
	.section	.rodata,"a",@progbits
	.p2align	6, 0x0
	.amdhsa_kernel _ZN9rocsparseL41csrgemm_numeric_fill_block_per_row_kernelILj1024ELj64ELj4096ELj137ELj64EllfEEvT5_PKS1_S3_NS_24const_host_device_scalarIT6_EEPKT4_S3_PKS5_S9_S3_SB_S6_S9_S3_SB_S9_S3_PS5_21rocsparse_index_base_SD_SD_SD_bbb
		.amdhsa_group_segment_fixed_size 0
		.amdhsa_private_segment_fixed_size 0
		.amdhsa_kernarg_size 156
		.amdhsa_user_sgpr_count 2
		.amdhsa_user_sgpr_dispatch_ptr 0
		.amdhsa_user_sgpr_queue_ptr 0
		.amdhsa_user_sgpr_kernarg_segment_ptr 1
		.amdhsa_user_sgpr_dispatch_id 0
		.amdhsa_user_sgpr_kernarg_preload_length 0
		.amdhsa_user_sgpr_kernarg_preload_offset 0
		.amdhsa_user_sgpr_private_segment_size 0
		.amdhsa_uses_dynamic_stack 0
		.amdhsa_enable_private_segment 0
		.amdhsa_system_sgpr_workgroup_id_x 1
		.amdhsa_system_sgpr_workgroup_id_y 0
		.amdhsa_system_sgpr_workgroup_id_z 0
		.amdhsa_system_sgpr_workgroup_info 0
		.amdhsa_system_vgpr_workitem_id 0
		.amdhsa_next_free_vgpr 40
		.amdhsa_next_free_sgpr 56
		.amdhsa_accum_offset 40
		.amdhsa_reserve_vcc 1
		.amdhsa_float_round_mode_32 0
		.amdhsa_float_round_mode_16_64 0
		.amdhsa_float_denorm_mode_32 3
		.amdhsa_float_denorm_mode_16_64 3
		.amdhsa_dx10_clamp 1
		.amdhsa_ieee_mode 1
		.amdhsa_fp16_overflow 0
		.amdhsa_tg_split 0
		.amdhsa_exception_fp_ieee_invalid_op 0
		.amdhsa_exception_fp_denorm_src 0
		.amdhsa_exception_fp_ieee_div_zero 0
		.amdhsa_exception_fp_ieee_overflow 0
		.amdhsa_exception_fp_ieee_underflow 0
		.amdhsa_exception_fp_ieee_inexact 0
		.amdhsa_exception_int_div_zero 0
	.end_amdhsa_kernel
	.section	.text._ZN9rocsparseL41csrgemm_numeric_fill_block_per_row_kernelILj1024ELj64ELj4096ELj137ELj64EllfEEvT5_PKS1_S3_NS_24const_host_device_scalarIT6_EEPKT4_S3_PKS5_S9_S3_SB_S6_S9_S3_SB_S9_S3_PS5_21rocsparse_index_base_SD_SD_SD_bbb,"axG",@progbits,_ZN9rocsparseL41csrgemm_numeric_fill_block_per_row_kernelILj1024ELj64ELj4096ELj137ELj64EllfEEvT5_PKS1_S3_NS_24const_host_device_scalarIT6_EEPKT4_S3_PKS5_S9_S3_SB_S6_S9_S3_SB_S9_S3_PS5_21rocsparse_index_base_SD_SD_SD_bbb,comdat
.Lfunc_end91:
	.size	_ZN9rocsparseL41csrgemm_numeric_fill_block_per_row_kernelILj1024ELj64ELj4096ELj137ELj64EllfEEvT5_PKS1_S3_NS_24const_host_device_scalarIT6_EEPKT4_S3_PKS5_S9_S3_SB_S6_S9_S3_SB_S9_S3_PS5_21rocsparse_index_base_SD_SD_SD_bbb, .Lfunc_end91-_ZN9rocsparseL41csrgemm_numeric_fill_block_per_row_kernelILj1024ELj64ELj4096ELj137ELj64EllfEEvT5_PKS1_S3_NS_24const_host_device_scalarIT6_EEPKT4_S3_PKS5_S9_S3_SB_S6_S9_S3_SB_S9_S3_PS5_21rocsparse_index_base_SD_SD_SD_bbb
                                        ; -- End function
	.set _ZN9rocsparseL41csrgemm_numeric_fill_block_per_row_kernelILj1024ELj64ELj4096ELj137ELj64EllfEEvT5_PKS1_S3_NS_24const_host_device_scalarIT6_EEPKT4_S3_PKS5_S9_S3_SB_S6_S9_S3_SB_S9_S3_PS5_21rocsparse_index_base_SD_SD_SD_bbb.num_vgpr, 40
	.set _ZN9rocsparseL41csrgemm_numeric_fill_block_per_row_kernelILj1024ELj64ELj4096ELj137ELj64EllfEEvT5_PKS1_S3_NS_24const_host_device_scalarIT6_EEPKT4_S3_PKS5_S9_S3_SB_S6_S9_S3_SB_S9_S3_PS5_21rocsparse_index_base_SD_SD_SD_bbb.num_agpr, 0
	.set _ZN9rocsparseL41csrgemm_numeric_fill_block_per_row_kernelILj1024ELj64ELj4096ELj137ELj64EllfEEvT5_PKS1_S3_NS_24const_host_device_scalarIT6_EEPKT4_S3_PKS5_S9_S3_SB_S6_S9_S3_SB_S9_S3_PS5_21rocsparse_index_base_SD_SD_SD_bbb.numbered_sgpr, 56
	.set _ZN9rocsparseL41csrgemm_numeric_fill_block_per_row_kernelILj1024ELj64ELj4096ELj137ELj64EllfEEvT5_PKS1_S3_NS_24const_host_device_scalarIT6_EEPKT4_S3_PKS5_S9_S3_SB_S6_S9_S3_SB_S9_S3_PS5_21rocsparse_index_base_SD_SD_SD_bbb.num_named_barrier, 0
	.set _ZN9rocsparseL41csrgemm_numeric_fill_block_per_row_kernelILj1024ELj64ELj4096ELj137ELj64EllfEEvT5_PKS1_S3_NS_24const_host_device_scalarIT6_EEPKT4_S3_PKS5_S9_S3_SB_S6_S9_S3_SB_S9_S3_PS5_21rocsparse_index_base_SD_SD_SD_bbb.private_seg_size, 0
	.set _ZN9rocsparseL41csrgemm_numeric_fill_block_per_row_kernelILj1024ELj64ELj4096ELj137ELj64EllfEEvT5_PKS1_S3_NS_24const_host_device_scalarIT6_EEPKT4_S3_PKS5_S9_S3_SB_S6_S9_S3_SB_S9_S3_PS5_21rocsparse_index_base_SD_SD_SD_bbb.uses_vcc, 1
	.set _ZN9rocsparseL41csrgemm_numeric_fill_block_per_row_kernelILj1024ELj64ELj4096ELj137ELj64EllfEEvT5_PKS1_S3_NS_24const_host_device_scalarIT6_EEPKT4_S3_PKS5_S9_S3_SB_S6_S9_S3_SB_S9_S3_PS5_21rocsparse_index_base_SD_SD_SD_bbb.uses_flat_scratch, 0
	.set _ZN9rocsparseL41csrgemm_numeric_fill_block_per_row_kernelILj1024ELj64ELj4096ELj137ELj64EllfEEvT5_PKS1_S3_NS_24const_host_device_scalarIT6_EEPKT4_S3_PKS5_S9_S3_SB_S6_S9_S3_SB_S9_S3_PS5_21rocsparse_index_base_SD_SD_SD_bbb.has_dyn_sized_stack, 0
	.set _ZN9rocsparseL41csrgemm_numeric_fill_block_per_row_kernelILj1024ELj64ELj4096ELj137ELj64EllfEEvT5_PKS1_S3_NS_24const_host_device_scalarIT6_EEPKT4_S3_PKS5_S9_S3_SB_S6_S9_S3_SB_S9_S3_PS5_21rocsparse_index_base_SD_SD_SD_bbb.has_recursion, 0
	.set _ZN9rocsparseL41csrgemm_numeric_fill_block_per_row_kernelILj1024ELj64ELj4096ELj137ELj64EllfEEvT5_PKS1_S3_NS_24const_host_device_scalarIT6_EEPKT4_S3_PKS5_S9_S3_SB_S6_S9_S3_SB_S9_S3_PS5_21rocsparse_index_base_SD_SD_SD_bbb.has_indirect_call, 0
	.section	.AMDGPU.csdata,"",@progbits
; Kernel info:
; codeLenInByte = 3168
; TotalNumSgprs: 62
; NumVgprs: 40
; NumAgprs: 0
; TotalNumVgprs: 40
; ScratchSize: 0
; MemoryBound: 0
; FloatMode: 240
; IeeeMode: 1
; LDSByteSize: 0 bytes/workgroup (compile time only)
; SGPRBlocks: 7
; VGPRBlocks: 4
; NumSGPRsForWavesPerEU: 62
; NumVGPRsForWavesPerEU: 40
; AccumOffset: 40
; Occupancy: 8
; WaveLimiterHint : 1
; COMPUTE_PGM_RSRC2:SCRATCH_EN: 0
; COMPUTE_PGM_RSRC2:USER_SGPR: 2
; COMPUTE_PGM_RSRC2:TRAP_HANDLER: 0
; COMPUTE_PGM_RSRC2:TGID_X_EN: 1
; COMPUTE_PGM_RSRC2:TGID_Y_EN: 0
; COMPUTE_PGM_RSRC2:TGID_Z_EN: 0
; COMPUTE_PGM_RSRC2:TIDIG_COMP_CNT: 0
; COMPUTE_PGM_RSRC3_GFX90A:ACCUM_OFFSET: 9
; COMPUTE_PGM_RSRC3_GFX90A:TG_SPLIT: 0
	.section	.text._ZN9rocsparseL41csrgemm_numeric_fill_block_per_row_kernelILj1024ELj64ELj8192ELj137ELj32EllfEEvT5_PKS1_S3_NS_24const_host_device_scalarIT6_EEPKT4_S3_PKS5_S9_S3_SB_S6_S9_S3_SB_S9_S3_PS5_21rocsparse_index_base_SD_SD_SD_bbb,"axG",@progbits,_ZN9rocsparseL41csrgemm_numeric_fill_block_per_row_kernelILj1024ELj64ELj8192ELj137ELj32EllfEEvT5_PKS1_S3_NS_24const_host_device_scalarIT6_EEPKT4_S3_PKS5_S9_S3_SB_S6_S9_S3_SB_S9_S3_PS5_21rocsparse_index_base_SD_SD_SD_bbb,comdat
	.globl	_ZN9rocsparseL41csrgemm_numeric_fill_block_per_row_kernelILj1024ELj64ELj8192ELj137ELj32EllfEEvT5_PKS1_S3_NS_24const_host_device_scalarIT6_EEPKT4_S3_PKS5_S9_S3_SB_S6_S9_S3_SB_S9_S3_PS5_21rocsparse_index_base_SD_SD_SD_bbb ; -- Begin function _ZN9rocsparseL41csrgemm_numeric_fill_block_per_row_kernelILj1024ELj64ELj8192ELj137ELj32EllfEEvT5_PKS1_S3_NS_24const_host_device_scalarIT6_EEPKT4_S3_PKS5_S9_S3_SB_S6_S9_S3_SB_S9_S3_PS5_21rocsparse_index_base_SD_SD_SD_bbb
	.p2align	8
	.type	_ZN9rocsparseL41csrgemm_numeric_fill_block_per_row_kernelILj1024ELj64ELj8192ELj137ELj32EllfEEvT5_PKS1_S3_NS_24const_host_device_scalarIT6_EEPKT4_S3_PKS5_S9_S3_SB_S6_S9_S3_SB_S9_S3_PS5_21rocsparse_index_base_SD_SD_SD_bbb,@function
_ZN9rocsparseL41csrgemm_numeric_fill_block_per_row_kernelILj1024ELj64ELj8192ELj137ELj32EllfEEvT5_PKS1_S3_NS_24const_host_device_scalarIT6_EEPKT4_S3_PKS5_S9_S3_SB_S6_S9_S3_SB_S9_S3_PS5_21rocsparse_index_base_SD_SD_SD_bbb: ; @_ZN9rocsparseL41csrgemm_numeric_fill_block_per_row_kernelILj1024ELj64ELj8192ELj137ELj32EllfEEvT5_PKS1_S3_NS_24const_host_device_scalarIT6_EEPKT4_S3_PKS5_S9_S3_SB_S6_S9_S3_SB_S9_S3_PS5_21rocsparse_index_base_SD_SD_SD_bbb
; %bb.0:
	s_load_dword s3, s[0:1], 0x98
	s_load_dwordx4 s[8:11], s[0:1], 0x8
	s_load_dwordx2 s[4:5], s[0:1], 0x18
	s_load_dwordx4 s[44:47], s[0:1], 0x88
	s_load_dwordx2 s[12:13], s[0:1], 0x50
	s_waitcnt lgkmcnt(0)
	s_bitcmp1_b32 s3, 0
	s_cselect_b64 s[6:7], -1, 0
	s_bitcmp1_b32 s3, 16
	s_cselect_b64 s[14:15], -1, 0
	s_xor_b64 s[16:17], s[6:7], -1
	s_or_b64 s[16:17], s[14:15], s[16:17]
	s_and_b64 vcc, exec, s[16:17]
	s_cbranch_vccnz .LBB92_2
; %bb.1:
	s_load_dword s4, s[4:5], 0x0
	s_waitcnt lgkmcnt(0)
	v_mov_b32_e32 v20, s4
	s_branch .LBB92_3
.LBB92_2:
	v_mov_b32_e32 v1, s4
	v_cndmask_b32_e64 v20, 0, v1, s[6:7]
.LBB92_3:
	s_bitcmp1_b32 s3, 8
	s_cselect_b64 s[4:5], -1, 0
	s_xor_b64 s[16:17], s[4:5], -1
	s_or_b64 s[14:15], s[14:15], s[16:17]
	s_and_b64 vcc, exec, s[14:15]
	s_cbranch_vccnz .LBB92_5
; %bb.4:
	s_load_dword s3, s[12:13], 0x0
	s_waitcnt lgkmcnt(0)
	v_mov_b32_e32 v19, s3
	s_branch .LBB92_6
.LBB92_5:
	v_mov_b32_e32 v1, s12
	v_cndmask_b32_e64 v19, 0, v1, s[4:5]
.LBB92_6:
	s_load_dwordx2 s[68:69], s[0:1], 0x0
	v_lshl_add_u32 v1, v0, 3, 0
	v_lshl_add_u32 v18, v0, 2, 0
	v_mov_b32_e32 v6, 0
	v_add_u32_e32 v7, 0x10000, v18
	s_waitcnt lgkmcnt(0)
	v_mov_b64_e32 v[2:3], s[68:69]
	v_mov_b64_e32 v[4:5], s[68:69]
	ds_write2st64_b64 v1, v[2:3], v[4:5] offset1:16
	ds_write2st64_b32 v7, v6, v6 offset1:16
	ds_write2st64_b64 v1, v[2:3], v[4:5] offset0:32 offset1:48
	ds_write2st64_b32 v7, v6, v6 offset0:32 offset1:48
	ds_write2st64_b64 v1, v[2:3], v[4:5] offset0:64 offset1:80
	ds_write2st64_b32 v7, v6, v6 offset0:64 offset1:80
	;; [unrolled: 2-line block ×3, first 2 shown]
	s_waitcnt lgkmcnt(0)
	s_barrier
	s_load_dwordx2 s[8:9], s[8:9], 0x0
	s_mov_b32 s3, 0
	s_waitcnt lgkmcnt(0)
	s_lshl_b64 s[8:9], s[8:9], 3
	s_add_u32 s8, s10, s8
	s_addc_u32 s9, s11, s9
	s_lshl_b64 s[2:3], s[2:3], 3
	s_add_u32 s2, s8, s2
	s_addc_u32 s3, s9, s3
	s_load_dwordx2 s[42:43], s[2:3], 0x0
	s_andn2_b64 vcc, exec, s[6:7]
	s_cbranch_vccnz .LBB92_26
; %bb.7:
	s_load_dwordx2 s[2:3], s[0:1], 0x20
	s_waitcnt lgkmcnt(0)
	s_lshl_b64 s[6:7], s[42:43], 3
	v_lshrrev_b32_e32 v2, 6, v0
	v_subrev_co_u32_e32 v2, vcc, s44, v2
	s_add_u32 s2, s2, s6
	s_addc_u32 s3, s3, s7
	s_load_dwordx4 s[8:11], s[2:3], 0x0
	v_subb_co_u32_e64 v3, s[2:3], 0, 0, vcc
	s_waitcnt lgkmcnt(0)
	s_sub_u32 s2, s10, s44
	s_subb_u32 s3, s11, 0
	v_lshl_add_u64 v[2:3], s[8:9], 0, v[2:3]
	v_cmp_gt_i64_e32 vcc, s[2:3], v[2:3]
	s_and_saveexec_b64 s[6:7], vcc
	s_cbranch_execz .LBB92_25
; %bb.8:
	s_load_dwordx2 s[16:17], s[0:1], 0x48
	s_load_dwordx8 s[8:15], s[0:1], 0x28
	v_and_b32_e32 v4, 63, v0
	v_subrev_co_u32_e32 v4, vcc, s45, v4
	s_mov_b32 s33, s45
	s_nop 0
	v_subb_co_u32_e64 v5, s[18:19], 0, 0, vcc
	s_mov_b64 s[18:19], 0
	s_movk_i32 s40, 0x89
	s_branch .LBB92_10
.LBB92_9:                               ;   in Loop: Header=BB92_10 Depth=1
	s_or_b64 exec, exec, s[20:21]
	v_lshl_add_u64 v[2:3], v[2:3], 0, 16
	v_cmp_le_i64_e32 vcc, s[2:3], v[2:3]
	s_or_b64 s[18:19], vcc, s[18:19]
	s_andn2_b64 exec, exec, s[18:19]
	s_cbranch_execz .LBB92_25
.LBB92_10:                              ; =>This Loop Header: Depth=1
                                        ;     Child Loop BB92_14 Depth 2
                                        ;       Child Loop BB92_17 Depth 3
	s_waitcnt lgkmcnt(0)
	v_lshl_add_u64 v[6:7], v[2:3], 3, s[8:9]
	global_load_dwordx2 v[6:7], v[6:7], off
	s_waitcnt vmcnt(0)
	v_subrev_co_u32_e32 v6, vcc, s44, v6
	s_nop 1
	v_subbrev_co_u32_e32 v7, vcc, 0, v7, vcc
	v_lshl_add_u64 v[6:7], v[6:7], 3, s[12:13]
	global_load_dwordx4 v[8:11], v[6:7], off
	s_waitcnt vmcnt(0)
	v_subrev_co_u32_e32 v6, vcc, s33, v10
	s_nop 1
	v_subbrev_co_u32_e32 v7, vcc, 0, v11, vcc
	v_lshl_add_u64 v[8:9], v[8:9], 0, v[4:5]
	v_cmp_lt_i64_e32 vcc, v[8:9], v[6:7]
	s_and_saveexec_b64 s[20:21], vcc
	s_cbranch_execz .LBB92_9
; %bb.11:                               ;   in Loop: Header=BB92_10 Depth=1
	v_lshl_add_u64 v[10:11], v[2:3], 2, s[10:11]
	global_load_dword v10, v[10:11], off
	s_mov_b64 s[22:23], 0
	s_waitcnt vmcnt(0)
	v_mul_f32_e32 v21, v20, v10
	s_branch .LBB92_14
.LBB92_12:                              ;   in Loop: Header=BB92_14 Depth=2
	s_or_b64 exec, exec, s[26:27]
.LBB92_13:                              ;   in Loop: Header=BB92_14 Depth=2
	s_or_b64 exec, exec, s[24:25]
	v_lshl_add_u32 v11, v12, 2, 0
	s_waitcnt vmcnt(0)
	v_mul_f32_e32 v10, v21, v22
	v_add_u32_e32 v11, 0x10000, v11
	ds_add_f32 v11, v10
	v_lshl_add_u64 v[8:9], v[8:9], 0, 64
	v_cmp_ge_i64_e32 vcc, v[8:9], v[6:7]
	s_or_b64 s[22:23], vcc, s[22:23]
	s_andn2_b64 exec, exec, s[22:23]
	s_cbranch_execz .LBB92_9
.LBB92_14:                              ;   Parent Loop BB92_10 Depth=1
                                        ; =>  This Loop Header: Depth=2
                                        ;       Child Loop BB92_17 Depth 3
	v_lshl_add_u64 v[10:11], v[8:9], 3, s[14:15]
	global_load_dwordx2 v[10:11], v[10:11], off
	v_lshl_add_u64 v[12:13], v[8:9], 2, s[16:17]
	global_load_dword v22, v[12:13], off
	s_waitcnt vmcnt(1)
	v_subrev_co_u32_e32 v10, vcc, s33, v10
	v_mul_lo_u32 v12, v10, s40
	v_and_b32_e32 v12, 0x1fff, v12
	v_lshl_add_u32 v23, v12, 3, 0
	ds_read_b64 v[16:17], v23
	v_subbrev_co_u32_e32 v11, vcc, 0, v11, vcc
	s_waitcnt lgkmcnt(0)
	v_cmp_ne_u64_e32 vcc, v[16:17], v[10:11]
	s_and_saveexec_b64 s[24:25], vcc
	s_cbranch_execz .LBB92_13
; %bb.15:                               ;   in Loop: Header=BB92_14 Depth=2
	s_mov_b64 s[26:27], 0
                                        ; implicit-def: $sgpr28_sgpr29
                                        ; implicit-def: $sgpr30_sgpr31
	s_branch .LBB92_17
.LBB92_16:                              ;   in Loop: Header=BB92_17 Depth=3
	s_or_b64 exec, exec, s[38:39]
	s_and_b64 s[34:35], exec, s[36:37]
	s_or_b64 s[26:27], s[34:35], s[26:27]
	s_andn2_b64 s[28:29], s[28:29], exec
	s_and_b64 s[34:35], s[30:31], exec
	s_or_b64 s[28:29], s[28:29], s[34:35]
	s_andn2_b64 exec, exec, s[26:27]
	s_cbranch_execz .LBB92_23
.LBB92_17:                              ;   Parent Loop BB92_10 Depth=1
                                        ;     Parent Loop BB92_14 Depth=2
                                        ; =>    This Inner Loop Header: Depth=3
	v_mov_b64_e32 v[14:15], v[12:13]
	v_cmp_ne_u64_e32 vcc, s[68:69], v[16:17]
	s_mov_b64 s[34:35], 0
                                        ; implicit-def: $vgpr12_vgpr13
	s_and_saveexec_b64 s[36:37], vcc
	s_xor_b64 s[36:37], exec, s[36:37]
; %bb.18:                               ;   in Loop: Header=BB92_17 Depth=3
	v_add_u32_e32 v12, 1, v14
	s_mov_b64 s[34:35], exec
	v_and_b32_e32 v12, 0x1fff, v12
                                        ; implicit-def: $vgpr23
; %bb.19:                               ;   in Loop: Header=BB92_17 Depth=3
	s_andn2_saveexec_b64 s[36:37], s[36:37]
	s_cbranch_execz .LBB92_21
; %bb.20:                               ;   in Loop: Header=BB92_17 Depth=3
	v_mov_b64_e32 v[12:13], s[68:69]
	ds_cmpst_rtn_b64 v[12:13], v23, v[12:13], v[10:11]
	s_andn2_b64 s[34:35], s[34:35], exec
	s_waitcnt lgkmcnt(0)
	v_cmp_ne_u64_e32 vcc, s[68:69], v[12:13]
	s_and_b64 s[38:39], vcc, exec
	s_or_b64 s[34:35], s[34:35], s[38:39]
	v_mov_b64_e32 v[12:13], v[14:15]
.LBB92_21:                              ;   in Loop: Header=BB92_17 Depth=3
	s_or_b64 exec, exec, s[36:37]
	s_mov_b64 s[36:37], -1
	s_or_b64 s[30:31], s[30:31], exec
                                        ; implicit-def: $vgpr23
                                        ; implicit-def: $vgpr16_vgpr17
	s_and_saveexec_b64 s[38:39], s[34:35]
	s_cbranch_execz .LBB92_16
; %bb.22:                               ;   in Loop: Header=BB92_17 Depth=3
	v_lshl_add_u32 v23, v12, 3, 0
	ds_read_b64 v[16:17], v23
	s_andn2_b64 s[30:31], s[30:31], exec
	s_waitcnt lgkmcnt(0)
	v_cmp_eq_u64_e32 vcc, v[16:17], v[10:11]
	s_orn2_b64 s[36:37], vcc, exec
	s_branch .LBB92_16
.LBB92_23:                              ;   in Loop: Header=BB92_14 Depth=2
	s_or_b64 exec, exec, s[26:27]
	s_and_saveexec_b64 s[26:27], s[28:29]
	s_xor_b64 s[26:27], exec, s[26:27]
	s_cbranch_execz .LBB92_12
; %bb.24:                               ;   in Loop: Header=BB92_14 Depth=2
	v_mov_b32_e32 v12, v14
	s_branch .LBB92_12
.LBB92_25:
	s_or_b64 exec, exec, s[6:7]
.LBB92_26:
	s_load_dwordx2 s[28:29], s[0:1], 0x80
	s_load_dwordx2 s[2:3], s[0:1], 0x70
                                        ; implicit-def: $vgpr40 : SGPR spill to VGPR lane
	s_andn2_b64 vcc, exec, s[4:5]
	s_waitcnt lgkmcnt(0)
	v_writelane_b32 v40, s2, 0
	s_nop 1
	v_writelane_b32 v40, s3, 1
	s_cbranch_vccnz .LBB92_43
; %bb.27:
	s_load_dwordx2 s[2:3], s[0:1], 0x58
	s_lshl_b64 s[4:5], s[42:43], 3
	v_subrev_co_u32_e32 v2, vcc, s47, v0
	s_waitcnt lgkmcnt(0)
	s_add_u32 s2, s2, s4
	s_addc_u32 s3, s3, s5
	s_load_dwordx4 s[4:7], s[2:3], 0x0
	v_subb_co_u32_e64 v3, s[2:3], 0, 0, vcc
	s_waitcnt lgkmcnt(0)
	s_sub_u32 s2, s6, s47
	s_subb_u32 s3, s7, 0
	v_lshl_add_u64 v[2:3], s[4:5], 0, v[2:3]
	v_cmp_gt_i64_e32 vcc, s[2:3], v[2:3]
	s_and_saveexec_b64 s[8:9], vcc
	s_cbranch_execz .LBB92_42
; %bb.28:
	s_load_dwordx4 s[4:7], s[0:1], 0x60
	s_mov_b32 s26, s47
	s_mov_b64 s[0:1], 0
	s_movk_i32 s27, 0x89
	s_mov_b64 s[10:11], 0x400
	s_branch .LBB92_31
.LBB92_29:                              ;   in Loop: Header=BB92_31 Depth=1
	s_or_b64 exec, exec, s[14:15]
.LBB92_30:                              ;   in Loop: Header=BB92_31 Depth=1
	s_or_b64 exec, exec, s[12:13]
	v_lshl_add_u32 v5, v6, 2, 0
	s_waitcnt vmcnt(0)
	v_mul_f32_e32 v4, v19, v12
	v_add_u32_e32 v5, 0x10000, v5
	ds_add_f32 v5, v4
	v_lshl_add_u64 v[2:3], v[2:3], 0, s[10:11]
	v_cmp_le_i64_e32 vcc, s[2:3], v[2:3]
	s_or_b64 s[0:1], vcc, s[0:1]
	s_andn2_b64 exec, exec, s[0:1]
	s_cbranch_execz .LBB92_42
.LBB92_31:                              ; =>This Loop Header: Depth=1
                                        ;     Child Loop BB92_34 Depth 2
	s_waitcnt lgkmcnt(0)
	v_lshl_add_u64 v[4:5], v[2:3], 3, s[4:5]
	global_load_dwordx2 v[4:5], v[4:5], off
	v_lshl_add_u64 v[6:7], v[2:3], 2, s[6:7]
	global_load_dword v12, v[6:7], off
	s_waitcnt vmcnt(1)
	v_subrev_co_u32_e32 v4, vcc, s26, v4
	v_mul_lo_u32 v6, v4, s27
	v_and_b32_e32 v6, 0x1fff, v6
	v_lshl_add_u32 v13, v6, 3, 0
	ds_read_b64 v[10:11], v13
	v_subbrev_co_u32_e32 v5, vcc, 0, v5, vcc
	s_waitcnt lgkmcnt(0)
	v_cmp_ne_u64_e32 vcc, v[10:11], v[4:5]
	s_and_saveexec_b64 s[12:13], vcc
	s_cbranch_execz .LBB92_30
; %bb.32:                               ;   in Loop: Header=BB92_31 Depth=1
	s_mov_b64 s[14:15], 0
                                        ; implicit-def: $sgpr16_sgpr17
                                        ; implicit-def: $sgpr18_sgpr19
	s_branch .LBB92_34
.LBB92_33:                              ;   in Loop: Header=BB92_34 Depth=2
	s_or_b64 exec, exec, s[24:25]
	s_and_b64 s[20:21], exec, s[22:23]
	s_or_b64 s[14:15], s[20:21], s[14:15]
	s_andn2_b64 s[16:17], s[16:17], exec
	s_and_b64 s[20:21], s[18:19], exec
	s_or_b64 s[16:17], s[16:17], s[20:21]
	s_andn2_b64 exec, exec, s[14:15]
	s_cbranch_execz .LBB92_40
.LBB92_34:                              ;   Parent Loop BB92_31 Depth=1
                                        ; =>  This Inner Loop Header: Depth=2
	v_mov_b64_e32 v[8:9], v[6:7]
	v_cmp_ne_u64_e32 vcc, s[68:69], v[10:11]
	s_mov_b64 s[20:21], 0
                                        ; implicit-def: $vgpr6_vgpr7
	s_and_saveexec_b64 s[22:23], vcc
	s_xor_b64 s[22:23], exec, s[22:23]
; %bb.35:                               ;   in Loop: Header=BB92_34 Depth=2
	v_add_u32_e32 v6, 1, v8
	s_mov_b64 s[20:21], exec
	v_and_b32_e32 v6, 0x1fff, v6
                                        ; implicit-def: $vgpr13
; %bb.36:                               ;   in Loop: Header=BB92_34 Depth=2
	s_andn2_saveexec_b64 s[22:23], s[22:23]
	s_cbranch_execz .LBB92_38
; %bb.37:                               ;   in Loop: Header=BB92_34 Depth=2
	v_mov_b64_e32 v[6:7], s[68:69]
	ds_cmpst_rtn_b64 v[6:7], v13, v[6:7], v[4:5]
	s_andn2_b64 s[20:21], s[20:21], exec
	s_waitcnt lgkmcnt(0)
	v_cmp_ne_u64_e32 vcc, s[68:69], v[6:7]
	s_and_b64 s[24:25], vcc, exec
	s_or_b64 s[20:21], s[20:21], s[24:25]
	v_mov_b64_e32 v[6:7], v[8:9]
.LBB92_38:                              ;   in Loop: Header=BB92_34 Depth=2
	s_or_b64 exec, exec, s[22:23]
	s_mov_b64 s[22:23], -1
	s_or_b64 s[18:19], s[18:19], exec
                                        ; implicit-def: $vgpr13
                                        ; implicit-def: $vgpr10_vgpr11
	s_and_saveexec_b64 s[24:25], s[20:21]
	s_cbranch_execz .LBB92_33
; %bb.39:                               ;   in Loop: Header=BB92_34 Depth=2
	v_lshl_add_u32 v13, v6, 3, 0
	ds_read_b64 v[10:11], v13
	s_andn2_b64 s[18:19], s[18:19], exec
	s_waitcnt lgkmcnt(0)
	v_cmp_eq_u64_e32 vcc, v[10:11], v[4:5]
	s_orn2_b64 s[22:23], vcc, exec
	s_branch .LBB92_33
.LBB92_40:                              ;   in Loop: Header=BB92_31 Depth=1
	s_or_b64 exec, exec, s[14:15]
	s_and_saveexec_b64 s[14:15], s[16:17]
	s_xor_b64 s[14:15], exec, s[14:15]
	s_cbranch_execz .LBB92_29
; %bb.41:                               ;   in Loop: Header=BB92_31 Depth=1
	v_mov_b32_e32 v6, v8
	s_branch .LBB92_29
.LBB92_42:
	s_or_b64 exec, exec, s[8:9]
.LBB92_43:
	v_writelane_b32 v40, s28, 2
	s_movk_i32 s33, 0x25f
	v_cmp_lt_u32_e64 s[34:35], s33, v0
	v_writelane_b32 v40, s29, 3
	v_writelane_b32 v40, s42, 4
	s_movk_i32 s33, 0x27f
	v_cmp_lt_u32_e64 s[36:37], s33, v0
	v_writelane_b32 v40, s43, 5
	s_movk_i32 s33, 0x29f
	v_writelane_b32 v40, s44, 6
	v_cmp_lt_u32_e64 s[38:39], s33, v0
	s_movk_i32 s33, 0x2bf
	v_writelane_b32 v40, s45, 7
	v_cmp_lt_u32_e64 s[40:41], s33, v0
	;; [unrolled: 3-line block ×4, first 2 shown]
	s_movk_i32 s33, 0x31f
	v_cmp_lt_u32_e64 s[46:47], s33, v0
	s_movk_i32 s33, 0x33f
	v_cmp_lt_u32_e64 s[48:49], s33, v0
	;; [unrolled: 2-line block ×3, first 2 shown]
	s_movk_i32 s33, 0x37f
	v_mbcnt_lo_u32_b32 v2, -1, 0
	v_cmp_lt_u32_e64 s[52:53], s33, v0
	s_movk_i32 s33, 0x39f
	v_mbcnt_hi_u32_b32 v2, -1, v2
	v_cmp_lt_u32_e64 s[54:55], s33, v0
	s_movk_i32 s33, 0x3bf
	v_sub_u32_e32 v2, 63, v2
	s_add_i32 s0, 0, 0x18000
	v_cmp_lt_u32_e64 s[56:57], s33, v0
	s_movk_i32 s33, 0x3df
	v_lshrrev_b64 v[4:5], v2, -1
	v_lshrrev_b32_e32 v2, 2, v0
	v_writelane_b32 v40, s0, 10
	v_cmp_lt_u32_e64 s[58:59], s33, v0
	s_add_i32 s33, 0, 0x18008
	v_and_b32_e32 v2, 0xf8, v2
	v_writelane_b32 v40, s33, 11
	s_add_i32 s33, 0, 0x18010
	v_add_u32_e32 v12, s0, v2
	s_movk_i32 s0, 0x3ff
	v_writelane_b32 v40, s33, 12
	s_add_i32 s33, 0, 0x18018
	v_cmp_eq_u32_e32 vcc, s0, v0
	s_movk_i32 s0, 0x5f
	s_movk_i32 s2, 0x7f
	;; [unrolled: 1-line block ×16, first 2 shown]
	v_writelane_b32 v40, s33, 13
	s_add_i32 s33, 0, 0x18028
	v_mov_b32_e32 v3, 0
	v_cmp_lt_u32_e64 s[0:1], s0, v0
	v_cmp_lt_u32_e64 s[2:3], s2, v0
	;; [unrolled: 1-line block ×16, first 2 shown]
	v_or_b32_e32 v13, 0xfffffc00, v0
	v_add_u32_e32 v14, 0x10000, v18
	v_mov_b64_e32 v[6:7], 0
	s_add_i32 s81, 0, 0x18020
	v_writelane_b32 v40, s33, 14
	s_add_i32 s84, 0, 0x18030
	s_add_i32 s85, 0, 0x18038
	s_add_i32 s86, 0, 0x18040
	s_add_i32 s87, 0, 0x18048
	s_add_i32 s88, 0, 0x18050
	s_add_i32 s89, 0, 0x18058
	s_add_i32 s90, 0, 0x18060
	s_add_i32 s91, 0, 0x18068
	s_add_i32 s92, 0, 0x18070
	s_add_i32 s93, 0, 0x18078
	s_add_i32 s94, 0, 0x18080
	s_add_i32 s95, 0, 0x18088
	s_add_i32 s96, 0, 0x18090
	s_add_i32 s97, 0, 0x18098
	s_add_i32 s98, 0, 0x180a0
	s_add_i32 s99, 0, 0x180a8
	s_add_i32 s70, 0, 0x180b0
	s_add_i32 s71, 0, 0x180b8
	s_add_i32 s74, 0, 0x180c0
	s_add_i32 s75, 0, 0x180c8
	s_add_i32 s66, 0, 0x180d0
	s_add_i32 s72, 0, 0x180d8
	s_add_i32 s73, 0, 0x180e0
	s_add_i32 s33, 0, 0x180e8
	s_add_i32 s67, 0, 0x180f0
	s_add_i32 s80, 0, 0x180f8
	v_cmp_lt_u32_e64 s[60:61], 31, v0
	v_cmp_lt_u32_e64 s[62:63], 63, v0
	s_mov_b64 s[76:77], 0
	s_waitcnt lgkmcnt(0)
	s_barrier
	s_branch .LBB92_45
.LBB92_44:                              ;   in Loop: Header=BB92_45 Depth=1
	s_or_b64 exec, exec, s[64:65]
	v_mov_b32_e32 v2, s80
	s_waitcnt lgkmcnt(0)
	s_barrier
	ds_read_b64 v[8:9], v2
	v_add_u32_e32 v13, 0x400, v13
	s_movk_i32 s64, 0x1bff
	v_cmp_lt_u32_e64 s[64:65], s64, v13
	v_add_u32_e32 v14, 0x1000, v14
	s_waitcnt lgkmcnt(0)
	v_lshl_add_u64 v[6:7], v[8:9], 0, v[6:7]
	s_or_b64 s[76:77], s[64:65], s[76:77]
	v_add_u32_e32 v1, 0x2000, v1
	s_andn2_b64 exec, exec, s[76:77]
	s_cbranch_execz .LBB92_111
.LBB92_45:                              ; =>This Inner Loop Header: Depth=1
	ds_read_b64 v[8:9], v1
	ds_read_b32 v15, v14
	s_waitcnt lgkmcnt(0)
	s_barrier
	v_cmp_gt_i64_e64 s[64:65], s[68:69], v[8:9]
	s_bcnt1_i32_b64 s78, s[64:65]
	v_mov_b32_e32 v2, s78
	v_and_b32_e32 v11, s64, v4
	v_and_b32_e32 v10, s65, v5
	v_bcnt_u32_b32 v11, v11, 0
	v_bcnt_u32_b32 v10, v10, v11
	ds_write_b64 v12, v[2:3]
	s_waitcnt lgkmcnt(0)
	s_barrier
	s_and_saveexec_b64 s[78:79], s[60:61]
	s_cbranch_execnz .LBB92_78
; %bb.46:                               ;   in Loop: Header=BB92_45 Depth=1
	s_or_b64 exec, exec, s[78:79]
	s_and_saveexec_b64 s[78:79], s[62:63]
	s_cbranch_execnz .LBB92_79
.LBB92_47:                              ;   in Loop: Header=BB92_45 Depth=1
	s_or_b64 exec, exec, s[78:79]
	s_and_saveexec_b64 s[78:79], s[0:1]
	s_cbranch_execnz .LBB92_80
.LBB92_48:                              ;   in Loop: Header=BB92_45 Depth=1
	s_or_b64 exec, exec, s[78:79]
	s_and_saveexec_b64 s[78:79], s[2:3]
	s_cbranch_execnz .LBB92_81
.LBB92_49:                              ;   in Loop: Header=BB92_45 Depth=1
	s_or_b64 exec, exec, s[78:79]
	s_and_saveexec_b64 s[78:79], s[4:5]
	s_cbranch_execnz .LBB92_82
.LBB92_50:                              ;   in Loop: Header=BB92_45 Depth=1
	s_or_b64 exec, exec, s[78:79]
	s_and_saveexec_b64 s[78:79], s[6:7]
	s_cbranch_execnz .LBB92_83
.LBB92_51:                              ;   in Loop: Header=BB92_45 Depth=1
	s_or_b64 exec, exec, s[78:79]
	s_and_saveexec_b64 s[78:79], s[8:9]
	s_cbranch_execnz .LBB92_84
.LBB92_52:                              ;   in Loop: Header=BB92_45 Depth=1
	s_or_b64 exec, exec, s[78:79]
	s_and_saveexec_b64 s[78:79], s[10:11]
	s_cbranch_execnz .LBB92_85
.LBB92_53:                              ;   in Loop: Header=BB92_45 Depth=1
	s_or_b64 exec, exec, s[78:79]
	s_and_saveexec_b64 s[78:79], s[12:13]
	s_cbranch_execnz .LBB92_86
.LBB92_54:                              ;   in Loop: Header=BB92_45 Depth=1
	s_or_b64 exec, exec, s[78:79]
	s_and_saveexec_b64 s[78:79], s[14:15]
	s_cbranch_execnz .LBB92_87
.LBB92_55:                              ;   in Loop: Header=BB92_45 Depth=1
	s_or_b64 exec, exec, s[78:79]
	s_and_saveexec_b64 s[78:79], s[16:17]
	s_cbranch_execnz .LBB92_88
.LBB92_56:                              ;   in Loop: Header=BB92_45 Depth=1
	s_or_b64 exec, exec, s[78:79]
	s_and_saveexec_b64 s[78:79], s[18:19]
	s_cbranch_execnz .LBB92_89
.LBB92_57:                              ;   in Loop: Header=BB92_45 Depth=1
	s_or_b64 exec, exec, s[78:79]
	s_and_saveexec_b64 s[78:79], s[20:21]
	s_cbranch_execnz .LBB92_90
.LBB92_58:                              ;   in Loop: Header=BB92_45 Depth=1
	s_or_b64 exec, exec, s[78:79]
	s_and_saveexec_b64 s[78:79], s[22:23]
	s_cbranch_execnz .LBB92_91
.LBB92_59:                              ;   in Loop: Header=BB92_45 Depth=1
	s_or_b64 exec, exec, s[78:79]
	s_and_saveexec_b64 s[78:79], s[24:25]
	s_cbranch_execnz .LBB92_92
.LBB92_60:                              ;   in Loop: Header=BB92_45 Depth=1
	s_or_b64 exec, exec, s[78:79]
	s_and_saveexec_b64 s[78:79], s[26:27]
	s_cbranch_execnz .LBB92_93
.LBB92_61:                              ;   in Loop: Header=BB92_45 Depth=1
	s_or_b64 exec, exec, s[78:79]
	s_and_saveexec_b64 s[78:79], s[28:29]
	s_cbranch_execnz .LBB92_94
.LBB92_62:                              ;   in Loop: Header=BB92_45 Depth=1
	s_or_b64 exec, exec, s[78:79]
	s_and_saveexec_b64 s[78:79], s[30:31]
	s_cbranch_execnz .LBB92_95
.LBB92_63:                              ;   in Loop: Header=BB92_45 Depth=1
	s_or_b64 exec, exec, s[78:79]
	s_and_saveexec_b64 s[78:79], s[34:35]
	s_cbranch_execnz .LBB92_96
.LBB92_64:                              ;   in Loop: Header=BB92_45 Depth=1
	s_or_b64 exec, exec, s[78:79]
	s_and_saveexec_b64 s[78:79], s[36:37]
	s_cbranch_execnz .LBB92_97
.LBB92_65:                              ;   in Loop: Header=BB92_45 Depth=1
	s_or_b64 exec, exec, s[78:79]
	s_and_saveexec_b64 s[78:79], s[38:39]
	s_cbranch_execnz .LBB92_98
.LBB92_66:                              ;   in Loop: Header=BB92_45 Depth=1
	s_or_b64 exec, exec, s[78:79]
	s_and_saveexec_b64 s[78:79], s[40:41]
	s_cbranch_execnz .LBB92_99
.LBB92_67:                              ;   in Loop: Header=BB92_45 Depth=1
	s_or_b64 exec, exec, s[78:79]
	s_and_saveexec_b64 s[78:79], s[42:43]
	s_cbranch_execnz .LBB92_100
.LBB92_68:                              ;   in Loop: Header=BB92_45 Depth=1
	s_or_b64 exec, exec, s[78:79]
	s_and_saveexec_b64 s[78:79], s[44:45]
	s_cbranch_execnz .LBB92_101
.LBB92_69:                              ;   in Loop: Header=BB92_45 Depth=1
	s_or_b64 exec, exec, s[78:79]
	s_and_saveexec_b64 s[78:79], s[46:47]
	s_cbranch_execnz .LBB92_102
.LBB92_70:                              ;   in Loop: Header=BB92_45 Depth=1
	s_or_b64 exec, exec, s[78:79]
	s_and_saveexec_b64 s[78:79], s[48:49]
	s_cbranch_execnz .LBB92_103
.LBB92_71:                              ;   in Loop: Header=BB92_45 Depth=1
	s_or_b64 exec, exec, s[78:79]
	s_and_saveexec_b64 s[78:79], s[50:51]
	s_cbranch_execnz .LBB92_104
.LBB92_72:                              ;   in Loop: Header=BB92_45 Depth=1
	s_or_b64 exec, exec, s[78:79]
	s_and_saveexec_b64 s[78:79], s[52:53]
	s_cbranch_execnz .LBB92_105
.LBB92_73:                              ;   in Loop: Header=BB92_45 Depth=1
	s_or_b64 exec, exec, s[78:79]
	s_and_saveexec_b64 s[78:79], s[54:55]
	s_cbranch_execnz .LBB92_106
.LBB92_74:                              ;   in Loop: Header=BB92_45 Depth=1
	s_or_b64 exec, exec, s[78:79]
	s_and_saveexec_b64 s[78:79], s[56:57]
	s_cbranch_execnz .LBB92_107
.LBB92_75:                              ;   in Loop: Header=BB92_45 Depth=1
	s_or_b64 exec, exec, s[78:79]
	s_and_saveexec_b64 s[78:79], s[58:59]
	s_cbranch_execnz .LBB92_108
.LBB92_76:                              ;   in Loop: Header=BB92_45 Depth=1
	s_or_b64 exec, exec, s[78:79]
	v_ashrrev_i32_e32 v11, 31, v10
	s_and_saveexec_b64 s[78:79], s[64:65]
	s_cbranch_execnz .LBB92_109
.LBB92_77:                              ;   in Loop: Header=BB92_45 Depth=1
	s_or_b64 exec, exec, s[78:79]
	s_and_saveexec_b64 s[64:65], vcc
	s_cbranch_execz .LBB92_44
	s_branch .LBB92_110
.LBB92_78:                              ;   in Loop: Header=BB92_45 Depth=1
	v_readlane_b32 s82, v40, 10
	s_nop 1
	v_mov_b32_e32 v2, s82
	ds_read_b32 v2, v2
	s_waitcnt lgkmcnt(0)
	v_add_u32_e32 v10, v2, v10
	s_or_b64 exec, exec, s[78:79]
	s_and_saveexec_b64 s[78:79], s[62:63]
	s_cbranch_execz .LBB92_47
.LBB92_79:                              ;   in Loop: Header=BB92_45 Depth=1
	v_readlane_b32 s82, v40, 11
	s_nop 1
	v_mov_b32_e32 v2, s82
	ds_read_b32 v2, v2
	s_waitcnt lgkmcnt(0)
	v_add_u32_e32 v10, v10, v2
	s_or_b64 exec, exec, s[78:79]
	s_and_saveexec_b64 s[78:79], s[0:1]
	s_cbranch_execz .LBB92_48
.LBB92_80:                              ;   in Loop: Header=BB92_45 Depth=1
	v_readlane_b32 s82, v40, 12
	s_nop 1
	v_mov_b32_e32 v2, s82
	ds_read_b32 v2, v2
	s_waitcnt lgkmcnt(0)
	v_add_u32_e32 v10, v10, v2
	s_or_b64 exec, exec, s[78:79]
	s_and_saveexec_b64 s[78:79], s[2:3]
	s_cbranch_execz .LBB92_49
.LBB92_81:                              ;   in Loop: Header=BB92_45 Depth=1
	v_readlane_b32 s82, v40, 13
	s_nop 1
	v_mov_b32_e32 v2, s82
	ds_read_b32 v2, v2
	s_waitcnt lgkmcnt(0)
	v_add_u32_e32 v10, v10, v2
	s_or_b64 exec, exec, s[78:79]
	s_and_saveexec_b64 s[78:79], s[4:5]
	s_cbranch_execz .LBB92_50
.LBB92_82:                              ;   in Loop: Header=BB92_45 Depth=1
	v_mov_b32_e32 v2, s81
	ds_read_b32 v2, v2
	s_waitcnt lgkmcnt(0)
	v_add_u32_e32 v10, v10, v2
	s_or_b64 exec, exec, s[78:79]
	s_and_saveexec_b64 s[78:79], s[6:7]
	s_cbranch_execz .LBB92_51
.LBB92_83:                              ;   in Loop: Header=BB92_45 Depth=1
	v_readlane_b32 s82, v40, 14
	s_nop 1
	v_mov_b32_e32 v2, s82
	ds_read_b32 v2, v2
	s_waitcnt lgkmcnt(0)
	v_add_u32_e32 v10, v10, v2
	s_or_b64 exec, exec, s[78:79]
	s_and_saveexec_b64 s[78:79], s[8:9]
	s_cbranch_execz .LBB92_52
.LBB92_84:                              ;   in Loop: Header=BB92_45 Depth=1
	v_mov_b32_e32 v2, s84
	ds_read_b32 v2, v2
	s_waitcnt lgkmcnt(0)
	v_add_u32_e32 v10, v10, v2
	s_or_b64 exec, exec, s[78:79]
	s_and_saveexec_b64 s[78:79], s[10:11]
	s_cbranch_execz .LBB92_53
.LBB92_85:                              ;   in Loop: Header=BB92_45 Depth=1
	v_mov_b32_e32 v2, s85
	ds_read_b32 v2, v2
	s_waitcnt lgkmcnt(0)
	v_add_u32_e32 v10, v10, v2
	s_or_b64 exec, exec, s[78:79]
	s_and_saveexec_b64 s[78:79], s[12:13]
	s_cbranch_execz .LBB92_54
.LBB92_86:                              ;   in Loop: Header=BB92_45 Depth=1
	v_mov_b32_e32 v2, s86
	ds_read_b32 v2, v2
	s_waitcnt lgkmcnt(0)
	v_add_u32_e32 v10, v10, v2
	s_or_b64 exec, exec, s[78:79]
	s_and_saveexec_b64 s[78:79], s[14:15]
	s_cbranch_execz .LBB92_55
.LBB92_87:                              ;   in Loop: Header=BB92_45 Depth=1
	v_mov_b32_e32 v2, s87
	ds_read_b32 v2, v2
	s_waitcnt lgkmcnt(0)
	v_add_u32_e32 v10, v10, v2
	s_or_b64 exec, exec, s[78:79]
	s_and_saveexec_b64 s[78:79], s[16:17]
	s_cbranch_execz .LBB92_56
.LBB92_88:                              ;   in Loop: Header=BB92_45 Depth=1
	v_mov_b32_e32 v2, s88
	ds_read_b32 v2, v2
	s_waitcnt lgkmcnt(0)
	v_add_u32_e32 v10, v10, v2
	s_or_b64 exec, exec, s[78:79]
	s_and_saveexec_b64 s[78:79], s[18:19]
	s_cbranch_execz .LBB92_57
.LBB92_89:                              ;   in Loop: Header=BB92_45 Depth=1
	v_mov_b32_e32 v2, s89
	ds_read_b32 v2, v2
	s_waitcnt lgkmcnt(0)
	v_add_u32_e32 v10, v10, v2
	s_or_b64 exec, exec, s[78:79]
	s_and_saveexec_b64 s[78:79], s[20:21]
	s_cbranch_execz .LBB92_58
.LBB92_90:                              ;   in Loop: Header=BB92_45 Depth=1
	v_mov_b32_e32 v2, s90
	ds_read_b32 v2, v2
	s_waitcnt lgkmcnt(0)
	v_add_u32_e32 v10, v10, v2
	s_or_b64 exec, exec, s[78:79]
	s_and_saveexec_b64 s[78:79], s[22:23]
	s_cbranch_execz .LBB92_59
.LBB92_91:                              ;   in Loop: Header=BB92_45 Depth=1
	v_mov_b32_e32 v2, s91
	ds_read_b32 v2, v2
	s_waitcnt lgkmcnt(0)
	v_add_u32_e32 v10, v10, v2
	s_or_b64 exec, exec, s[78:79]
	s_and_saveexec_b64 s[78:79], s[24:25]
	s_cbranch_execz .LBB92_60
.LBB92_92:                              ;   in Loop: Header=BB92_45 Depth=1
	v_mov_b32_e32 v2, s92
	ds_read_b32 v2, v2
	s_waitcnt lgkmcnt(0)
	v_add_u32_e32 v10, v10, v2
	s_or_b64 exec, exec, s[78:79]
	s_and_saveexec_b64 s[78:79], s[26:27]
	s_cbranch_execz .LBB92_61
.LBB92_93:                              ;   in Loop: Header=BB92_45 Depth=1
	v_mov_b32_e32 v2, s93
	ds_read_b32 v2, v2
	s_waitcnt lgkmcnt(0)
	v_add_u32_e32 v10, v10, v2
	s_or_b64 exec, exec, s[78:79]
	s_and_saveexec_b64 s[78:79], s[28:29]
	s_cbranch_execz .LBB92_62
.LBB92_94:                              ;   in Loop: Header=BB92_45 Depth=1
	v_mov_b32_e32 v2, s94
	ds_read_b32 v2, v2
	s_waitcnt lgkmcnt(0)
	v_add_u32_e32 v10, v10, v2
	s_or_b64 exec, exec, s[78:79]
	s_and_saveexec_b64 s[78:79], s[30:31]
	s_cbranch_execz .LBB92_63
.LBB92_95:                              ;   in Loop: Header=BB92_45 Depth=1
	v_mov_b32_e32 v2, s95
	ds_read_b32 v2, v2
	s_waitcnt lgkmcnt(0)
	v_add_u32_e32 v10, v10, v2
	s_or_b64 exec, exec, s[78:79]
	s_and_saveexec_b64 s[78:79], s[34:35]
	s_cbranch_execz .LBB92_64
.LBB92_96:                              ;   in Loop: Header=BB92_45 Depth=1
	v_mov_b32_e32 v2, s96
	ds_read_b32 v2, v2
	s_waitcnt lgkmcnt(0)
	v_add_u32_e32 v10, v10, v2
	s_or_b64 exec, exec, s[78:79]
	s_and_saveexec_b64 s[78:79], s[36:37]
	s_cbranch_execz .LBB92_65
.LBB92_97:                              ;   in Loop: Header=BB92_45 Depth=1
	v_mov_b32_e32 v2, s97
	ds_read_b32 v2, v2
	s_waitcnt lgkmcnt(0)
	v_add_u32_e32 v10, v10, v2
	s_or_b64 exec, exec, s[78:79]
	s_and_saveexec_b64 s[78:79], s[38:39]
	s_cbranch_execz .LBB92_66
.LBB92_98:                              ;   in Loop: Header=BB92_45 Depth=1
	v_mov_b32_e32 v2, s98
	ds_read_b32 v2, v2
	s_waitcnt lgkmcnt(0)
	v_add_u32_e32 v10, v10, v2
	s_or_b64 exec, exec, s[78:79]
	s_and_saveexec_b64 s[78:79], s[40:41]
	s_cbranch_execz .LBB92_67
.LBB92_99:                              ;   in Loop: Header=BB92_45 Depth=1
	v_mov_b32_e32 v2, s99
	ds_read_b32 v2, v2
	s_waitcnt lgkmcnt(0)
	v_add_u32_e32 v10, v10, v2
	s_or_b64 exec, exec, s[78:79]
	s_and_saveexec_b64 s[78:79], s[42:43]
	s_cbranch_execz .LBB92_68
.LBB92_100:                             ;   in Loop: Header=BB92_45 Depth=1
	v_mov_b32_e32 v2, s70
	ds_read_b32 v2, v2
	s_waitcnt lgkmcnt(0)
	v_add_u32_e32 v10, v10, v2
	s_or_b64 exec, exec, s[78:79]
	s_and_saveexec_b64 s[78:79], s[44:45]
	s_cbranch_execz .LBB92_69
.LBB92_101:                             ;   in Loop: Header=BB92_45 Depth=1
	v_mov_b32_e32 v2, s71
	ds_read_b32 v2, v2
	s_waitcnt lgkmcnt(0)
	v_add_u32_e32 v10, v10, v2
	s_or_b64 exec, exec, s[78:79]
	s_and_saveexec_b64 s[78:79], s[46:47]
	s_cbranch_execz .LBB92_70
.LBB92_102:                             ;   in Loop: Header=BB92_45 Depth=1
	v_mov_b32_e32 v2, s74
	ds_read_b32 v2, v2
	s_waitcnt lgkmcnt(0)
	v_add_u32_e32 v10, v10, v2
	s_or_b64 exec, exec, s[78:79]
	s_and_saveexec_b64 s[78:79], s[48:49]
	s_cbranch_execz .LBB92_71
.LBB92_103:                             ;   in Loop: Header=BB92_45 Depth=1
	v_mov_b32_e32 v2, s75
	ds_read_b32 v2, v2
	s_waitcnt lgkmcnt(0)
	v_add_u32_e32 v10, v10, v2
	s_or_b64 exec, exec, s[78:79]
	s_and_saveexec_b64 s[78:79], s[50:51]
	s_cbranch_execz .LBB92_72
.LBB92_104:                             ;   in Loop: Header=BB92_45 Depth=1
	v_mov_b32_e32 v2, s66
	ds_read_b32 v2, v2
	s_waitcnt lgkmcnt(0)
	v_add_u32_e32 v10, v10, v2
	s_or_b64 exec, exec, s[78:79]
	s_and_saveexec_b64 s[78:79], s[52:53]
	s_cbranch_execz .LBB92_73
.LBB92_105:                             ;   in Loop: Header=BB92_45 Depth=1
	v_mov_b32_e32 v2, s72
	ds_read_b32 v2, v2
	s_waitcnt lgkmcnt(0)
	v_add_u32_e32 v10, v10, v2
	s_or_b64 exec, exec, s[78:79]
	s_and_saveexec_b64 s[78:79], s[54:55]
	s_cbranch_execz .LBB92_74
.LBB92_106:                             ;   in Loop: Header=BB92_45 Depth=1
	v_mov_b32_e32 v2, s73
	ds_read_b32 v2, v2
	s_waitcnt lgkmcnt(0)
	v_add_u32_e32 v10, v10, v2
	s_or_b64 exec, exec, s[78:79]
	s_and_saveexec_b64 s[78:79], s[56:57]
	s_cbranch_execz .LBB92_75
.LBB92_107:                             ;   in Loop: Header=BB92_45 Depth=1
	v_mov_b32_e32 v2, s33
	ds_read_b32 v2, v2
	s_waitcnt lgkmcnt(0)
	v_add_u32_e32 v10, v10, v2
	s_or_b64 exec, exec, s[78:79]
	s_and_saveexec_b64 s[78:79], s[58:59]
	s_cbranch_execz .LBB92_76
.LBB92_108:                             ;   in Loop: Header=BB92_45 Depth=1
	v_mov_b32_e32 v2, s67
	ds_read_b32 v2, v2
	s_waitcnt lgkmcnt(0)
	v_add_u32_e32 v10, v10, v2
	s_or_b64 exec, exec, s[78:79]
	v_ashrrev_i32_e32 v11, 31, v10
	s_and_saveexec_b64 s[78:79], s[64:65]
	s_cbranch_execz .LBB92_77
.LBB92_109:                             ;   in Loop: Header=BB92_45 Depth=1
	v_add3_u32 v2, v6, -1, v10
	v_lshl_add_u32 v2, v2, 3, 0
	v_add_u32_e32 v16, v6, v10
	v_lshl_add_u32 v16, v16, 2, 0
	ds_write_b64 v2, v[8:9]
	ds_write_b32 v16, v15 offset:65532
	s_or_b64 exec, exec, s[78:79]
	s_and_saveexec_b64 s[64:65], vcc
	s_cbranch_execz .LBB92_44
.LBB92_110:                             ;   in Loop: Header=BB92_45 Depth=1
	v_mov_b32_e32 v2, s80
	ds_write_b64 v2, v[10:11]
	s_branch .LBB92_44
.LBB92_111:
	s_or_b64 exec, exec, s[76:77]
	v_readlane_b32 s0, v40, 4
	v_readlane_b32 s1, v40, 5
	s_lshl_b64 s[0:1], s[0:1], 3
	v_readlane_b32 s2, v40, 0
	v_readlane_b32 s3, v40, 1
	s_add_u32 s4, s2, s0
	s_addc_u32 s5, s3, s1
	s_load_dwordx4 s[0:3], s[4:5], 0x0
	v_mov_b32_e32 v1, 0
	s_waitcnt lgkmcnt(0)
	s_sub_u32 s4, s2, s0
	s_subb_u32 s5, s3, s1
	v_cmp_gt_i64_e32 vcc, s[4:5], v[0:1]
	s_and_saveexec_b64 s[6:7], vcc
	v_readlane_b32 s20, v40, 2
	v_readlane_b32 s21, v40, 3
	s_cbranch_execz .LBB92_121
; %bb.112:
	v_readlane_b32 s8, v40, 6
	v_readlane_b32 s10, v40, 8
	;; [unrolled: 1-line block ×3, first 2 shown]
	s_sub_u32 s8, s0, s10
	s_subb_u32 s9, s1, 0
	s_and_b32 s6, s4, 7
	s_sub_u32 s0, s0, s2
	s_mov_b32 s7, 0
	s_subb_u32 s1, s1, s3
	s_and_b32 s10, s4, -8
	s_cmp_lg_u64 s[6:7], 0
	v_cmp_lt_u64_e64 s[0:1], s[0:1], -7
	s_cselect_b64 s[2:3], -1, 0
	v_readlane_b32 s11, v40, 9
	v_cndmask_b32_e64 v2, 0, 1, s[0:1]
	v_cmp_ne_u32_e64 s[0:1], 1, v2
	v_cndmask_b32_e64 v2, 0, 1, s[2:3]
	s_mov_b32 s11, s5
	s_mov_b64 s[12:13], 0
	v_cmp_ne_u32_e64 s[2:3], 1, v2
	s_mov_b64 s[14:15], 0x400
	s_branch .LBB92_114
.LBB92_113:                             ;   in Loop: Header=BB92_114 Depth=1
	v_lshl_add_u64 v[0:1], v[0:1], 0, s[14:15]
	v_cmp_le_i64_e32 vcc, s[4:5], v[0:1]
	s_waitcnt lgkmcnt(1)
	v_lshl_add_u64 v[2:3], v[4:5], 2, s[20:21]
	s_or_b64 s[12:13], vcc, s[12:13]
	s_waitcnt lgkmcnt(0)
	global_store_dword v[2:3], v6, off
	s_andn2_b64 exec, exec, s[12:13]
	s_cbranch_execz .LBB92_121
.LBB92_114:                             ; =>This Loop Header: Depth=1
                                        ;     Child Loop BB92_116 Depth 2
                                        ;     Child Loop BB92_120 Depth 2
	v_lshl_add_u32 v2, v0, 3, 0
	v_lshl_add_u32 v3, v0, 2, 0
	v_add_u32_e32 v4, 0x10000, v3
	ds_read_b64 v[2:3], v2
	ds_read_b32 v6, v4
	s_and_b64 vcc, exec, s[0:1]
	v_mov_b64_e32 v[4:5], s[8:9]
	s_mov_b64 s[16:17], 0
	s_cbranch_vccnz .LBB92_118
; %bb.115:                              ;   in Loop: Header=BB92_114 Depth=1
	s_mov_b32 s18, 0
	v_mov_b64_e32 v[4:5], s[8:9]
.LBB92_116:                             ;   Parent Loop BB92_114 Depth=1
                                        ; =>  This Inner Loop Header: Depth=2
	v_mov_b32_e32 v7, s18
	ds_read2_b64 v[8:11], v7 offset1:1
	ds_read2_b64 v[12:15], v7 offset0:2 offset1:3
	ds_read2_b64 v[16:19], v7 offset0:4 offset1:5
	;; [unrolled: 1-line block ×3, first 2 shown]
	v_mov_b32_e32 v25, s7
	s_waitcnt lgkmcnt(3)
	v_cmp_gt_i64_e32 vcc, v[2:3], v[8:9]
	v_mov_b32_e32 v27, s7
	v_mov_b32_e32 v29, s7
	v_cndmask_b32_e64 v24, 0, 1, vcc
	v_cmp_gt_i64_e32 vcc, v[2:3], v[10:11]
	v_lshl_add_u64 v[4:5], v[4:5], 0, v[24:25]
	v_mov_b32_e32 v31, s7
	v_cndmask_b32_e64 v26, 0, 1, vcc
	s_waitcnt lgkmcnt(2)
	v_cmp_gt_i64_e32 vcc, v[2:3], v[12:13]
	v_lshl_add_u64 v[4:5], v[4:5], 0, v[26:27]
	v_mov_b32_e32 v33, s7
	v_cndmask_b32_e64 v28, 0, 1, vcc
	v_cmp_gt_i64_e32 vcc, v[2:3], v[14:15]
	v_lshl_add_u64 v[4:5], v[4:5], 0, v[28:29]
	v_mov_b32_e32 v35, s7
	v_cndmask_b32_e64 v30, 0, 1, vcc
	s_waitcnt lgkmcnt(1)
	v_cmp_gt_i64_e32 vcc, v[2:3], v[16:17]
	v_lshl_add_u64 v[4:5], v[4:5], 0, v[30:31]
	v_mov_b32_e32 v37, s7
	v_cndmask_b32_e64 v32, 0, 1, vcc
	v_cmp_gt_i64_e32 vcc, v[2:3], v[18:19]
	v_lshl_add_u64 v[4:5], v[4:5], 0, v[32:33]
	s_add_u32 s16, s16, 8
	v_cndmask_b32_e64 v34, 0, 1, vcc
	s_waitcnt lgkmcnt(0)
	v_cmp_gt_i64_e32 vcc, v[2:3], v[20:21]
	v_lshl_add_u64 v[4:5], v[4:5], 0, v[34:35]
	v_mov_b32_e32 v39, s7
	v_cndmask_b32_e64 v36, 0, 1, vcc
	v_cmp_gt_i64_e32 vcc, v[2:3], v[22:23]
	s_addc_u32 s17, s17, 0
	s_add_i32 s18, s18, 64
	v_cndmask_b32_e64 v38, 0, 1, vcc
	v_lshl_add_u64 v[4:5], v[4:5], 0, v[36:37]
	s_cmp_eq_u64 s[10:11], s[16:17]
	v_lshl_add_u64 v[4:5], v[4:5], 0, v[38:39]
	s_cbranch_scc0 .LBB92_116
; %bb.117:                              ;   in Loop: Header=BB92_114 Depth=1
	s_mov_b64 s[16:17], s[10:11]
.LBB92_118:                             ;   in Loop: Header=BB92_114 Depth=1
	s_and_b64 vcc, exec, s[2:3]
	s_cbranch_vccnz .LBB92_113
; %bb.119:                              ;   in Loop: Header=BB92_114 Depth=1
	s_lshl_b32 s16, s16, 3
	s_add_i32 s18, s16, 0
	s_mov_b64 s[16:17], s[6:7]
.LBB92_120:                             ;   Parent Loop BB92_114 Depth=1
                                        ; =>  This Inner Loop Header: Depth=2
	v_mov_b32_e32 v7, s18
	ds_read_b64 v[10:11], v7
	s_add_i32 s18, s18, 8
	s_add_u32 s16, s16, -1
	v_mov_b32_e32 v9, s7
	s_addc_u32 s17, s17, -1
	s_waitcnt lgkmcnt(0)
	v_cmp_gt_i64_e32 vcc, v[2:3], v[10:11]
	s_cmp_lg_u64 s[16:17], 0
	s_nop 0
	v_cndmask_b32_e64 v8, 0, 1, vcc
	v_lshl_add_u64 v[4:5], v[4:5], 0, v[8:9]
	s_cbranch_scc1 .LBB92_120
	s_branch .LBB92_113
.LBB92_121:
	s_endpgm
	.section	.rodata,"a",@progbits
	.p2align	6, 0x0
	.amdhsa_kernel _ZN9rocsparseL41csrgemm_numeric_fill_block_per_row_kernelILj1024ELj64ELj8192ELj137ELj32EllfEEvT5_PKS1_S3_NS_24const_host_device_scalarIT6_EEPKT4_S3_PKS5_S9_S3_SB_S6_S9_S3_SB_S9_S3_PS5_21rocsparse_index_base_SD_SD_SD_bbb
		.amdhsa_group_segment_fixed_size 0
		.amdhsa_private_segment_fixed_size 0
		.amdhsa_kernarg_size 156
		.amdhsa_user_sgpr_count 2
		.amdhsa_user_sgpr_dispatch_ptr 0
		.amdhsa_user_sgpr_queue_ptr 0
		.amdhsa_user_sgpr_kernarg_segment_ptr 1
		.amdhsa_user_sgpr_dispatch_id 0
		.amdhsa_user_sgpr_kernarg_preload_length 0
		.amdhsa_user_sgpr_kernarg_preload_offset 0
		.amdhsa_user_sgpr_private_segment_size 0
		.amdhsa_uses_dynamic_stack 0
		.amdhsa_enable_private_segment 0
		.amdhsa_system_sgpr_workgroup_id_x 1
		.amdhsa_system_sgpr_workgroup_id_y 0
		.amdhsa_system_sgpr_workgroup_id_z 0
		.amdhsa_system_sgpr_workgroup_info 0
		.amdhsa_system_vgpr_workitem_id 0
		.amdhsa_next_free_vgpr 41
		.amdhsa_next_free_sgpr 100
		.amdhsa_accum_offset 44
		.amdhsa_reserve_vcc 1
		.amdhsa_float_round_mode_32 0
		.amdhsa_float_round_mode_16_64 0
		.amdhsa_float_denorm_mode_32 3
		.amdhsa_float_denorm_mode_16_64 3
		.amdhsa_dx10_clamp 1
		.amdhsa_ieee_mode 1
		.amdhsa_fp16_overflow 0
		.amdhsa_tg_split 0
		.amdhsa_exception_fp_ieee_invalid_op 0
		.amdhsa_exception_fp_denorm_src 0
		.amdhsa_exception_fp_ieee_div_zero 0
		.amdhsa_exception_fp_ieee_overflow 0
		.amdhsa_exception_fp_ieee_underflow 0
		.amdhsa_exception_fp_ieee_inexact 0
		.amdhsa_exception_int_div_zero 0
	.end_amdhsa_kernel
	.section	.text._ZN9rocsparseL41csrgemm_numeric_fill_block_per_row_kernelILj1024ELj64ELj8192ELj137ELj32EllfEEvT5_PKS1_S3_NS_24const_host_device_scalarIT6_EEPKT4_S3_PKS5_S9_S3_SB_S6_S9_S3_SB_S9_S3_PS5_21rocsparse_index_base_SD_SD_SD_bbb,"axG",@progbits,_ZN9rocsparseL41csrgemm_numeric_fill_block_per_row_kernelILj1024ELj64ELj8192ELj137ELj32EllfEEvT5_PKS1_S3_NS_24const_host_device_scalarIT6_EEPKT4_S3_PKS5_S9_S3_SB_S6_S9_S3_SB_S9_S3_PS5_21rocsparse_index_base_SD_SD_SD_bbb,comdat
.Lfunc_end92:
	.size	_ZN9rocsparseL41csrgemm_numeric_fill_block_per_row_kernelILj1024ELj64ELj8192ELj137ELj32EllfEEvT5_PKS1_S3_NS_24const_host_device_scalarIT6_EEPKT4_S3_PKS5_S9_S3_SB_S6_S9_S3_SB_S9_S3_PS5_21rocsparse_index_base_SD_SD_SD_bbb, .Lfunc_end92-_ZN9rocsparseL41csrgemm_numeric_fill_block_per_row_kernelILj1024ELj64ELj8192ELj137ELj32EllfEEvT5_PKS1_S3_NS_24const_host_device_scalarIT6_EEPKT4_S3_PKS5_S9_S3_SB_S6_S9_S3_SB_S9_S3_PS5_21rocsparse_index_base_SD_SD_SD_bbb
                                        ; -- End function
	.set _ZN9rocsparseL41csrgemm_numeric_fill_block_per_row_kernelILj1024ELj64ELj8192ELj137ELj32EllfEEvT5_PKS1_S3_NS_24const_host_device_scalarIT6_EEPKT4_S3_PKS5_S9_S3_SB_S6_S9_S3_SB_S9_S3_PS5_21rocsparse_index_base_SD_SD_SD_bbb.num_vgpr, 41
	.set _ZN9rocsparseL41csrgemm_numeric_fill_block_per_row_kernelILj1024ELj64ELj8192ELj137ELj32EllfEEvT5_PKS1_S3_NS_24const_host_device_scalarIT6_EEPKT4_S3_PKS5_S9_S3_SB_S6_S9_S3_SB_S9_S3_PS5_21rocsparse_index_base_SD_SD_SD_bbb.num_agpr, 0
	.set _ZN9rocsparseL41csrgemm_numeric_fill_block_per_row_kernelILj1024ELj64ELj8192ELj137ELj32EllfEEvT5_PKS1_S3_NS_24const_host_device_scalarIT6_EEPKT4_S3_PKS5_S9_S3_SB_S6_S9_S3_SB_S9_S3_PS5_21rocsparse_index_base_SD_SD_SD_bbb.numbered_sgpr, 100
	.set _ZN9rocsparseL41csrgemm_numeric_fill_block_per_row_kernelILj1024ELj64ELj8192ELj137ELj32EllfEEvT5_PKS1_S3_NS_24const_host_device_scalarIT6_EEPKT4_S3_PKS5_S9_S3_SB_S6_S9_S3_SB_S9_S3_PS5_21rocsparse_index_base_SD_SD_SD_bbb.num_named_barrier, 0
	.set _ZN9rocsparseL41csrgemm_numeric_fill_block_per_row_kernelILj1024ELj64ELj8192ELj137ELj32EllfEEvT5_PKS1_S3_NS_24const_host_device_scalarIT6_EEPKT4_S3_PKS5_S9_S3_SB_S6_S9_S3_SB_S9_S3_PS5_21rocsparse_index_base_SD_SD_SD_bbb.private_seg_size, 0
	.set _ZN9rocsparseL41csrgemm_numeric_fill_block_per_row_kernelILj1024ELj64ELj8192ELj137ELj32EllfEEvT5_PKS1_S3_NS_24const_host_device_scalarIT6_EEPKT4_S3_PKS5_S9_S3_SB_S6_S9_S3_SB_S9_S3_PS5_21rocsparse_index_base_SD_SD_SD_bbb.uses_vcc, 1
	.set _ZN9rocsparseL41csrgemm_numeric_fill_block_per_row_kernelILj1024ELj64ELj8192ELj137ELj32EllfEEvT5_PKS1_S3_NS_24const_host_device_scalarIT6_EEPKT4_S3_PKS5_S9_S3_SB_S6_S9_S3_SB_S9_S3_PS5_21rocsparse_index_base_SD_SD_SD_bbb.uses_flat_scratch, 0
	.set _ZN9rocsparseL41csrgemm_numeric_fill_block_per_row_kernelILj1024ELj64ELj8192ELj137ELj32EllfEEvT5_PKS1_S3_NS_24const_host_device_scalarIT6_EEPKT4_S3_PKS5_S9_S3_SB_S6_S9_S3_SB_S9_S3_PS5_21rocsparse_index_base_SD_SD_SD_bbb.has_dyn_sized_stack, 0
	.set _ZN9rocsparseL41csrgemm_numeric_fill_block_per_row_kernelILj1024ELj64ELj8192ELj137ELj32EllfEEvT5_PKS1_S3_NS_24const_host_device_scalarIT6_EEPKT4_S3_PKS5_S9_S3_SB_S6_S9_S3_SB_S9_S3_PS5_21rocsparse_index_base_SD_SD_SD_bbb.has_recursion, 0
	.set _ZN9rocsparseL41csrgemm_numeric_fill_block_per_row_kernelILj1024ELj64ELj8192ELj137ELj32EllfEEvT5_PKS1_S3_NS_24const_host_device_scalarIT6_EEPKT4_S3_PKS5_S9_S3_SB_S6_S9_S3_SB_S9_S3_PS5_21rocsparse_index_base_SD_SD_SD_bbb.has_indirect_call, 0
	.section	.AMDGPU.csdata,"",@progbits
; Kernel info:
; codeLenInByte = 4708
; TotalNumSgprs: 106
; NumVgprs: 41
; NumAgprs: 0
; TotalNumVgprs: 41
; ScratchSize: 0
; MemoryBound: 0
; FloatMode: 240
; IeeeMode: 1
; LDSByteSize: 0 bytes/workgroup (compile time only)
; SGPRBlocks: 13
; VGPRBlocks: 5
; NumSGPRsForWavesPerEU: 106
; NumVGPRsForWavesPerEU: 41
; AccumOffset: 44
; Occupancy: 7
; WaveLimiterHint : 1
; COMPUTE_PGM_RSRC2:SCRATCH_EN: 0
; COMPUTE_PGM_RSRC2:USER_SGPR: 2
; COMPUTE_PGM_RSRC2:TRAP_HANDLER: 0
; COMPUTE_PGM_RSRC2:TGID_X_EN: 1
; COMPUTE_PGM_RSRC2:TGID_Y_EN: 0
; COMPUTE_PGM_RSRC2:TGID_Z_EN: 0
; COMPUTE_PGM_RSRC2:TIDIG_COMP_CNT: 0
; COMPUTE_PGM_RSRC3_GFX90A:ACCUM_OFFSET: 10
; COMPUTE_PGM_RSRC3_GFX90A:TG_SPLIT: 0
	.section	.text._ZN9rocsparseL41csrgemm_numeric_fill_block_per_row_kernelILj1024ELj64ELj8192ELj137ELj64EllfEEvT5_PKS1_S3_NS_24const_host_device_scalarIT6_EEPKT4_S3_PKS5_S9_S3_SB_S6_S9_S3_SB_S9_S3_PS5_21rocsparse_index_base_SD_SD_SD_bbb,"axG",@progbits,_ZN9rocsparseL41csrgemm_numeric_fill_block_per_row_kernelILj1024ELj64ELj8192ELj137ELj64EllfEEvT5_PKS1_S3_NS_24const_host_device_scalarIT6_EEPKT4_S3_PKS5_S9_S3_SB_S6_S9_S3_SB_S9_S3_PS5_21rocsparse_index_base_SD_SD_SD_bbb,comdat
	.globl	_ZN9rocsparseL41csrgemm_numeric_fill_block_per_row_kernelILj1024ELj64ELj8192ELj137ELj64EllfEEvT5_PKS1_S3_NS_24const_host_device_scalarIT6_EEPKT4_S3_PKS5_S9_S3_SB_S6_S9_S3_SB_S9_S3_PS5_21rocsparse_index_base_SD_SD_SD_bbb ; -- Begin function _ZN9rocsparseL41csrgemm_numeric_fill_block_per_row_kernelILj1024ELj64ELj8192ELj137ELj64EllfEEvT5_PKS1_S3_NS_24const_host_device_scalarIT6_EEPKT4_S3_PKS5_S9_S3_SB_S6_S9_S3_SB_S9_S3_PS5_21rocsparse_index_base_SD_SD_SD_bbb
	.p2align	8
	.type	_ZN9rocsparseL41csrgemm_numeric_fill_block_per_row_kernelILj1024ELj64ELj8192ELj137ELj64EllfEEvT5_PKS1_S3_NS_24const_host_device_scalarIT6_EEPKT4_S3_PKS5_S9_S3_SB_S6_S9_S3_SB_S9_S3_PS5_21rocsparse_index_base_SD_SD_SD_bbb,@function
_ZN9rocsparseL41csrgemm_numeric_fill_block_per_row_kernelILj1024ELj64ELj8192ELj137ELj64EllfEEvT5_PKS1_S3_NS_24const_host_device_scalarIT6_EEPKT4_S3_PKS5_S9_S3_SB_S6_S9_S3_SB_S9_S3_PS5_21rocsparse_index_base_SD_SD_SD_bbb: ; @_ZN9rocsparseL41csrgemm_numeric_fill_block_per_row_kernelILj1024ELj64ELj8192ELj137ELj64EllfEEvT5_PKS1_S3_NS_24const_host_device_scalarIT6_EEPKT4_S3_PKS5_S9_S3_SB_S6_S9_S3_SB_S9_S3_PS5_21rocsparse_index_base_SD_SD_SD_bbb
; %bb.0:
	s_load_dword s3, s[0:1], 0x98
	s_load_dwordx4 s[8:11], s[0:1], 0x8
	s_load_dwordx2 s[4:5], s[0:1], 0x18
	s_load_dwordx4 s[36:39], s[0:1], 0x88
	s_load_dwordx2 s[12:13], s[0:1], 0x50
	s_waitcnt lgkmcnt(0)
	s_bitcmp1_b32 s3, 0
	s_cselect_b64 s[6:7], -1, 0
	s_bitcmp1_b32 s3, 16
	s_cselect_b64 s[14:15], -1, 0
	s_xor_b64 s[16:17], s[6:7], -1
	s_or_b64 s[16:17], s[14:15], s[16:17]
	s_and_b64 vcc, exec, s[16:17]
	s_cbranch_vccnz .LBB93_2
; %bb.1:
	s_load_dword s4, s[4:5], 0x0
	s_waitcnt lgkmcnt(0)
	v_mov_b32_e32 v21, s4
	s_branch .LBB93_3
.LBB93_2:
	v_mov_b32_e32 v1, s4
	v_cndmask_b32_e64 v21, 0, v1, s[6:7]
.LBB93_3:
	s_bitcmp1_b32 s3, 8
	s_cselect_b64 s[4:5], -1, 0
	s_xor_b64 s[16:17], s[4:5], -1
	s_or_b64 s[14:15], s[14:15], s[16:17]
	s_and_b64 vcc, exec, s[14:15]
	s_cbranch_vccnz .LBB93_5
; %bb.4:
	s_load_dword s3, s[12:13], 0x0
	s_waitcnt lgkmcnt(0)
	v_mov_b32_e32 v19, s3
	s_branch .LBB93_6
.LBB93_5:
	v_mov_b32_e32 v1, s12
	v_cndmask_b32_e64 v19, 0, v1, s[4:5]
.LBB93_6:
	s_load_dwordx2 s[34:35], s[0:1], 0x0
	v_lshl_add_u32 v1, v0, 3, 0
	v_lshl_add_u32 v18, v0, 2, 0
	v_mov_b32_e32 v6, 0
	v_add_u32_e32 v7, 0x10000, v18
	s_waitcnt lgkmcnt(0)
	v_mov_b64_e32 v[2:3], s[34:35]
	v_mov_b64_e32 v[4:5], s[34:35]
	ds_write2st64_b64 v1, v[2:3], v[4:5] offset1:16
	ds_write2st64_b32 v7, v6, v6 offset1:16
	ds_write2st64_b64 v1, v[2:3], v[4:5] offset0:32 offset1:48
	ds_write2st64_b32 v7, v6, v6 offset0:32 offset1:48
	ds_write2st64_b64 v1, v[2:3], v[4:5] offset0:64 offset1:80
	ds_write2st64_b32 v7, v6, v6 offset0:64 offset1:80
	;; [unrolled: 2-line block ×3, first 2 shown]
	s_waitcnt lgkmcnt(0)
	s_barrier
	s_load_dwordx2 s[8:9], s[8:9], 0x0
	s_mov_b32 s3, 0
	v_lshrrev_b32_e32 v20, 6, v0
	s_waitcnt lgkmcnt(0)
	s_lshl_b64 s[8:9], s[8:9], 3
	s_add_u32 s8, s10, s8
	s_addc_u32 s9, s11, s9
	s_lshl_b64 s[2:3], s[2:3], 3
	s_add_u32 s2, s8, s2
	s_addc_u32 s3, s9, s3
	s_load_dwordx2 s[40:41], s[2:3], 0x0
	s_andn2_b64 vcc, exec, s[6:7]
	s_cbranch_vccnz .LBB93_26
; %bb.7:
	s_load_dwordx2 s[2:3], s[0:1], 0x20
	s_waitcnt lgkmcnt(0)
	s_lshl_b64 s[6:7], s[40:41], 3
	v_subrev_co_u32_e32 v2, vcc, s36, v20
	s_add_u32 s2, s2, s6
	s_addc_u32 s3, s3, s7
	s_load_dwordx4 s[8:11], s[2:3], 0x0
	v_subb_co_u32_e64 v3, s[2:3], 0, 0, vcc
	s_waitcnt lgkmcnt(0)
	s_sub_u32 s2, s10, s36
	s_subb_u32 s3, s11, 0
	v_lshl_add_u64 v[2:3], s[8:9], 0, v[2:3]
	v_cmp_gt_i64_e32 vcc, s[2:3], v[2:3]
	s_and_saveexec_b64 s[6:7], vcc
	s_cbranch_execz .LBB93_25
; %bb.8:
	s_load_dwordx2 s[16:17], s[0:1], 0x48
	s_load_dwordx8 s[8:15], s[0:1], 0x28
	v_and_b32_e32 v4, 63, v0
	v_subrev_co_u32_e32 v4, vcc, s37, v4
	s_mov_b32 s33, s37
	s_nop 0
	v_subb_co_u32_e64 v5, s[18:19], 0, 0, vcc
	s_mov_b64 s[18:19], 0
	s_movk_i32 s37, 0x89
	s_branch .LBB93_10
.LBB93_9:                               ;   in Loop: Header=BB93_10 Depth=1
	s_or_b64 exec, exec, s[20:21]
	v_lshl_add_u64 v[2:3], v[2:3], 0, 16
	v_cmp_le_i64_e32 vcc, s[2:3], v[2:3]
	s_or_b64 s[18:19], vcc, s[18:19]
	s_andn2_b64 exec, exec, s[18:19]
	s_cbranch_execz .LBB93_25
.LBB93_10:                              ; =>This Loop Header: Depth=1
                                        ;     Child Loop BB93_14 Depth 2
                                        ;       Child Loop BB93_17 Depth 3
	s_waitcnt lgkmcnt(0)
	v_lshl_add_u64 v[6:7], v[2:3], 3, s[8:9]
	global_load_dwordx2 v[6:7], v[6:7], off
	s_waitcnt vmcnt(0)
	v_subrev_co_u32_e32 v6, vcc, s36, v6
	s_nop 1
	v_subbrev_co_u32_e32 v7, vcc, 0, v7, vcc
	v_lshl_add_u64 v[6:7], v[6:7], 3, s[12:13]
	global_load_dwordx4 v[8:11], v[6:7], off
	s_waitcnt vmcnt(0)
	v_subrev_co_u32_e32 v6, vcc, s33, v10
	s_nop 1
	v_subbrev_co_u32_e32 v7, vcc, 0, v11, vcc
	v_lshl_add_u64 v[8:9], v[8:9], 0, v[4:5]
	v_cmp_lt_i64_e32 vcc, v[8:9], v[6:7]
	s_and_saveexec_b64 s[20:21], vcc
	s_cbranch_execz .LBB93_9
; %bb.11:                               ;   in Loop: Header=BB93_10 Depth=1
	v_lshl_add_u64 v[10:11], v[2:3], 2, s[10:11]
	global_load_dword v10, v[10:11], off
	s_mov_b64 s[22:23], 0
	s_waitcnt vmcnt(0)
	v_mul_f32_e32 v22, v21, v10
	s_branch .LBB93_14
.LBB93_12:                              ;   in Loop: Header=BB93_14 Depth=2
	s_or_b64 exec, exec, s[26:27]
.LBB93_13:                              ;   in Loop: Header=BB93_14 Depth=2
	s_or_b64 exec, exec, s[24:25]
	v_lshl_add_u32 v11, v12, 2, 0
	s_waitcnt vmcnt(0)
	v_mul_f32_e32 v10, v22, v23
	v_add_u32_e32 v11, 0x10000, v11
	ds_add_f32 v11, v10
	v_lshl_add_u64 v[8:9], v[8:9], 0, 64
	v_cmp_ge_i64_e32 vcc, v[8:9], v[6:7]
	s_or_b64 s[22:23], vcc, s[22:23]
	s_andn2_b64 exec, exec, s[22:23]
	s_cbranch_execz .LBB93_9
.LBB93_14:                              ;   Parent Loop BB93_10 Depth=1
                                        ; =>  This Loop Header: Depth=2
                                        ;       Child Loop BB93_17 Depth 3
	v_lshl_add_u64 v[10:11], v[8:9], 3, s[14:15]
	global_load_dwordx2 v[10:11], v[10:11], off
	v_lshl_add_u64 v[12:13], v[8:9], 2, s[16:17]
	global_load_dword v23, v[12:13], off
	s_waitcnt vmcnt(1)
	v_subrev_co_u32_e32 v10, vcc, s33, v10
	v_mul_lo_u32 v12, v10, s37
	v_and_b32_e32 v12, 0x1fff, v12
	v_lshl_add_u32 v24, v12, 3, 0
	ds_read_b64 v[16:17], v24
	v_subbrev_co_u32_e32 v11, vcc, 0, v11, vcc
	s_waitcnt lgkmcnt(0)
	v_cmp_ne_u64_e32 vcc, v[16:17], v[10:11]
	s_and_saveexec_b64 s[24:25], vcc
	s_cbranch_execz .LBB93_13
; %bb.15:                               ;   in Loop: Header=BB93_14 Depth=2
	s_mov_b64 s[26:27], 0
                                        ; implicit-def: $sgpr28_sgpr29
                                        ; implicit-def: $sgpr30_sgpr31
	s_branch .LBB93_17
.LBB93_16:                              ;   in Loop: Header=BB93_17 Depth=3
	s_or_b64 exec, exec, s[46:47]
	s_and_b64 s[42:43], exec, s[44:45]
	s_or_b64 s[26:27], s[42:43], s[26:27]
	s_andn2_b64 s[28:29], s[28:29], exec
	s_and_b64 s[42:43], s[30:31], exec
	s_or_b64 s[28:29], s[28:29], s[42:43]
	s_andn2_b64 exec, exec, s[26:27]
	s_cbranch_execz .LBB93_23
.LBB93_17:                              ;   Parent Loop BB93_10 Depth=1
                                        ;     Parent Loop BB93_14 Depth=2
                                        ; =>    This Inner Loop Header: Depth=3
	v_mov_b64_e32 v[14:15], v[12:13]
	v_cmp_ne_u64_e32 vcc, s[34:35], v[16:17]
	s_mov_b64 s[42:43], 0
                                        ; implicit-def: $vgpr12_vgpr13
	s_and_saveexec_b64 s[44:45], vcc
	s_xor_b64 s[44:45], exec, s[44:45]
; %bb.18:                               ;   in Loop: Header=BB93_17 Depth=3
	v_add_u32_e32 v12, 1, v14
	s_mov_b64 s[42:43], exec
	v_and_b32_e32 v12, 0x1fff, v12
                                        ; implicit-def: $vgpr24
; %bb.19:                               ;   in Loop: Header=BB93_17 Depth=3
	s_andn2_saveexec_b64 s[44:45], s[44:45]
	s_cbranch_execz .LBB93_21
; %bb.20:                               ;   in Loop: Header=BB93_17 Depth=3
	v_mov_b64_e32 v[12:13], s[34:35]
	ds_cmpst_rtn_b64 v[12:13], v24, v[12:13], v[10:11]
	s_andn2_b64 s[42:43], s[42:43], exec
	s_waitcnt lgkmcnt(0)
	v_cmp_ne_u64_e32 vcc, s[34:35], v[12:13]
	s_and_b64 s[46:47], vcc, exec
	s_or_b64 s[42:43], s[42:43], s[46:47]
	v_mov_b64_e32 v[12:13], v[14:15]
.LBB93_21:                              ;   in Loop: Header=BB93_17 Depth=3
	s_or_b64 exec, exec, s[44:45]
	s_mov_b64 s[44:45], -1
	s_or_b64 s[30:31], s[30:31], exec
                                        ; implicit-def: $vgpr24
                                        ; implicit-def: $vgpr16_vgpr17
	s_and_saveexec_b64 s[46:47], s[42:43]
	s_cbranch_execz .LBB93_16
; %bb.22:                               ;   in Loop: Header=BB93_17 Depth=3
	v_lshl_add_u32 v24, v12, 3, 0
	ds_read_b64 v[16:17], v24
	s_andn2_b64 s[30:31], s[30:31], exec
	s_waitcnt lgkmcnt(0)
	v_cmp_eq_u64_e32 vcc, v[16:17], v[10:11]
	s_orn2_b64 s[44:45], vcc, exec
	s_branch .LBB93_16
.LBB93_23:                              ;   in Loop: Header=BB93_14 Depth=2
	s_or_b64 exec, exec, s[26:27]
	s_and_saveexec_b64 s[26:27], s[28:29]
	s_xor_b64 s[26:27], exec, s[26:27]
	s_cbranch_execz .LBB93_12
; %bb.24:                               ;   in Loop: Header=BB93_14 Depth=2
	v_mov_b32_e32 v12, v14
	s_branch .LBB93_12
.LBB93_25:
	s_or_b64 exec, exec, s[6:7]
.LBB93_26:
	s_load_dwordx2 s[36:37], s[0:1], 0x80
	s_load_dwordx2 s[42:43], s[0:1], 0x70
	s_andn2_b64 vcc, exec, s[4:5]
	s_cbranch_vccnz .LBB93_43
; %bb.27:
	s_load_dwordx2 s[2:3], s[0:1], 0x58
	s_waitcnt lgkmcnt(0)
	s_lshl_b64 s[4:5], s[40:41], 3
	v_subrev_co_u32_e32 v2, vcc, s39, v0
	s_add_u32 s2, s2, s4
	s_addc_u32 s3, s3, s5
	s_load_dwordx4 s[4:7], s[2:3], 0x0
	v_subb_co_u32_e64 v3, s[2:3], 0, 0, vcc
	s_waitcnt lgkmcnt(0)
	s_sub_u32 s2, s6, s39
	s_subb_u32 s3, s7, 0
	v_lshl_add_u64 v[2:3], s[4:5], 0, v[2:3]
	v_cmp_gt_i64_e32 vcc, s[2:3], v[2:3]
	s_and_saveexec_b64 s[8:9], vcc
	s_cbranch_execz .LBB93_42
; %bb.28:
	s_load_dwordx4 s[4:7], s[0:1], 0x60
	s_mov_b32 s26, s39
	s_mov_b64 s[0:1], 0
	s_movk_i32 s27, 0x89
	s_mov_b64 s[10:11], 0x400
	s_branch .LBB93_31
.LBB93_29:                              ;   in Loop: Header=BB93_31 Depth=1
	s_or_b64 exec, exec, s[14:15]
.LBB93_30:                              ;   in Loop: Header=BB93_31 Depth=1
	s_or_b64 exec, exec, s[12:13]
	v_lshl_add_u32 v5, v6, 2, 0
	s_waitcnt vmcnt(0)
	v_mul_f32_e32 v4, v19, v12
	v_add_u32_e32 v5, 0x10000, v5
	ds_add_f32 v5, v4
	v_lshl_add_u64 v[2:3], v[2:3], 0, s[10:11]
	v_cmp_le_i64_e32 vcc, s[2:3], v[2:3]
	s_or_b64 s[0:1], vcc, s[0:1]
	s_andn2_b64 exec, exec, s[0:1]
	s_cbranch_execz .LBB93_42
.LBB93_31:                              ; =>This Loop Header: Depth=1
                                        ;     Child Loop BB93_34 Depth 2
	s_waitcnt lgkmcnt(0)
	v_lshl_add_u64 v[4:5], v[2:3], 3, s[4:5]
	global_load_dwordx2 v[4:5], v[4:5], off
	v_lshl_add_u64 v[6:7], v[2:3], 2, s[6:7]
	global_load_dword v12, v[6:7], off
	s_waitcnt vmcnt(1)
	v_subrev_co_u32_e32 v4, vcc, s26, v4
	v_mul_lo_u32 v6, v4, s27
	v_and_b32_e32 v6, 0x1fff, v6
	v_lshl_add_u32 v13, v6, 3, 0
	ds_read_b64 v[10:11], v13
	v_subbrev_co_u32_e32 v5, vcc, 0, v5, vcc
	s_waitcnt lgkmcnt(0)
	v_cmp_ne_u64_e32 vcc, v[10:11], v[4:5]
	s_and_saveexec_b64 s[12:13], vcc
	s_cbranch_execz .LBB93_30
; %bb.32:                               ;   in Loop: Header=BB93_31 Depth=1
	s_mov_b64 s[14:15], 0
                                        ; implicit-def: $sgpr16_sgpr17
                                        ; implicit-def: $sgpr18_sgpr19
	s_branch .LBB93_34
.LBB93_33:                              ;   in Loop: Header=BB93_34 Depth=2
	s_or_b64 exec, exec, s[24:25]
	s_and_b64 s[20:21], exec, s[22:23]
	s_or_b64 s[14:15], s[20:21], s[14:15]
	s_andn2_b64 s[16:17], s[16:17], exec
	s_and_b64 s[20:21], s[18:19], exec
	s_or_b64 s[16:17], s[16:17], s[20:21]
	s_andn2_b64 exec, exec, s[14:15]
	s_cbranch_execz .LBB93_40
.LBB93_34:                              ;   Parent Loop BB93_31 Depth=1
                                        ; =>  This Inner Loop Header: Depth=2
	v_mov_b64_e32 v[8:9], v[6:7]
	v_cmp_ne_u64_e32 vcc, s[34:35], v[10:11]
	s_mov_b64 s[20:21], 0
                                        ; implicit-def: $vgpr6_vgpr7
	s_and_saveexec_b64 s[22:23], vcc
	s_xor_b64 s[22:23], exec, s[22:23]
; %bb.35:                               ;   in Loop: Header=BB93_34 Depth=2
	v_add_u32_e32 v6, 1, v8
	s_mov_b64 s[20:21], exec
	v_and_b32_e32 v6, 0x1fff, v6
                                        ; implicit-def: $vgpr13
; %bb.36:                               ;   in Loop: Header=BB93_34 Depth=2
	s_andn2_saveexec_b64 s[22:23], s[22:23]
	s_cbranch_execz .LBB93_38
; %bb.37:                               ;   in Loop: Header=BB93_34 Depth=2
	v_mov_b64_e32 v[6:7], s[34:35]
	ds_cmpst_rtn_b64 v[6:7], v13, v[6:7], v[4:5]
	s_andn2_b64 s[20:21], s[20:21], exec
	s_waitcnt lgkmcnt(0)
	v_cmp_ne_u64_e32 vcc, s[34:35], v[6:7]
	s_and_b64 s[24:25], vcc, exec
	s_or_b64 s[20:21], s[20:21], s[24:25]
	v_mov_b64_e32 v[6:7], v[8:9]
.LBB93_38:                              ;   in Loop: Header=BB93_34 Depth=2
	s_or_b64 exec, exec, s[22:23]
	s_mov_b64 s[22:23], -1
	s_or_b64 s[18:19], s[18:19], exec
                                        ; implicit-def: $vgpr13
                                        ; implicit-def: $vgpr10_vgpr11
	s_and_saveexec_b64 s[24:25], s[20:21]
	s_cbranch_execz .LBB93_33
; %bb.39:                               ;   in Loop: Header=BB93_34 Depth=2
	v_lshl_add_u32 v13, v6, 3, 0
	ds_read_b64 v[10:11], v13
	s_andn2_b64 s[18:19], s[18:19], exec
	s_waitcnt lgkmcnt(0)
	v_cmp_eq_u64_e32 vcc, v[10:11], v[4:5]
	s_orn2_b64 s[22:23], vcc, exec
	s_branch .LBB93_33
.LBB93_40:                              ;   in Loop: Header=BB93_31 Depth=1
	s_or_b64 exec, exec, s[14:15]
	s_and_saveexec_b64 s[14:15], s[16:17]
	s_xor_b64 s[14:15], exec, s[14:15]
	s_cbranch_execz .LBB93_29
; %bb.41:                               ;   in Loop: Header=BB93_31 Depth=1
	v_mov_b32_e32 v6, v8
	s_branch .LBB93_29
.LBB93_42:
	s_or_b64 exec, exec, s[8:9]
.LBB93_43:
	v_mbcnt_lo_u32_b32 v2, -1, 0
	v_mbcnt_hi_u32_b32 v2, -1, v2
	v_sub_u32_e32 v2, 63, v2
	s_add_i32 s33, 0, 0x18000
	s_movk_i32 s0, 0x3ff
	s_movk_i32 s2, 0x7f
	;; [unrolled: 1-line block ×15, first 2 shown]
	s_add_i32 s61, 0, 0x18078
	v_mov_b32_e32 v3, 0
	v_lshrrev_b64 v[4:5], v2, -1
	v_lshl_add_u32 v12, v20, 3, s33
	v_cmp_eq_u32_e32 vcc, s0, v0
	v_cmp_lt_u32_e64 s[0:1], 63, v0
	v_cmp_lt_u32_e64 s[2:3], s2, v0
	;; [unrolled: 1-line block ×15, first 2 shown]
	v_or_b32_e32 v13, 0xfffffc00, v0
	v_add_u32_e32 v14, 0x10000, v18
	s_mov_b64 s[44:45], 0
	v_mov_b64_e32 v[6:7], 0
	s_add_i32 s39, 0, 0x18008
	s_add_i32 s48, 0, 0x18010
	;; [unrolled: 1-line block ×14, first 2 shown]
	v_mov_b32_e32 v15, s61
	s_movk_i32 s62, 0x1bff
	s_waitcnt lgkmcnt(0)
	s_barrier
	s_branch .LBB93_45
.LBB93_44:                              ;   in Loop: Header=BB93_45 Depth=1
	s_or_b64 exec, exec, s[30:31]
	s_waitcnt lgkmcnt(0)
	s_barrier
	ds_read_b64 v[8:9], v15
	v_add_u32_e32 v13, 0x400, v13
	v_cmp_lt_u32_e64 s[30:31], s62, v13
	v_add_u32_e32 v14, 0x1000, v14
	s_or_b64 s[44:45], s[30:31], s[44:45]
	s_waitcnt lgkmcnt(0)
	v_lshl_add_u64 v[6:7], v[8:9], 0, v[6:7]
	v_add_u32_e32 v1, 0x2000, v1
	s_andn2_b64 exec, exec, s[44:45]
	s_cbranch_execz .LBB93_79
.LBB93_45:                              ; =>This Inner Loop Header: Depth=1
	ds_read_b64 v[8:9], v1
	ds_read_b32 v16, v14
	s_waitcnt lgkmcnt(0)
	s_barrier
	v_cmp_gt_i64_e64 s[30:31], s[34:35], v[8:9]
	s_bcnt1_i32_b64 s46, s[30:31]
	v_mov_b32_e32 v2, s46
	v_and_b32_e32 v11, s30, v4
	v_and_b32_e32 v10, s31, v5
	v_bcnt_u32_b32 v11, v11, 0
	v_bcnt_u32_b32 v10, v10, v11
	ds_write_b64 v12, v[2:3]
	s_waitcnt lgkmcnt(0)
	s_barrier
	s_and_saveexec_b64 s[46:47], s[0:1]
	s_cbranch_execnz .LBB93_62
; %bb.46:                               ;   in Loop: Header=BB93_45 Depth=1
	s_or_b64 exec, exec, s[46:47]
	s_and_saveexec_b64 s[46:47], s[2:3]
	s_cbranch_execnz .LBB93_63
.LBB93_47:                              ;   in Loop: Header=BB93_45 Depth=1
	s_or_b64 exec, exec, s[46:47]
	s_and_saveexec_b64 s[46:47], s[4:5]
	s_cbranch_execnz .LBB93_64
.LBB93_48:                              ;   in Loop: Header=BB93_45 Depth=1
	s_or_b64 exec, exec, s[46:47]
	s_and_saveexec_b64 s[46:47], s[6:7]
	s_cbranch_execnz .LBB93_65
.LBB93_49:                              ;   in Loop: Header=BB93_45 Depth=1
	s_or_b64 exec, exec, s[46:47]
	s_and_saveexec_b64 s[46:47], s[8:9]
	s_cbranch_execnz .LBB93_66
.LBB93_50:                              ;   in Loop: Header=BB93_45 Depth=1
	s_or_b64 exec, exec, s[46:47]
	s_and_saveexec_b64 s[46:47], s[10:11]
	s_cbranch_execnz .LBB93_67
.LBB93_51:                              ;   in Loop: Header=BB93_45 Depth=1
	s_or_b64 exec, exec, s[46:47]
	s_and_saveexec_b64 s[46:47], s[12:13]
	s_cbranch_execnz .LBB93_68
.LBB93_52:                              ;   in Loop: Header=BB93_45 Depth=1
	s_or_b64 exec, exec, s[46:47]
	s_and_saveexec_b64 s[46:47], s[14:15]
	s_cbranch_execnz .LBB93_69
.LBB93_53:                              ;   in Loop: Header=BB93_45 Depth=1
	s_or_b64 exec, exec, s[46:47]
	s_and_saveexec_b64 s[46:47], s[16:17]
	s_cbranch_execnz .LBB93_70
.LBB93_54:                              ;   in Loop: Header=BB93_45 Depth=1
	s_or_b64 exec, exec, s[46:47]
	s_and_saveexec_b64 s[46:47], s[18:19]
	s_cbranch_execnz .LBB93_71
.LBB93_55:                              ;   in Loop: Header=BB93_45 Depth=1
	s_or_b64 exec, exec, s[46:47]
	s_and_saveexec_b64 s[46:47], s[20:21]
	s_cbranch_execnz .LBB93_72
.LBB93_56:                              ;   in Loop: Header=BB93_45 Depth=1
	s_or_b64 exec, exec, s[46:47]
	s_and_saveexec_b64 s[46:47], s[22:23]
	s_cbranch_execnz .LBB93_73
.LBB93_57:                              ;   in Loop: Header=BB93_45 Depth=1
	s_or_b64 exec, exec, s[46:47]
	s_and_saveexec_b64 s[46:47], s[24:25]
	s_cbranch_execnz .LBB93_74
.LBB93_58:                              ;   in Loop: Header=BB93_45 Depth=1
	s_or_b64 exec, exec, s[46:47]
	s_and_saveexec_b64 s[46:47], s[26:27]
	s_cbranch_execnz .LBB93_75
.LBB93_59:                              ;   in Loop: Header=BB93_45 Depth=1
	s_or_b64 exec, exec, s[46:47]
	s_and_saveexec_b64 s[46:47], s[28:29]
	s_cbranch_execnz .LBB93_76
.LBB93_60:                              ;   in Loop: Header=BB93_45 Depth=1
	s_or_b64 exec, exec, s[46:47]
	v_ashrrev_i32_e32 v11, 31, v10
	s_and_saveexec_b64 s[46:47], s[30:31]
	s_cbranch_execnz .LBB93_77
.LBB93_61:                              ;   in Loop: Header=BB93_45 Depth=1
	s_or_b64 exec, exec, s[46:47]
	s_and_saveexec_b64 s[30:31], vcc
	s_cbranch_execz .LBB93_44
	s_branch .LBB93_78
.LBB93_62:                              ;   in Loop: Header=BB93_45 Depth=1
	v_mov_b32_e32 v2, s33
	ds_read_b32 v2, v2
	s_waitcnt lgkmcnt(0)
	v_add_u32_e32 v10, v2, v10
	s_or_b64 exec, exec, s[46:47]
	s_and_saveexec_b64 s[46:47], s[2:3]
	s_cbranch_execz .LBB93_47
.LBB93_63:                              ;   in Loop: Header=BB93_45 Depth=1
	v_mov_b32_e32 v2, s39
	ds_read_b32 v2, v2
	s_waitcnt lgkmcnt(0)
	v_add_u32_e32 v10, v10, v2
	s_or_b64 exec, exec, s[46:47]
	s_and_saveexec_b64 s[46:47], s[4:5]
	s_cbranch_execz .LBB93_48
.LBB93_64:                              ;   in Loop: Header=BB93_45 Depth=1
	v_mov_b32_e32 v2, s48
	ds_read_b32 v2, v2
	s_waitcnt lgkmcnt(0)
	v_add_u32_e32 v10, v10, v2
	s_or_b64 exec, exec, s[46:47]
	s_and_saveexec_b64 s[46:47], s[6:7]
	s_cbranch_execz .LBB93_49
.LBB93_65:                              ;   in Loop: Header=BB93_45 Depth=1
	v_mov_b32_e32 v2, s49
	ds_read_b32 v2, v2
	s_waitcnt lgkmcnt(0)
	v_add_u32_e32 v10, v10, v2
	s_or_b64 exec, exec, s[46:47]
	s_and_saveexec_b64 s[46:47], s[8:9]
	s_cbranch_execz .LBB93_50
.LBB93_66:                              ;   in Loop: Header=BB93_45 Depth=1
	v_mov_b32_e32 v2, s50
	ds_read_b32 v2, v2
	s_waitcnt lgkmcnt(0)
	v_add_u32_e32 v10, v10, v2
	s_or_b64 exec, exec, s[46:47]
	s_and_saveexec_b64 s[46:47], s[10:11]
	s_cbranch_execz .LBB93_51
.LBB93_67:                              ;   in Loop: Header=BB93_45 Depth=1
	v_mov_b32_e32 v2, s51
	ds_read_b32 v2, v2
	s_waitcnt lgkmcnt(0)
	v_add_u32_e32 v10, v10, v2
	s_or_b64 exec, exec, s[46:47]
	s_and_saveexec_b64 s[46:47], s[12:13]
	s_cbranch_execz .LBB93_52
.LBB93_68:                              ;   in Loop: Header=BB93_45 Depth=1
	v_mov_b32_e32 v2, s52
	ds_read_b32 v2, v2
	s_waitcnt lgkmcnt(0)
	v_add_u32_e32 v10, v10, v2
	s_or_b64 exec, exec, s[46:47]
	s_and_saveexec_b64 s[46:47], s[14:15]
	s_cbranch_execz .LBB93_53
.LBB93_69:                              ;   in Loop: Header=BB93_45 Depth=1
	v_mov_b32_e32 v2, s53
	ds_read_b32 v2, v2
	s_waitcnt lgkmcnt(0)
	v_add_u32_e32 v10, v10, v2
	s_or_b64 exec, exec, s[46:47]
	s_and_saveexec_b64 s[46:47], s[16:17]
	s_cbranch_execz .LBB93_54
.LBB93_70:                              ;   in Loop: Header=BB93_45 Depth=1
	v_mov_b32_e32 v2, s54
	ds_read_b32 v2, v2
	s_waitcnt lgkmcnt(0)
	v_add_u32_e32 v10, v10, v2
	s_or_b64 exec, exec, s[46:47]
	s_and_saveexec_b64 s[46:47], s[18:19]
	s_cbranch_execz .LBB93_55
.LBB93_71:                              ;   in Loop: Header=BB93_45 Depth=1
	v_mov_b32_e32 v2, s55
	ds_read_b32 v2, v2
	s_waitcnt lgkmcnt(0)
	v_add_u32_e32 v10, v10, v2
	s_or_b64 exec, exec, s[46:47]
	s_and_saveexec_b64 s[46:47], s[20:21]
	s_cbranch_execz .LBB93_56
.LBB93_72:                              ;   in Loop: Header=BB93_45 Depth=1
	v_mov_b32_e32 v2, s56
	ds_read_b32 v2, v2
	s_waitcnt lgkmcnt(0)
	v_add_u32_e32 v10, v10, v2
	s_or_b64 exec, exec, s[46:47]
	s_and_saveexec_b64 s[46:47], s[22:23]
	s_cbranch_execz .LBB93_57
.LBB93_73:                              ;   in Loop: Header=BB93_45 Depth=1
	v_mov_b32_e32 v2, s57
	ds_read_b32 v2, v2
	s_waitcnt lgkmcnt(0)
	v_add_u32_e32 v10, v10, v2
	s_or_b64 exec, exec, s[46:47]
	s_and_saveexec_b64 s[46:47], s[24:25]
	s_cbranch_execz .LBB93_58
.LBB93_74:                              ;   in Loop: Header=BB93_45 Depth=1
	v_mov_b32_e32 v2, s58
	ds_read_b32 v2, v2
	s_waitcnt lgkmcnt(0)
	v_add_u32_e32 v10, v10, v2
	s_or_b64 exec, exec, s[46:47]
	s_and_saveexec_b64 s[46:47], s[26:27]
	s_cbranch_execz .LBB93_59
.LBB93_75:                              ;   in Loop: Header=BB93_45 Depth=1
	v_mov_b32_e32 v2, s59
	ds_read_b32 v2, v2
	s_waitcnt lgkmcnt(0)
	v_add_u32_e32 v10, v10, v2
	s_or_b64 exec, exec, s[46:47]
	s_and_saveexec_b64 s[46:47], s[28:29]
	s_cbranch_execz .LBB93_60
.LBB93_76:                              ;   in Loop: Header=BB93_45 Depth=1
	v_mov_b32_e32 v2, s60
	ds_read_b32 v2, v2
	s_waitcnt lgkmcnt(0)
	v_add_u32_e32 v10, v10, v2
	s_or_b64 exec, exec, s[46:47]
	v_ashrrev_i32_e32 v11, 31, v10
	s_and_saveexec_b64 s[46:47], s[30:31]
	s_cbranch_execz .LBB93_61
.LBB93_77:                              ;   in Loop: Header=BB93_45 Depth=1
	v_add3_u32 v2, v6, -1, v10
	v_lshl_add_u32 v2, v2, 3, 0
	v_add_u32_e32 v17, v6, v10
	v_lshl_add_u32 v17, v17, 2, 0
	ds_write_b64 v2, v[8:9]
	ds_write_b32 v17, v16 offset:65532
	s_or_b64 exec, exec, s[46:47]
	s_and_saveexec_b64 s[30:31], vcc
	s_cbranch_execz .LBB93_44
.LBB93_78:                              ;   in Loop: Header=BB93_45 Depth=1
	v_mov_b32_e32 v2, s61
	ds_write_b64 v2, v[10:11]
	s_branch .LBB93_44
.LBB93_79:
	s_or_b64 exec, exec, s[44:45]
	s_lshl_b64 s[0:1], s[40:41], 3
	s_add_u32 s4, s42, s0
	s_addc_u32 s5, s43, s1
	s_load_dwordx4 s[0:3], s[4:5], 0x0
	v_mov_b32_e32 v1, 0
	s_waitcnt lgkmcnt(0)
	s_sub_u32 s4, s2, s0
	s_subb_u32 s5, s3, s1
	v_cmp_gt_i64_e32 vcc, s[4:5], v[0:1]
	s_and_saveexec_b64 s[6:7], vcc
	s_cbranch_execz .LBB93_89
; %bb.80:
	s_sub_u32 s8, s0, s38
	s_subb_u32 s9, s1, 0
	s_and_b32 s6, s4, 7
	s_sub_u32 s0, s0, s2
	s_mov_b32 s7, 0
	s_subb_u32 s1, s1, s3
	s_and_b32 s10, s4, -8
	s_cmp_lg_u64 s[6:7], 0
	v_cmp_lt_u64_e64 s[0:1], s[0:1], -7
	s_cselect_b64 s[2:3], -1, 0
	s_mov_b32 s11, s5
	v_cndmask_b32_e64 v2, 0, 1, s[0:1]
	v_cmp_ne_u32_e64 s[0:1], 1, v2
	v_cndmask_b32_e64 v2, 0, 1, s[2:3]
	s_mov_b64 s[12:13], 0
	v_cmp_ne_u32_e64 s[2:3], 1, v2
	s_mov_b64 s[14:15], 0x400
	s_branch .LBB93_82
.LBB93_81:                              ;   in Loop: Header=BB93_82 Depth=1
	v_lshl_add_u64 v[0:1], v[0:1], 0, s[14:15]
	v_cmp_le_i64_e32 vcc, s[4:5], v[0:1]
	s_waitcnt lgkmcnt(1)
	v_lshl_add_u64 v[2:3], v[4:5], 2, s[36:37]
	s_or_b64 s[12:13], vcc, s[12:13]
	s_waitcnt lgkmcnt(0)
	global_store_dword v[2:3], v6, off
	s_andn2_b64 exec, exec, s[12:13]
	s_cbranch_execz .LBB93_89
.LBB93_82:                              ; =>This Loop Header: Depth=1
                                        ;     Child Loop BB93_84 Depth 2
                                        ;     Child Loop BB93_88 Depth 2
	v_lshl_add_u32 v2, v0, 3, 0
	v_lshl_add_u32 v3, v0, 2, 0
	v_add_u32_e32 v4, 0x10000, v3
	ds_read_b64 v[2:3], v2
	ds_read_b32 v6, v4
	s_and_b64 vcc, exec, s[0:1]
	v_mov_b64_e32 v[4:5], s[8:9]
	s_mov_b64 s[16:17], 0
	s_cbranch_vccnz .LBB93_86
; %bb.83:                               ;   in Loop: Header=BB93_82 Depth=1
	s_mov_b32 s18, 0
	v_mov_b64_e32 v[4:5], s[8:9]
.LBB93_84:                              ;   Parent Loop BB93_82 Depth=1
                                        ; =>  This Inner Loop Header: Depth=2
	v_mov_b32_e32 v7, s18
	ds_read2_b64 v[8:11], v7 offset1:1
	ds_read2_b64 v[12:15], v7 offset0:2 offset1:3
	ds_read2_b64 v[16:19], v7 offset0:4 offset1:5
	;; [unrolled: 1-line block ×3, first 2 shown]
	v_mov_b32_e32 v25, s7
	s_waitcnt lgkmcnt(3)
	v_cmp_gt_i64_e32 vcc, v[2:3], v[8:9]
	v_mov_b32_e32 v27, s7
	v_mov_b32_e32 v29, s7
	v_cndmask_b32_e64 v24, 0, 1, vcc
	v_cmp_gt_i64_e32 vcc, v[2:3], v[10:11]
	v_lshl_add_u64 v[4:5], v[4:5], 0, v[24:25]
	v_mov_b32_e32 v31, s7
	v_cndmask_b32_e64 v26, 0, 1, vcc
	s_waitcnt lgkmcnt(2)
	v_cmp_gt_i64_e32 vcc, v[2:3], v[12:13]
	v_lshl_add_u64 v[4:5], v[4:5], 0, v[26:27]
	v_mov_b32_e32 v33, s7
	v_cndmask_b32_e64 v28, 0, 1, vcc
	v_cmp_gt_i64_e32 vcc, v[2:3], v[14:15]
	v_lshl_add_u64 v[4:5], v[4:5], 0, v[28:29]
	v_mov_b32_e32 v35, s7
	v_cndmask_b32_e64 v30, 0, 1, vcc
	s_waitcnt lgkmcnt(1)
	v_cmp_gt_i64_e32 vcc, v[2:3], v[16:17]
	v_lshl_add_u64 v[4:5], v[4:5], 0, v[30:31]
	v_mov_b32_e32 v37, s7
	v_cndmask_b32_e64 v32, 0, 1, vcc
	v_cmp_gt_i64_e32 vcc, v[2:3], v[18:19]
	v_lshl_add_u64 v[4:5], v[4:5], 0, v[32:33]
	s_add_u32 s16, s16, 8
	v_cndmask_b32_e64 v34, 0, 1, vcc
	s_waitcnt lgkmcnt(0)
	v_cmp_gt_i64_e32 vcc, v[2:3], v[20:21]
	v_lshl_add_u64 v[4:5], v[4:5], 0, v[34:35]
	v_mov_b32_e32 v39, s7
	v_cndmask_b32_e64 v36, 0, 1, vcc
	v_cmp_gt_i64_e32 vcc, v[2:3], v[22:23]
	s_addc_u32 s17, s17, 0
	s_add_i32 s18, s18, 64
	v_cndmask_b32_e64 v38, 0, 1, vcc
	v_lshl_add_u64 v[4:5], v[4:5], 0, v[36:37]
	s_cmp_eq_u64 s[10:11], s[16:17]
	v_lshl_add_u64 v[4:5], v[4:5], 0, v[38:39]
	s_cbranch_scc0 .LBB93_84
; %bb.85:                               ;   in Loop: Header=BB93_82 Depth=1
	s_mov_b64 s[16:17], s[10:11]
.LBB93_86:                              ;   in Loop: Header=BB93_82 Depth=1
	s_and_b64 vcc, exec, s[2:3]
	s_cbranch_vccnz .LBB93_81
; %bb.87:                               ;   in Loop: Header=BB93_82 Depth=1
	s_lshl_b32 s16, s16, 3
	s_add_i32 s18, s16, 0
	s_mov_b64 s[16:17], s[6:7]
.LBB93_88:                              ;   Parent Loop BB93_82 Depth=1
                                        ; =>  This Inner Loop Header: Depth=2
	v_mov_b32_e32 v7, s18
	ds_read_b64 v[10:11], v7
	s_add_i32 s18, s18, 8
	s_add_u32 s16, s16, -1
	v_mov_b32_e32 v9, s7
	s_addc_u32 s17, s17, -1
	s_waitcnt lgkmcnt(0)
	v_cmp_gt_i64_e32 vcc, v[2:3], v[10:11]
	s_cmp_lg_u64 s[16:17], 0
	s_nop 0
	v_cndmask_b32_e64 v8, 0, 1, vcc
	v_lshl_add_u64 v[4:5], v[4:5], 0, v[8:9]
	s_cbranch_scc1 .LBB93_88
	s_branch .LBB93_81
.LBB93_89:
	s_endpgm
	.section	.rodata,"a",@progbits
	.p2align	6, 0x0
	.amdhsa_kernel _ZN9rocsparseL41csrgemm_numeric_fill_block_per_row_kernelILj1024ELj64ELj8192ELj137ELj64EllfEEvT5_PKS1_S3_NS_24const_host_device_scalarIT6_EEPKT4_S3_PKS5_S9_S3_SB_S6_S9_S3_SB_S9_S3_PS5_21rocsparse_index_base_SD_SD_SD_bbb
		.amdhsa_group_segment_fixed_size 0
		.amdhsa_private_segment_fixed_size 0
		.amdhsa_kernarg_size 156
		.amdhsa_user_sgpr_count 2
		.amdhsa_user_sgpr_dispatch_ptr 0
		.amdhsa_user_sgpr_queue_ptr 0
		.amdhsa_user_sgpr_kernarg_segment_ptr 1
		.amdhsa_user_sgpr_dispatch_id 0
		.amdhsa_user_sgpr_kernarg_preload_length 0
		.amdhsa_user_sgpr_kernarg_preload_offset 0
		.amdhsa_user_sgpr_private_segment_size 0
		.amdhsa_uses_dynamic_stack 0
		.amdhsa_enable_private_segment 0
		.amdhsa_system_sgpr_workgroup_id_x 1
		.amdhsa_system_sgpr_workgroup_id_y 0
		.amdhsa_system_sgpr_workgroup_id_z 0
		.amdhsa_system_sgpr_workgroup_info 0
		.amdhsa_system_vgpr_workitem_id 0
		.amdhsa_next_free_vgpr 40
		.amdhsa_next_free_sgpr 63
		.amdhsa_accum_offset 40
		.amdhsa_reserve_vcc 1
		.amdhsa_float_round_mode_32 0
		.amdhsa_float_round_mode_16_64 0
		.amdhsa_float_denorm_mode_32 3
		.amdhsa_float_denorm_mode_16_64 3
		.amdhsa_dx10_clamp 1
		.amdhsa_ieee_mode 1
		.amdhsa_fp16_overflow 0
		.amdhsa_tg_split 0
		.amdhsa_exception_fp_ieee_invalid_op 0
		.amdhsa_exception_fp_denorm_src 0
		.amdhsa_exception_fp_ieee_div_zero 0
		.amdhsa_exception_fp_ieee_overflow 0
		.amdhsa_exception_fp_ieee_underflow 0
		.amdhsa_exception_fp_ieee_inexact 0
		.amdhsa_exception_int_div_zero 0
	.end_amdhsa_kernel
	.section	.text._ZN9rocsparseL41csrgemm_numeric_fill_block_per_row_kernelILj1024ELj64ELj8192ELj137ELj64EllfEEvT5_PKS1_S3_NS_24const_host_device_scalarIT6_EEPKT4_S3_PKS5_S9_S3_SB_S6_S9_S3_SB_S9_S3_PS5_21rocsparse_index_base_SD_SD_SD_bbb,"axG",@progbits,_ZN9rocsparseL41csrgemm_numeric_fill_block_per_row_kernelILj1024ELj64ELj8192ELj137ELj64EllfEEvT5_PKS1_S3_NS_24const_host_device_scalarIT6_EEPKT4_S3_PKS5_S9_S3_SB_S6_S9_S3_SB_S9_S3_PS5_21rocsparse_index_base_SD_SD_SD_bbb,comdat
.Lfunc_end93:
	.size	_ZN9rocsparseL41csrgemm_numeric_fill_block_per_row_kernelILj1024ELj64ELj8192ELj137ELj64EllfEEvT5_PKS1_S3_NS_24const_host_device_scalarIT6_EEPKT4_S3_PKS5_S9_S3_SB_S6_S9_S3_SB_S9_S3_PS5_21rocsparse_index_base_SD_SD_SD_bbb, .Lfunc_end93-_ZN9rocsparseL41csrgemm_numeric_fill_block_per_row_kernelILj1024ELj64ELj8192ELj137ELj64EllfEEvT5_PKS1_S3_NS_24const_host_device_scalarIT6_EEPKT4_S3_PKS5_S9_S3_SB_S6_S9_S3_SB_S9_S3_PS5_21rocsparse_index_base_SD_SD_SD_bbb
                                        ; -- End function
	.set _ZN9rocsparseL41csrgemm_numeric_fill_block_per_row_kernelILj1024ELj64ELj8192ELj137ELj64EllfEEvT5_PKS1_S3_NS_24const_host_device_scalarIT6_EEPKT4_S3_PKS5_S9_S3_SB_S6_S9_S3_SB_S9_S3_PS5_21rocsparse_index_base_SD_SD_SD_bbb.num_vgpr, 40
	.set _ZN9rocsparseL41csrgemm_numeric_fill_block_per_row_kernelILj1024ELj64ELj8192ELj137ELj64EllfEEvT5_PKS1_S3_NS_24const_host_device_scalarIT6_EEPKT4_S3_PKS5_S9_S3_SB_S6_S9_S3_SB_S9_S3_PS5_21rocsparse_index_base_SD_SD_SD_bbb.num_agpr, 0
	.set _ZN9rocsparseL41csrgemm_numeric_fill_block_per_row_kernelILj1024ELj64ELj8192ELj137ELj64EllfEEvT5_PKS1_S3_NS_24const_host_device_scalarIT6_EEPKT4_S3_PKS5_S9_S3_SB_S6_S9_S3_SB_S9_S3_PS5_21rocsparse_index_base_SD_SD_SD_bbb.numbered_sgpr, 63
	.set _ZN9rocsparseL41csrgemm_numeric_fill_block_per_row_kernelILj1024ELj64ELj8192ELj137ELj64EllfEEvT5_PKS1_S3_NS_24const_host_device_scalarIT6_EEPKT4_S3_PKS5_S9_S3_SB_S6_S9_S3_SB_S9_S3_PS5_21rocsparse_index_base_SD_SD_SD_bbb.num_named_barrier, 0
	.set _ZN9rocsparseL41csrgemm_numeric_fill_block_per_row_kernelILj1024ELj64ELj8192ELj137ELj64EllfEEvT5_PKS1_S3_NS_24const_host_device_scalarIT6_EEPKT4_S3_PKS5_S9_S3_SB_S6_S9_S3_SB_S9_S3_PS5_21rocsparse_index_base_SD_SD_SD_bbb.private_seg_size, 0
	.set _ZN9rocsparseL41csrgemm_numeric_fill_block_per_row_kernelILj1024ELj64ELj8192ELj137ELj64EllfEEvT5_PKS1_S3_NS_24const_host_device_scalarIT6_EEPKT4_S3_PKS5_S9_S3_SB_S6_S9_S3_SB_S9_S3_PS5_21rocsparse_index_base_SD_SD_SD_bbb.uses_vcc, 1
	.set _ZN9rocsparseL41csrgemm_numeric_fill_block_per_row_kernelILj1024ELj64ELj8192ELj137ELj64EllfEEvT5_PKS1_S3_NS_24const_host_device_scalarIT6_EEPKT4_S3_PKS5_S9_S3_SB_S6_S9_S3_SB_S9_S3_PS5_21rocsparse_index_base_SD_SD_SD_bbb.uses_flat_scratch, 0
	.set _ZN9rocsparseL41csrgemm_numeric_fill_block_per_row_kernelILj1024ELj64ELj8192ELj137ELj64EllfEEvT5_PKS1_S3_NS_24const_host_device_scalarIT6_EEPKT4_S3_PKS5_S9_S3_SB_S6_S9_S3_SB_S9_S3_PS5_21rocsparse_index_base_SD_SD_SD_bbb.has_dyn_sized_stack, 0
	.set _ZN9rocsparseL41csrgemm_numeric_fill_block_per_row_kernelILj1024ELj64ELj8192ELj137ELj64EllfEEvT5_PKS1_S3_NS_24const_host_device_scalarIT6_EEPKT4_S3_PKS5_S9_S3_SB_S6_S9_S3_SB_S9_S3_PS5_21rocsparse_index_base_SD_SD_SD_bbb.has_recursion, 0
	.set _ZN9rocsparseL41csrgemm_numeric_fill_block_per_row_kernelILj1024ELj64ELj8192ELj137ELj64EllfEEvT5_PKS1_S3_NS_24const_host_device_scalarIT6_EEPKT4_S3_PKS5_S9_S3_SB_S6_S9_S3_SB_S9_S3_PS5_21rocsparse_index_base_SD_SD_SD_bbb.has_indirect_call, 0
	.section	.AMDGPU.csdata,"",@progbits
; Kernel info:
; codeLenInByte = 3412
; TotalNumSgprs: 69
; NumVgprs: 40
; NumAgprs: 0
; TotalNumVgprs: 40
; ScratchSize: 0
; MemoryBound: 0
; FloatMode: 240
; IeeeMode: 1
; LDSByteSize: 0 bytes/workgroup (compile time only)
; SGPRBlocks: 8
; VGPRBlocks: 4
; NumSGPRsForWavesPerEU: 69
; NumVGPRsForWavesPerEU: 40
; AccumOffset: 40
; Occupancy: 8
; WaveLimiterHint : 1
; COMPUTE_PGM_RSRC2:SCRATCH_EN: 0
; COMPUTE_PGM_RSRC2:USER_SGPR: 2
; COMPUTE_PGM_RSRC2:TRAP_HANDLER: 0
; COMPUTE_PGM_RSRC2:TGID_X_EN: 1
; COMPUTE_PGM_RSRC2:TGID_Y_EN: 0
; COMPUTE_PGM_RSRC2:TGID_Z_EN: 0
; COMPUTE_PGM_RSRC2:TIDIG_COMP_CNT: 0
; COMPUTE_PGM_RSRC3_GFX90A:ACCUM_OFFSET: 9
; COMPUTE_PGM_RSRC3_GFX90A:TG_SPLIT: 0
	.section	.text._ZN9rocsparseL41csrgemm_numeric_fill_block_per_row_kernelILj1024ELj64ELj16384ELj137ELj32EllfEEvT5_PKS1_S3_NS_24const_host_device_scalarIT6_EEPKT4_S3_PKS5_S9_S3_SB_S6_S9_S3_SB_S9_S3_PS5_21rocsparse_index_base_SD_SD_SD_bbb,"axG",@progbits,_ZN9rocsparseL41csrgemm_numeric_fill_block_per_row_kernelILj1024ELj64ELj16384ELj137ELj32EllfEEvT5_PKS1_S3_NS_24const_host_device_scalarIT6_EEPKT4_S3_PKS5_S9_S3_SB_S6_S9_S3_SB_S9_S3_PS5_21rocsparse_index_base_SD_SD_SD_bbb,comdat
	.globl	_ZN9rocsparseL41csrgemm_numeric_fill_block_per_row_kernelILj1024ELj64ELj16384ELj137ELj32EllfEEvT5_PKS1_S3_NS_24const_host_device_scalarIT6_EEPKT4_S3_PKS5_S9_S3_SB_S6_S9_S3_SB_S9_S3_PS5_21rocsparse_index_base_SD_SD_SD_bbb ; -- Begin function _ZN9rocsparseL41csrgemm_numeric_fill_block_per_row_kernelILj1024ELj64ELj16384ELj137ELj32EllfEEvT5_PKS1_S3_NS_24const_host_device_scalarIT6_EEPKT4_S3_PKS5_S9_S3_SB_S6_S9_S3_SB_S9_S3_PS5_21rocsparse_index_base_SD_SD_SD_bbb
	.p2align	8
	.type	_ZN9rocsparseL41csrgemm_numeric_fill_block_per_row_kernelILj1024ELj64ELj16384ELj137ELj32EllfEEvT5_PKS1_S3_NS_24const_host_device_scalarIT6_EEPKT4_S3_PKS5_S9_S3_SB_S6_S9_S3_SB_S9_S3_PS5_21rocsparse_index_base_SD_SD_SD_bbb,@function
_ZN9rocsparseL41csrgemm_numeric_fill_block_per_row_kernelILj1024ELj64ELj16384ELj137ELj32EllfEEvT5_PKS1_S3_NS_24const_host_device_scalarIT6_EEPKT4_S3_PKS5_S9_S3_SB_S6_S9_S3_SB_S9_S3_PS5_21rocsparse_index_base_SD_SD_SD_bbb: ; @_ZN9rocsparseL41csrgemm_numeric_fill_block_per_row_kernelILj1024ELj64ELj16384ELj137ELj32EllfEEvT5_PKS1_S3_NS_24const_host_device_scalarIT6_EEPKT4_S3_PKS5_S9_S3_SB_S6_S9_S3_SB_S9_S3_PS5_21rocsparse_index_base_SD_SD_SD_bbb
; %bb.0:
	s_load_dword s3, s[0:1], 0x98
	s_load_dwordx4 s[40:43], s[0:1], 0x88
	s_load_dwordx2 s[6:7], s[0:1], 0x18
	s_load_dwordx2 s[24:25], s[0:1], 0x50
	s_waitcnt lgkmcnt(0)
	s_bitcmp1_b32 s3, 0
	s_cselect_b64 s[4:5], -1, 0
	s_bitcmp1_b32 s3, 16
	s_cselect_b64 s[26:27], -1, 0
	s_xor_b64 s[8:9], s[4:5], -1
	s_or_b64 s[8:9], s[26:27], s[8:9]
	s_and_b64 vcc, exec, s[8:9]
	s_cbranch_vccnz .LBB94_2
; %bb.1:
	s_load_dword s6, s[6:7], 0x0
	s_waitcnt lgkmcnt(0)
	v_mov_b32_e32 v21, s6
	s_branch .LBB94_3
.LBB94_2:
	v_mov_b32_e32 v1, s6
	v_cndmask_b32_e64 v21, 0, v1, s[4:5]
.LBB94_3:
	s_load_dwordx2 s[6:7], s[0:1], 0x80
	s_load_dwordx8 s[44:51], s[0:1], 0x58
	s_load_dwordx4 s[16:19], s[0:1], 0x40
	s_load_dwordx4 s[20:23], s[0:1], 0x8
	s_load_dwordx8 s[8:15], s[0:1], 0x20
                                        ; implicit-def: $vgpr40 : SGPR spill to VGPR lane
	s_bitcmp1_b32 s3, 8
	s_waitcnt lgkmcnt(0)
	v_writelane_b32 v40, s6, 0
	s_nop 1
	v_writelane_b32 v40, s7, 1
	s_cselect_b64 s[6:7], -1, 0
	s_xor_b64 s[28:29], s[6:7], -1
	s_or_b64 s[26:27], s[26:27], s[28:29]
	s_and_b64 vcc, exec, s[26:27]
	s_cbranch_vccnz .LBB94_5
; %bb.4:
	s_load_dword s3, s[24:25], 0x0
	s_waitcnt lgkmcnt(0)
	v_mov_b32_e32 v20, s3
	s_branch .LBB94_6
.LBB94_5:
	v_mov_b32_e32 v1, s24
	v_cndmask_b32_e64 v20, 0, v1, s[6:7]
.LBB94_6:
	s_load_dwordx2 s[74:75], s[0:1], 0x0
	v_lshl_add_u32 v2, v0, 2, 0
	v_or_b32_e32 v1, 0xfffffc00, v0
	v_add_u32_e32 v18, 0x20000, v2
	v_lshl_add_u32 v19, v0, 3, 0
	s_mov_b64 s[0:1], 0
	s_waitcnt lgkmcnt(0)
	v_mov_b64_e32 v[6:7], s[74:75]
	v_mov_b32_e32 v2, 0
	s_movk_i32 s3, 0x3bff
	v_mov_b32_e32 v3, v19
	v_mov_b32_e32 v4, v18
	;; [unrolled: 1-line block ×3, first 2 shown]
.LBB94_7:                               ; =>This Inner Loop Header: Depth=1
	v_add_u32_e32 v5, 0x400, v5
	v_cmp_lt_u32_e32 vcc, s3, v5
	ds_write_b64 v3, v[6:7]
	ds_write_b32 v4, v2
	v_add_u32_e32 v4, 0x1000, v4
	s_or_b64 s[0:1], vcc, s[0:1]
	v_add_u32_e32 v3, 0x2000, v3
	s_andn2_b64 exec, exec, s[0:1]
	s_cbranch_execnz .LBB94_7
; %bb.8:
	s_or_b64 exec, exec, s[0:1]
	s_waitcnt lgkmcnt(0)
	s_barrier
	s_load_dwordx2 s[0:1], s[20:21], 0x0
	s_mov_b32 s3, 0
	s_waitcnt lgkmcnt(0)
	s_lshl_b64 s[0:1], s[0:1], 3
	s_add_u32 s20, s22, s0
	s_addc_u32 s21, s23, s1
	s_lshl_b64 s[0:1], s[2:3], 3
	s_add_u32 s0, s20, s0
	s_addc_u32 s1, s21, s1
	s_load_dwordx2 s[52:53], s[0:1], 0x0
	s_and_b64 vcc, exec, s[4:5]
	s_cbranch_vccz .LBB94_28
; %bb.9:
	s_waitcnt lgkmcnt(0)
	s_lshl_b64 s[0:1], s[52:53], 3
	s_add_u32 s0, s8, s0
	s_addc_u32 s1, s9, s1
	s_load_dwordx4 s[20:23], s[0:1], 0x0
	v_lshrrev_b32_e32 v2, 6, v0
	v_subrev_co_u32_e32 v2, vcc, s40, v2
	s_waitcnt lgkmcnt(0)
	s_sub_u32 s0, s22, s40
	v_subb_co_u32_e64 v3, s[2:3], 0, 0, vcc
	s_subb_u32 s1, s23, 0
	v_lshl_add_u64 v[2:3], s[20:21], 0, v[2:3]
	v_cmp_gt_i64_e32 vcc, s[0:1], v[2:3]
	s_and_saveexec_b64 s[2:3], vcc
	s_cbranch_execz .LBB94_27
; %bb.10:
	v_and_b32_e32 v4, 63, v0
	v_subrev_co_u32_e32 v4, vcc, s41, v4
	s_mov_b32 s33, s41
	s_nop 0
	v_subb_co_u32_e64 v5, s[4:5], 0, 0, vcc
	s_mov_b64 s[4:5], 0
	s_movk_i32 s38, 0x89
	s_branch .LBB94_12
.LBB94_11:                              ;   in Loop: Header=BB94_12 Depth=1
	s_or_b64 exec, exec, s[8:9]
	v_lshl_add_u64 v[2:3], v[2:3], 0, 16
	v_cmp_le_i64_e32 vcc, s[0:1], v[2:3]
	s_or_b64 s[4:5], vcc, s[4:5]
	s_andn2_b64 exec, exec, s[4:5]
	s_cbranch_execz .LBB94_27
.LBB94_12:                              ; =>This Loop Header: Depth=1
                                        ;     Child Loop BB94_16 Depth 2
                                        ;       Child Loop BB94_19 Depth 3
	v_lshl_add_u64 v[6:7], v[2:3], 3, s[10:11]
	global_load_dwordx2 v[6:7], v[6:7], off
	s_waitcnt vmcnt(0)
	v_subrev_co_u32_e32 v6, vcc, s40, v6
	s_nop 1
	v_subbrev_co_u32_e32 v7, vcc, 0, v7, vcc
	v_lshl_add_u64 v[6:7], v[6:7], 3, s[14:15]
	global_load_dwordx4 v[8:11], v[6:7], off
	s_waitcnt vmcnt(0)
	v_subrev_co_u32_e32 v6, vcc, s33, v10
	s_nop 1
	v_subbrev_co_u32_e32 v7, vcc, 0, v11, vcc
	v_lshl_add_u64 v[8:9], v[8:9], 0, v[4:5]
	v_cmp_lt_i64_e32 vcc, v[8:9], v[6:7]
	s_and_saveexec_b64 s[8:9], vcc
	s_cbranch_execz .LBB94_11
; %bb.13:                               ;   in Loop: Header=BB94_12 Depth=1
	v_lshl_add_u64 v[10:11], v[2:3], 2, s[12:13]
	global_load_dword v10, v[10:11], off
	s_mov_b64 s[20:21], 0
	s_waitcnt vmcnt(0)
	v_mul_f32_e32 v22, v21, v10
	s_branch .LBB94_16
.LBB94_14:                              ;   in Loop: Header=BB94_16 Depth=2
	s_or_b64 exec, exec, s[24:25]
.LBB94_15:                              ;   in Loop: Header=BB94_16 Depth=2
	s_or_b64 exec, exec, s[22:23]
	v_lshl_add_u32 v11, v12, 2, 0
	s_waitcnt vmcnt(0)
	v_mul_f32_e32 v10, v22, v23
	v_add_u32_e32 v11, 0x20000, v11
	ds_add_f32 v11, v10
	v_lshl_add_u64 v[8:9], v[8:9], 0, 64
	v_cmp_ge_i64_e32 vcc, v[8:9], v[6:7]
	s_or_b64 s[20:21], vcc, s[20:21]
	s_andn2_b64 exec, exec, s[20:21]
	s_cbranch_execz .LBB94_11
.LBB94_16:                              ;   Parent Loop BB94_12 Depth=1
                                        ; =>  This Loop Header: Depth=2
                                        ;       Child Loop BB94_19 Depth 3
	v_lshl_add_u64 v[10:11], v[8:9], 3, s[16:17]
	global_load_dwordx2 v[10:11], v[10:11], off
	v_lshl_add_u64 v[12:13], v[8:9], 2, s[18:19]
	global_load_dword v23, v[12:13], off
	s_waitcnt vmcnt(1)
	v_subrev_co_u32_e32 v10, vcc, s33, v10
	v_mul_lo_u32 v12, v10, s38
	v_and_b32_e32 v12, 0x3fff, v12
	v_lshl_add_u32 v24, v12, 3, 0
	ds_read_b64 v[16:17], v24
	v_subbrev_co_u32_e32 v11, vcc, 0, v11, vcc
	s_waitcnt lgkmcnt(0)
	v_cmp_ne_u64_e32 vcc, v[16:17], v[10:11]
	s_and_saveexec_b64 s[22:23], vcc
	s_cbranch_execz .LBB94_15
; %bb.17:                               ;   in Loop: Header=BB94_16 Depth=2
	s_mov_b64 s[24:25], 0
                                        ; implicit-def: $sgpr26_sgpr27
                                        ; implicit-def: $sgpr28_sgpr29
	s_branch .LBB94_19
.LBB94_18:                              ;   in Loop: Header=BB94_19 Depth=3
	s_or_b64 exec, exec, s[36:37]
	s_and_b64 s[30:31], exec, s[34:35]
	s_or_b64 s[24:25], s[30:31], s[24:25]
	s_andn2_b64 s[26:27], s[26:27], exec
	s_and_b64 s[30:31], s[28:29], exec
	s_or_b64 s[26:27], s[26:27], s[30:31]
	s_andn2_b64 exec, exec, s[24:25]
	s_cbranch_execz .LBB94_25
.LBB94_19:                              ;   Parent Loop BB94_12 Depth=1
                                        ;     Parent Loop BB94_16 Depth=2
                                        ; =>    This Inner Loop Header: Depth=3
	v_mov_b64_e32 v[14:15], v[12:13]
	v_cmp_ne_u64_e32 vcc, s[74:75], v[16:17]
	s_mov_b64 s[30:31], 0
                                        ; implicit-def: $vgpr12_vgpr13
	s_and_saveexec_b64 s[34:35], vcc
	s_xor_b64 s[34:35], exec, s[34:35]
; %bb.20:                               ;   in Loop: Header=BB94_19 Depth=3
	v_add_u32_e32 v12, 1, v14
	s_mov_b64 s[30:31], exec
	v_and_b32_e32 v12, 0x3fff, v12
                                        ; implicit-def: $vgpr24
; %bb.21:                               ;   in Loop: Header=BB94_19 Depth=3
	s_andn2_saveexec_b64 s[34:35], s[34:35]
	s_cbranch_execz .LBB94_23
; %bb.22:                               ;   in Loop: Header=BB94_19 Depth=3
	v_mov_b64_e32 v[12:13], s[74:75]
	ds_cmpst_rtn_b64 v[12:13], v24, v[12:13], v[10:11]
	s_andn2_b64 s[30:31], s[30:31], exec
	s_waitcnt lgkmcnt(0)
	v_cmp_ne_u64_e32 vcc, s[74:75], v[12:13]
	s_and_b64 s[36:37], vcc, exec
	s_or_b64 s[30:31], s[30:31], s[36:37]
	v_mov_b64_e32 v[12:13], v[14:15]
.LBB94_23:                              ;   in Loop: Header=BB94_19 Depth=3
	s_or_b64 exec, exec, s[34:35]
	s_mov_b64 s[34:35], -1
	s_or_b64 s[28:29], s[28:29], exec
                                        ; implicit-def: $vgpr24
                                        ; implicit-def: $vgpr16_vgpr17
	s_and_saveexec_b64 s[36:37], s[30:31]
	s_cbranch_execz .LBB94_18
; %bb.24:                               ;   in Loop: Header=BB94_19 Depth=3
	v_lshl_add_u32 v24, v12, 3, 0
	ds_read_b64 v[16:17], v24
	s_andn2_b64 s[28:29], s[28:29], exec
	s_waitcnt lgkmcnt(0)
	v_cmp_eq_u64_e32 vcc, v[16:17], v[10:11]
	s_orn2_b64 s[34:35], vcc, exec
	s_branch .LBB94_18
.LBB94_25:                              ;   in Loop: Header=BB94_16 Depth=2
	s_or_b64 exec, exec, s[24:25]
	s_and_saveexec_b64 s[24:25], s[26:27]
	s_xor_b64 s[24:25], exec, s[24:25]
	s_cbranch_execz .LBB94_14
; %bb.26:                               ;   in Loop: Header=BB94_16 Depth=2
	v_mov_b32_e32 v12, v14
	s_branch .LBB94_14
.LBB94_27:
	s_or_b64 exec, exec, s[2:3]
.LBB94_28:
	s_andn2_b64 vcc, exec, s[6:7]
	s_cbranch_vccnz .LBB94_45
; %bb.29:
	s_waitcnt lgkmcnt(0)
	s_lshl_b64 s[0:1], s[52:53], 3
	s_add_u32 s0, s44, s0
	s_addc_u32 s1, s45, s1
	s_load_dwordx4 s[4:7], s[0:1], 0x0
	v_subrev_co_u32_e32 v2, vcc, s43, v0
	s_waitcnt lgkmcnt(0)
	s_sub_u32 s0, s6, s43
	v_subb_co_u32_e64 v3, s[2:3], 0, 0, vcc
	s_subb_u32 s1, s7, 0
	v_lshl_add_u64 v[2:3], s[4:5], 0, v[2:3]
	v_cmp_gt_i64_e32 vcc, s[0:1], v[2:3]
	s_and_saveexec_b64 s[2:3], vcc
	s_cbranch_execz .LBB94_44
; %bb.30:
	s_mov_b32 s22, s43
	s_mov_b64 s[4:5], 0
	s_movk_i32 s23, 0x89
	s_mov_b64 s[6:7], 0x400
	s_branch .LBB94_33
.LBB94_31:                              ;   in Loop: Header=BB94_33 Depth=1
	s_or_b64 exec, exec, s[10:11]
.LBB94_32:                              ;   in Loop: Header=BB94_33 Depth=1
	s_or_b64 exec, exec, s[8:9]
	v_lshl_add_u32 v5, v6, 2, 0
	s_waitcnt vmcnt(0)
	v_mul_f32_e32 v4, v20, v12
	v_add_u32_e32 v5, 0x20000, v5
	ds_add_f32 v5, v4
	v_lshl_add_u64 v[2:3], v[2:3], 0, s[6:7]
	v_cmp_le_i64_e32 vcc, s[0:1], v[2:3]
	s_or_b64 s[4:5], vcc, s[4:5]
	s_andn2_b64 exec, exec, s[4:5]
	s_cbranch_execz .LBB94_44
.LBB94_33:                              ; =>This Loop Header: Depth=1
                                        ;     Child Loop BB94_36 Depth 2
	v_lshl_add_u64 v[4:5], v[2:3], 3, s[46:47]
	global_load_dwordx2 v[4:5], v[4:5], off
	v_lshl_add_u64 v[6:7], v[2:3], 2, s[48:49]
	global_load_dword v12, v[6:7], off
	s_waitcnt vmcnt(1)
	v_subrev_co_u32_e32 v4, vcc, s22, v4
	v_mul_lo_u32 v6, v4, s23
	v_and_b32_e32 v6, 0x3fff, v6
	v_lshl_add_u32 v13, v6, 3, 0
	ds_read_b64 v[10:11], v13
	v_subbrev_co_u32_e32 v5, vcc, 0, v5, vcc
	s_waitcnt lgkmcnt(0)
	v_cmp_ne_u64_e32 vcc, v[10:11], v[4:5]
	s_and_saveexec_b64 s[8:9], vcc
	s_cbranch_execz .LBB94_32
; %bb.34:                               ;   in Loop: Header=BB94_33 Depth=1
	s_mov_b64 s[10:11], 0
                                        ; implicit-def: $sgpr12_sgpr13
                                        ; implicit-def: $sgpr14_sgpr15
	s_branch .LBB94_36
.LBB94_35:                              ;   in Loop: Header=BB94_36 Depth=2
	s_or_b64 exec, exec, s[20:21]
	s_and_b64 s[16:17], exec, s[18:19]
	s_or_b64 s[10:11], s[16:17], s[10:11]
	s_andn2_b64 s[12:13], s[12:13], exec
	s_and_b64 s[16:17], s[14:15], exec
	s_or_b64 s[12:13], s[12:13], s[16:17]
	s_andn2_b64 exec, exec, s[10:11]
	s_cbranch_execz .LBB94_42
.LBB94_36:                              ;   Parent Loop BB94_33 Depth=1
                                        ; =>  This Inner Loop Header: Depth=2
	v_mov_b64_e32 v[8:9], v[6:7]
	v_cmp_ne_u64_e32 vcc, s[74:75], v[10:11]
	s_mov_b64 s[16:17], 0
                                        ; implicit-def: $vgpr6_vgpr7
	s_and_saveexec_b64 s[18:19], vcc
	s_xor_b64 s[18:19], exec, s[18:19]
; %bb.37:                               ;   in Loop: Header=BB94_36 Depth=2
	v_add_u32_e32 v6, 1, v8
	s_mov_b64 s[16:17], exec
	v_and_b32_e32 v6, 0x3fff, v6
                                        ; implicit-def: $vgpr13
; %bb.38:                               ;   in Loop: Header=BB94_36 Depth=2
	s_andn2_saveexec_b64 s[18:19], s[18:19]
	s_cbranch_execz .LBB94_40
; %bb.39:                               ;   in Loop: Header=BB94_36 Depth=2
	v_mov_b64_e32 v[6:7], s[74:75]
	ds_cmpst_rtn_b64 v[6:7], v13, v[6:7], v[4:5]
	s_andn2_b64 s[16:17], s[16:17], exec
	s_waitcnt lgkmcnt(0)
	v_cmp_ne_u64_e32 vcc, s[74:75], v[6:7]
	s_and_b64 s[20:21], vcc, exec
	s_or_b64 s[16:17], s[16:17], s[20:21]
	v_mov_b64_e32 v[6:7], v[8:9]
.LBB94_40:                              ;   in Loop: Header=BB94_36 Depth=2
	s_or_b64 exec, exec, s[18:19]
	s_mov_b64 s[18:19], -1
	s_or_b64 s[14:15], s[14:15], exec
                                        ; implicit-def: $vgpr13
                                        ; implicit-def: $vgpr10_vgpr11
	s_and_saveexec_b64 s[20:21], s[16:17]
	s_cbranch_execz .LBB94_35
; %bb.41:                               ;   in Loop: Header=BB94_36 Depth=2
	v_lshl_add_u32 v13, v6, 3, 0
	ds_read_b64 v[10:11], v13
	s_andn2_b64 s[14:15], s[14:15], exec
	s_waitcnt lgkmcnt(0)
	v_cmp_eq_u64_e32 vcc, v[10:11], v[4:5]
	s_orn2_b64 s[18:19], vcc, exec
	s_branch .LBB94_35
.LBB94_42:                              ;   in Loop: Header=BB94_33 Depth=1
	s_or_b64 exec, exec, s[10:11]
	s_and_saveexec_b64 s[10:11], s[12:13]
	s_xor_b64 s[10:11], exec, s[10:11]
	s_cbranch_execz .LBB94_31
; %bb.43:                               ;   in Loop: Header=BB94_33 Depth=1
	v_mov_b32_e32 v6, v8
	s_branch .LBB94_31
.LBB94_44:
	s_or_b64 exec, exec, s[2:3]
.LBB94_45:
	s_waitcnt lgkmcnt(0)
	v_writelane_b32 v40, s52, 2
	s_movk_i32 s33, 0x25f
	v_cmp_lt_u32_e64 s[34:35], s33, v0
	v_writelane_b32 v40, s53, 3
	v_writelane_b32 v40, s44, 4
	s_movk_i32 s33, 0x27f
	v_cmp_lt_u32_e64 s[36:37], s33, v0
	v_writelane_b32 v40, s45, 5
	v_writelane_b32 v40, s46, 6
	;; [unrolled: 1-line block ×8, first 2 shown]
	s_movk_i32 s33, 0x29f
	v_cmp_lt_u32_e64 s[38:39], s33, v0
	v_writelane_b32 v40, s41, 13
	v_writelane_b32 v40, s42, 14
	s_movk_i32 s33, 0x2bf
	v_writelane_b32 v40, s43, 15
	v_cmp_lt_u32_e64 s[40:41], s33, v0
	s_movk_i32 s33, 0x2df
	v_cmp_lt_u32_e64 s[42:43], s33, v0
	s_movk_i32 s33, 0x2ff
	;; [unrolled: 2-line block ×6, first 2 shown]
	v_mbcnt_lo_u32_b32 v2, -1, 0
	v_cmp_lt_u32_e64 s[52:53], s33, v0
	s_movk_i32 s33, 0x39f
	v_mbcnt_hi_u32_b32 v2, -1, v2
	v_cmp_lt_u32_e64 s[54:55], s33, v0
	s_movk_i32 s33, 0x3bf
	v_sub_u32_e32 v2, 63, v2
	s_add_i32 s0, 0, 0x30000
	v_cmp_lt_u32_e64 s[56:57], s33, v0
	s_movk_i32 s33, 0x3df
	v_lshrrev_b64 v[4:5], v2, -1
	v_lshrrev_b32_e32 v2, 2, v0
	v_writelane_b32 v40, s0, 16
	v_cmp_lt_u32_e64 s[58:59], s33, v0
	s_add_i32 s33, 0, 0x30008
	v_and_b32_e32 v2, 0xf8, v2
	v_writelane_b32 v40, s33, 17
	s_add_i32 s33, 0, 0x30010
	v_add_u32_e32 v12, s0, v2
	s_movk_i32 s0, 0x3ff
	v_writelane_b32 v40, s33, 18
	s_add_i32 s33, 0, 0x30018
	v_cmp_eq_u32_e32 vcc, s0, v0
	s_movk_i32 s0, 0x5f
	s_movk_i32 s2, 0x7f
	;; [unrolled: 1-line block ×16, first 2 shown]
	v_writelane_b32 v40, s33, 19
	s_add_i32 s33, 0, 0x30028
	v_mov_b32_e32 v3, 0
	v_cmp_lt_u32_e64 s[0:1], s0, v0
	v_cmp_lt_u32_e64 s[2:3], s2, v0
	;; [unrolled: 1-line block ×16, first 2 shown]
	v_mov_b64_e32 v[6:7], 0
	s_add_i32 s81, 0, 0x30020
	v_writelane_b32 v40, s33, 20
	s_add_i32 s84, 0, 0x30030
	s_add_i32 s85, 0, 0x30038
	;; [unrolled: 1-line block ×26, first 2 shown]
	v_cmp_lt_u32_e64 s[60:61], 31, v0
	v_cmp_lt_u32_e64 s[62:63], 63, v0
	s_mov_b64 s[68:69], 0
	s_barrier
	s_branch .LBB94_47
.LBB94_46:                              ;   in Loop: Header=BB94_47 Depth=1
	s_or_b64 exec, exec, s[64:65]
	v_mov_b32_e32 v2, s80
	s_waitcnt lgkmcnt(0)
	s_barrier
	ds_read_b64 v[8:9], v2
	v_add_u32_e32 v1, 0x400, v1
	s_movk_i32 s64, 0x3bff
	v_cmp_lt_u32_e64 s[64:65], s64, v1
	v_add_u32_e32 v18, 0x1000, v18
	s_waitcnt lgkmcnt(0)
	v_lshl_add_u64 v[6:7], v[8:9], 0, v[6:7]
	s_or_b64 s[68:69], s[64:65], s[68:69]
	v_add_u32_e32 v19, 0x2000, v19
	s_andn2_b64 exec, exec, s[68:69]
	s_cbranch_execz .LBB94_113
.LBB94_47:                              ; =>This Inner Loop Header: Depth=1
	ds_read_b64 v[8:9], v19
	ds_read_b32 v13, v18
	s_waitcnt lgkmcnt(0)
	s_barrier
	v_cmp_gt_i64_e64 s[64:65], s[74:75], v[8:9]
	s_bcnt1_i32_b64 s78, s[64:65]
	v_mov_b32_e32 v2, s78
	v_and_b32_e32 v11, s64, v4
	v_and_b32_e32 v10, s65, v5
	v_bcnt_u32_b32 v11, v11, 0
	v_bcnt_u32_b32 v10, v10, v11
	ds_write_b64 v12, v[2:3]
	s_waitcnt lgkmcnt(0)
	s_barrier
	s_and_saveexec_b64 s[78:79], s[60:61]
	s_cbranch_execnz .LBB94_80
; %bb.48:                               ;   in Loop: Header=BB94_47 Depth=1
	s_or_b64 exec, exec, s[78:79]
	s_and_saveexec_b64 s[78:79], s[62:63]
	s_cbranch_execnz .LBB94_81
.LBB94_49:                              ;   in Loop: Header=BB94_47 Depth=1
	s_or_b64 exec, exec, s[78:79]
	s_and_saveexec_b64 s[78:79], s[0:1]
	s_cbranch_execnz .LBB94_82
.LBB94_50:                              ;   in Loop: Header=BB94_47 Depth=1
	s_or_b64 exec, exec, s[78:79]
	s_and_saveexec_b64 s[78:79], s[2:3]
	s_cbranch_execnz .LBB94_83
.LBB94_51:                              ;   in Loop: Header=BB94_47 Depth=1
	s_or_b64 exec, exec, s[78:79]
	s_and_saveexec_b64 s[78:79], s[4:5]
	s_cbranch_execnz .LBB94_84
.LBB94_52:                              ;   in Loop: Header=BB94_47 Depth=1
	s_or_b64 exec, exec, s[78:79]
	s_and_saveexec_b64 s[78:79], s[6:7]
	s_cbranch_execnz .LBB94_85
.LBB94_53:                              ;   in Loop: Header=BB94_47 Depth=1
	s_or_b64 exec, exec, s[78:79]
	s_and_saveexec_b64 s[78:79], s[8:9]
	s_cbranch_execnz .LBB94_86
.LBB94_54:                              ;   in Loop: Header=BB94_47 Depth=1
	s_or_b64 exec, exec, s[78:79]
	s_and_saveexec_b64 s[78:79], s[10:11]
	s_cbranch_execnz .LBB94_87
.LBB94_55:                              ;   in Loop: Header=BB94_47 Depth=1
	s_or_b64 exec, exec, s[78:79]
	s_and_saveexec_b64 s[78:79], s[12:13]
	s_cbranch_execnz .LBB94_88
.LBB94_56:                              ;   in Loop: Header=BB94_47 Depth=1
	s_or_b64 exec, exec, s[78:79]
	s_and_saveexec_b64 s[78:79], s[14:15]
	s_cbranch_execnz .LBB94_89
.LBB94_57:                              ;   in Loop: Header=BB94_47 Depth=1
	s_or_b64 exec, exec, s[78:79]
	s_and_saveexec_b64 s[78:79], s[16:17]
	s_cbranch_execnz .LBB94_90
.LBB94_58:                              ;   in Loop: Header=BB94_47 Depth=1
	s_or_b64 exec, exec, s[78:79]
	s_and_saveexec_b64 s[78:79], s[18:19]
	s_cbranch_execnz .LBB94_91
.LBB94_59:                              ;   in Loop: Header=BB94_47 Depth=1
	s_or_b64 exec, exec, s[78:79]
	s_and_saveexec_b64 s[78:79], s[20:21]
	s_cbranch_execnz .LBB94_92
.LBB94_60:                              ;   in Loop: Header=BB94_47 Depth=1
	s_or_b64 exec, exec, s[78:79]
	s_and_saveexec_b64 s[78:79], s[22:23]
	s_cbranch_execnz .LBB94_93
.LBB94_61:                              ;   in Loop: Header=BB94_47 Depth=1
	s_or_b64 exec, exec, s[78:79]
	s_and_saveexec_b64 s[78:79], s[24:25]
	s_cbranch_execnz .LBB94_94
.LBB94_62:                              ;   in Loop: Header=BB94_47 Depth=1
	s_or_b64 exec, exec, s[78:79]
	s_and_saveexec_b64 s[78:79], s[26:27]
	s_cbranch_execnz .LBB94_95
.LBB94_63:                              ;   in Loop: Header=BB94_47 Depth=1
	s_or_b64 exec, exec, s[78:79]
	s_and_saveexec_b64 s[78:79], s[28:29]
	s_cbranch_execnz .LBB94_96
.LBB94_64:                              ;   in Loop: Header=BB94_47 Depth=1
	s_or_b64 exec, exec, s[78:79]
	s_and_saveexec_b64 s[78:79], s[30:31]
	s_cbranch_execnz .LBB94_97
.LBB94_65:                              ;   in Loop: Header=BB94_47 Depth=1
	s_or_b64 exec, exec, s[78:79]
	s_and_saveexec_b64 s[78:79], s[34:35]
	s_cbranch_execnz .LBB94_98
.LBB94_66:                              ;   in Loop: Header=BB94_47 Depth=1
	s_or_b64 exec, exec, s[78:79]
	s_and_saveexec_b64 s[78:79], s[36:37]
	s_cbranch_execnz .LBB94_99
.LBB94_67:                              ;   in Loop: Header=BB94_47 Depth=1
	s_or_b64 exec, exec, s[78:79]
	s_and_saveexec_b64 s[78:79], s[38:39]
	s_cbranch_execnz .LBB94_100
.LBB94_68:                              ;   in Loop: Header=BB94_47 Depth=1
	s_or_b64 exec, exec, s[78:79]
	s_and_saveexec_b64 s[78:79], s[40:41]
	s_cbranch_execnz .LBB94_101
.LBB94_69:                              ;   in Loop: Header=BB94_47 Depth=1
	s_or_b64 exec, exec, s[78:79]
	s_and_saveexec_b64 s[78:79], s[42:43]
	s_cbranch_execnz .LBB94_102
.LBB94_70:                              ;   in Loop: Header=BB94_47 Depth=1
	s_or_b64 exec, exec, s[78:79]
	s_and_saveexec_b64 s[78:79], s[44:45]
	s_cbranch_execnz .LBB94_103
.LBB94_71:                              ;   in Loop: Header=BB94_47 Depth=1
	s_or_b64 exec, exec, s[78:79]
	s_and_saveexec_b64 s[78:79], s[46:47]
	s_cbranch_execnz .LBB94_104
.LBB94_72:                              ;   in Loop: Header=BB94_47 Depth=1
	s_or_b64 exec, exec, s[78:79]
	s_and_saveexec_b64 s[78:79], s[48:49]
	s_cbranch_execnz .LBB94_105
.LBB94_73:                              ;   in Loop: Header=BB94_47 Depth=1
	s_or_b64 exec, exec, s[78:79]
	s_and_saveexec_b64 s[78:79], s[50:51]
	s_cbranch_execnz .LBB94_106
.LBB94_74:                              ;   in Loop: Header=BB94_47 Depth=1
	s_or_b64 exec, exec, s[78:79]
	s_and_saveexec_b64 s[78:79], s[52:53]
	s_cbranch_execnz .LBB94_107
.LBB94_75:                              ;   in Loop: Header=BB94_47 Depth=1
	s_or_b64 exec, exec, s[78:79]
	s_and_saveexec_b64 s[78:79], s[54:55]
	s_cbranch_execnz .LBB94_108
.LBB94_76:                              ;   in Loop: Header=BB94_47 Depth=1
	s_or_b64 exec, exec, s[78:79]
	s_and_saveexec_b64 s[78:79], s[56:57]
	s_cbranch_execnz .LBB94_109
.LBB94_77:                              ;   in Loop: Header=BB94_47 Depth=1
	s_or_b64 exec, exec, s[78:79]
	s_and_saveexec_b64 s[78:79], s[58:59]
	s_cbranch_execnz .LBB94_110
.LBB94_78:                              ;   in Loop: Header=BB94_47 Depth=1
	s_or_b64 exec, exec, s[78:79]
	v_ashrrev_i32_e32 v11, 31, v10
	s_and_saveexec_b64 s[78:79], s[64:65]
	s_cbranch_execnz .LBB94_111
.LBB94_79:                              ;   in Loop: Header=BB94_47 Depth=1
	s_or_b64 exec, exec, s[78:79]
	s_and_saveexec_b64 s[64:65], vcc
	s_cbranch_execz .LBB94_46
	s_branch .LBB94_112
.LBB94_80:                              ;   in Loop: Header=BB94_47 Depth=1
	v_readlane_b32 s82, v40, 16
	s_nop 1
	v_mov_b32_e32 v2, s82
	ds_read_b32 v2, v2
	s_waitcnt lgkmcnt(0)
	v_add_u32_e32 v10, v2, v10
	s_or_b64 exec, exec, s[78:79]
	s_and_saveexec_b64 s[78:79], s[62:63]
	s_cbranch_execz .LBB94_49
.LBB94_81:                              ;   in Loop: Header=BB94_47 Depth=1
	v_readlane_b32 s82, v40, 17
	s_nop 1
	v_mov_b32_e32 v2, s82
	ds_read_b32 v2, v2
	s_waitcnt lgkmcnt(0)
	v_add_u32_e32 v10, v10, v2
	s_or_b64 exec, exec, s[78:79]
	s_and_saveexec_b64 s[78:79], s[0:1]
	s_cbranch_execz .LBB94_50
.LBB94_82:                              ;   in Loop: Header=BB94_47 Depth=1
	v_readlane_b32 s82, v40, 18
	s_nop 1
	v_mov_b32_e32 v2, s82
	ds_read_b32 v2, v2
	s_waitcnt lgkmcnt(0)
	v_add_u32_e32 v10, v10, v2
	s_or_b64 exec, exec, s[78:79]
	s_and_saveexec_b64 s[78:79], s[2:3]
	s_cbranch_execz .LBB94_51
.LBB94_83:                              ;   in Loop: Header=BB94_47 Depth=1
	v_readlane_b32 s82, v40, 19
	s_nop 1
	v_mov_b32_e32 v2, s82
	ds_read_b32 v2, v2
	s_waitcnt lgkmcnt(0)
	v_add_u32_e32 v10, v10, v2
	s_or_b64 exec, exec, s[78:79]
	s_and_saveexec_b64 s[78:79], s[4:5]
	s_cbranch_execz .LBB94_52
.LBB94_84:                              ;   in Loop: Header=BB94_47 Depth=1
	v_mov_b32_e32 v2, s81
	ds_read_b32 v2, v2
	s_waitcnt lgkmcnt(0)
	v_add_u32_e32 v10, v10, v2
	s_or_b64 exec, exec, s[78:79]
	s_and_saveexec_b64 s[78:79], s[6:7]
	s_cbranch_execz .LBB94_53
.LBB94_85:                              ;   in Loop: Header=BB94_47 Depth=1
	v_readlane_b32 s82, v40, 20
	s_nop 1
	v_mov_b32_e32 v2, s82
	ds_read_b32 v2, v2
	s_waitcnt lgkmcnt(0)
	v_add_u32_e32 v10, v10, v2
	s_or_b64 exec, exec, s[78:79]
	s_and_saveexec_b64 s[78:79], s[8:9]
	s_cbranch_execz .LBB94_54
.LBB94_86:                              ;   in Loop: Header=BB94_47 Depth=1
	v_mov_b32_e32 v2, s84
	ds_read_b32 v2, v2
	s_waitcnt lgkmcnt(0)
	v_add_u32_e32 v10, v10, v2
	s_or_b64 exec, exec, s[78:79]
	s_and_saveexec_b64 s[78:79], s[10:11]
	s_cbranch_execz .LBB94_55
.LBB94_87:                              ;   in Loop: Header=BB94_47 Depth=1
	v_mov_b32_e32 v2, s85
	ds_read_b32 v2, v2
	s_waitcnt lgkmcnt(0)
	v_add_u32_e32 v10, v10, v2
	s_or_b64 exec, exec, s[78:79]
	s_and_saveexec_b64 s[78:79], s[12:13]
	s_cbranch_execz .LBB94_56
.LBB94_88:                              ;   in Loop: Header=BB94_47 Depth=1
	v_mov_b32_e32 v2, s86
	ds_read_b32 v2, v2
	s_waitcnt lgkmcnt(0)
	v_add_u32_e32 v10, v10, v2
	s_or_b64 exec, exec, s[78:79]
	s_and_saveexec_b64 s[78:79], s[14:15]
	s_cbranch_execz .LBB94_57
.LBB94_89:                              ;   in Loop: Header=BB94_47 Depth=1
	v_mov_b32_e32 v2, s87
	ds_read_b32 v2, v2
	s_waitcnt lgkmcnt(0)
	v_add_u32_e32 v10, v10, v2
	s_or_b64 exec, exec, s[78:79]
	s_and_saveexec_b64 s[78:79], s[16:17]
	s_cbranch_execz .LBB94_58
.LBB94_90:                              ;   in Loop: Header=BB94_47 Depth=1
	v_mov_b32_e32 v2, s88
	ds_read_b32 v2, v2
	s_waitcnt lgkmcnt(0)
	v_add_u32_e32 v10, v10, v2
	s_or_b64 exec, exec, s[78:79]
	s_and_saveexec_b64 s[78:79], s[18:19]
	s_cbranch_execz .LBB94_59
.LBB94_91:                              ;   in Loop: Header=BB94_47 Depth=1
	v_mov_b32_e32 v2, s89
	ds_read_b32 v2, v2
	s_waitcnt lgkmcnt(0)
	v_add_u32_e32 v10, v10, v2
	s_or_b64 exec, exec, s[78:79]
	s_and_saveexec_b64 s[78:79], s[20:21]
	s_cbranch_execz .LBB94_60
.LBB94_92:                              ;   in Loop: Header=BB94_47 Depth=1
	v_mov_b32_e32 v2, s90
	ds_read_b32 v2, v2
	s_waitcnt lgkmcnt(0)
	v_add_u32_e32 v10, v10, v2
	s_or_b64 exec, exec, s[78:79]
	s_and_saveexec_b64 s[78:79], s[22:23]
	s_cbranch_execz .LBB94_61
.LBB94_93:                              ;   in Loop: Header=BB94_47 Depth=1
	v_mov_b32_e32 v2, s91
	ds_read_b32 v2, v2
	s_waitcnt lgkmcnt(0)
	v_add_u32_e32 v10, v10, v2
	s_or_b64 exec, exec, s[78:79]
	s_and_saveexec_b64 s[78:79], s[24:25]
	s_cbranch_execz .LBB94_62
.LBB94_94:                              ;   in Loop: Header=BB94_47 Depth=1
	v_mov_b32_e32 v2, s92
	ds_read_b32 v2, v2
	s_waitcnt lgkmcnt(0)
	v_add_u32_e32 v10, v10, v2
	s_or_b64 exec, exec, s[78:79]
	s_and_saveexec_b64 s[78:79], s[26:27]
	s_cbranch_execz .LBB94_63
.LBB94_95:                              ;   in Loop: Header=BB94_47 Depth=1
	v_mov_b32_e32 v2, s93
	ds_read_b32 v2, v2
	s_waitcnt lgkmcnt(0)
	v_add_u32_e32 v10, v10, v2
	s_or_b64 exec, exec, s[78:79]
	s_and_saveexec_b64 s[78:79], s[28:29]
	s_cbranch_execz .LBB94_64
.LBB94_96:                              ;   in Loop: Header=BB94_47 Depth=1
	v_mov_b32_e32 v2, s94
	ds_read_b32 v2, v2
	s_waitcnt lgkmcnt(0)
	v_add_u32_e32 v10, v10, v2
	s_or_b64 exec, exec, s[78:79]
	s_and_saveexec_b64 s[78:79], s[30:31]
	s_cbranch_execz .LBB94_65
.LBB94_97:                              ;   in Loop: Header=BB94_47 Depth=1
	v_mov_b32_e32 v2, s95
	ds_read_b32 v2, v2
	s_waitcnt lgkmcnt(0)
	v_add_u32_e32 v10, v10, v2
	s_or_b64 exec, exec, s[78:79]
	s_and_saveexec_b64 s[78:79], s[34:35]
	s_cbranch_execz .LBB94_66
.LBB94_98:                              ;   in Loop: Header=BB94_47 Depth=1
	v_mov_b32_e32 v2, s96
	ds_read_b32 v2, v2
	s_waitcnt lgkmcnt(0)
	v_add_u32_e32 v10, v10, v2
	s_or_b64 exec, exec, s[78:79]
	s_and_saveexec_b64 s[78:79], s[36:37]
	s_cbranch_execz .LBB94_67
.LBB94_99:                              ;   in Loop: Header=BB94_47 Depth=1
	v_mov_b32_e32 v2, s97
	ds_read_b32 v2, v2
	s_waitcnt lgkmcnt(0)
	v_add_u32_e32 v10, v10, v2
	s_or_b64 exec, exec, s[78:79]
	s_and_saveexec_b64 s[78:79], s[38:39]
	s_cbranch_execz .LBB94_68
.LBB94_100:                             ;   in Loop: Header=BB94_47 Depth=1
	v_mov_b32_e32 v2, s98
	ds_read_b32 v2, v2
	s_waitcnt lgkmcnt(0)
	v_add_u32_e32 v10, v10, v2
	s_or_b64 exec, exec, s[78:79]
	s_and_saveexec_b64 s[78:79], s[40:41]
	s_cbranch_execz .LBB94_69
.LBB94_101:                             ;   in Loop: Header=BB94_47 Depth=1
	v_mov_b32_e32 v2, s99
	ds_read_b32 v2, v2
	s_waitcnt lgkmcnt(0)
	v_add_u32_e32 v10, v10, v2
	s_or_b64 exec, exec, s[78:79]
	s_and_saveexec_b64 s[78:79], s[42:43]
	s_cbranch_execz .LBB94_70
.LBB94_102:                             ;   in Loop: Header=BB94_47 Depth=1
	v_mov_b32_e32 v2, s76
	ds_read_b32 v2, v2
	s_waitcnt lgkmcnt(0)
	v_add_u32_e32 v10, v10, v2
	s_or_b64 exec, exec, s[78:79]
	s_and_saveexec_b64 s[78:79], s[44:45]
	s_cbranch_execz .LBB94_71
.LBB94_103:                             ;   in Loop: Header=BB94_47 Depth=1
	v_mov_b32_e32 v2, s77
	ds_read_b32 v2, v2
	s_waitcnt lgkmcnt(0)
	v_add_u32_e32 v10, v10, v2
	s_or_b64 exec, exec, s[78:79]
	s_and_saveexec_b64 s[78:79], s[46:47]
	s_cbranch_execz .LBB94_72
.LBB94_104:                             ;   in Loop: Header=BB94_47 Depth=1
	v_mov_b32_e32 v2, s70
	ds_read_b32 v2, v2
	s_waitcnt lgkmcnt(0)
	v_add_u32_e32 v10, v10, v2
	s_or_b64 exec, exec, s[78:79]
	s_and_saveexec_b64 s[78:79], s[48:49]
	s_cbranch_execz .LBB94_73
.LBB94_105:                             ;   in Loop: Header=BB94_47 Depth=1
	v_mov_b32_e32 v2, s72
	ds_read_b32 v2, v2
	s_waitcnt lgkmcnt(0)
	v_add_u32_e32 v10, v10, v2
	s_or_b64 exec, exec, s[78:79]
	s_and_saveexec_b64 s[78:79], s[50:51]
	s_cbranch_execz .LBB94_74
.LBB94_106:                             ;   in Loop: Header=BB94_47 Depth=1
	v_mov_b32_e32 v2, s73
	ds_read_b32 v2, v2
	s_waitcnt lgkmcnt(0)
	v_add_u32_e32 v10, v10, v2
	s_or_b64 exec, exec, s[78:79]
	s_and_saveexec_b64 s[78:79], s[52:53]
	s_cbranch_execz .LBB94_75
.LBB94_107:                             ;   in Loop: Header=BB94_47 Depth=1
	v_mov_b32_e32 v2, s66
	ds_read_b32 v2, v2
	s_waitcnt lgkmcnt(0)
	v_add_u32_e32 v10, v10, v2
	s_or_b64 exec, exec, s[78:79]
	s_and_saveexec_b64 s[78:79], s[54:55]
	s_cbranch_execz .LBB94_76
.LBB94_108:                             ;   in Loop: Header=BB94_47 Depth=1
	v_mov_b32_e32 v2, s67
	ds_read_b32 v2, v2
	s_waitcnt lgkmcnt(0)
	v_add_u32_e32 v10, v10, v2
	s_or_b64 exec, exec, s[78:79]
	s_and_saveexec_b64 s[78:79], s[56:57]
	s_cbranch_execz .LBB94_77
.LBB94_109:                             ;   in Loop: Header=BB94_47 Depth=1
	v_mov_b32_e32 v2, s33
	ds_read_b32 v2, v2
	s_waitcnt lgkmcnt(0)
	v_add_u32_e32 v10, v10, v2
	s_or_b64 exec, exec, s[78:79]
	s_and_saveexec_b64 s[78:79], s[58:59]
	s_cbranch_execz .LBB94_78
.LBB94_110:                             ;   in Loop: Header=BB94_47 Depth=1
	v_mov_b32_e32 v2, s71
	ds_read_b32 v2, v2
	s_waitcnt lgkmcnt(0)
	v_add_u32_e32 v10, v10, v2
	s_or_b64 exec, exec, s[78:79]
	v_ashrrev_i32_e32 v11, 31, v10
	s_and_saveexec_b64 s[78:79], s[64:65]
	s_cbranch_execz .LBB94_79
.LBB94_111:                             ;   in Loop: Header=BB94_47 Depth=1
	v_add3_u32 v2, v6, -1, v10
	v_lshl_add_u32 v14, v2, 3, 0
	v_lshl_add_u32 v2, v2, 2, 0
	v_add_u32_e32 v2, 0x20000, v2
	ds_write_b64 v14, v[8:9]
	ds_write_b32 v2, v13
	s_or_b64 exec, exec, s[78:79]
	s_and_saveexec_b64 s[64:65], vcc
	s_cbranch_execz .LBB94_46
.LBB94_112:                             ;   in Loop: Header=BB94_47 Depth=1
	v_mov_b32_e32 v2, s80
	ds_write_b64 v2, v[10:11]
	s_branch .LBB94_46
.LBB94_113:
	s_or_b64 exec, exec, s[68:69]
	v_readlane_b32 s0, v40, 2
	v_readlane_b32 s4, v40, 4
	;; [unrolled: 1-line block ×7, first 2 shown]
	s_lshl_b64 s[0:1], s[0:1], 3
	s_mov_b64 s[6:7], s[10:11]
	v_readlane_b32 s5, v40, 5
	s_add_u32 s4, s6, s0
	s_addc_u32 s5, s7, s1
	s_load_dwordx4 s[0:3], s[4:5], 0x0
	v_mov_b32_e32 v1, 0
	v_readlane_b32 s8, v40, 8
	v_readlane_b32 s9, v40, 9
	s_waitcnt lgkmcnt(0)
	s_sub_u32 s4, s2, s0
	s_subb_u32 s5, s3, s1
	v_cmp_gt_i64_e32 vcc, s[4:5], v[0:1]
	s_and_saveexec_b64 s[6:7], vcc
	s_cbranch_execz .LBB94_123
; %bb.114:
	v_readlane_b32 s8, v40, 12
	v_readlane_b32 s10, v40, 14
	;; [unrolled: 1-line block ×3, first 2 shown]
	s_sub_u32 s8, s0, s10
	s_subb_u32 s9, s1, 0
	s_and_b32 s6, s4, 7
	s_sub_u32 s0, s0, s2
	s_mov_b32 s7, 0
	s_subb_u32 s1, s1, s3
	s_and_b32 s10, s4, -8
	s_cmp_lg_u64 s[6:7], 0
	v_cmp_lt_u64_e64 s[0:1], s[0:1], -7
	s_cselect_b64 s[2:3], -1, 0
	v_readlane_b32 s11, v40, 15
	v_cndmask_b32_e64 v2, 0, 1, s[0:1]
	v_cmp_ne_u32_e64 s[0:1], 1, v2
	v_cndmask_b32_e64 v2, 0, 1, s[2:3]
	s_mov_b32 s11, s5
	s_mov_b64 s[12:13], 0
	v_cmp_ne_u32_e64 s[2:3], 1, v2
	s_mov_b64 s[14:15], 0x400
	s_branch .LBB94_116
.LBB94_115:                             ;   in Loop: Header=BB94_116 Depth=1
	v_readlane_b32 s16, v40, 0
	v_lshl_add_u64 v[0:1], v[0:1], 0, s[14:15]
	v_readlane_b32 s17, v40, 1
	v_cmp_le_i64_e32 vcc, s[4:5], v[0:1]
	s_or_b64 s[12:13], vcc, s[12:13]
	s_waitcnt lgkmcnt(1)
	v_lshl_add_u64 v[2:3], v[4:5], 2, s[16:17]
	s_waitcnt lgkmcnt(0)
	global_store_dword v[2:3], v6, off
	s_andn2_b64 exec, exec, s[12:13]
	s_cbranch_execz .LBB94_123
.LBB94_116:                             ; =>This Loop Header: Depth=1
                                        ;     Child Loop BB94_118 Depth 2
                                        ;     Child Loop BB94_122 Depth 2
	v_lshl_add_u32 v2, v0, 3, 0
	v_lshl_add_u32 v3, v0, 2, 0
	v_add_u32_e32 v4, 0x20000, v3
	ds_read_b64 v[2:3], v2
	ds_read_b32 v6, v4
	s_and_b64 vcc, exec, s[0:1]
	v_mov_b64_e32 v[4:5], s[8:9]
	s_mov_b64 s[16:17], 0
	s_cbranch_vccnz .LBB94_120
; %bb.117:                              ;   in Loop: Header=BB94_116 Depth=1
	s_mov_b32 s18, 0
	v_mov_b64_e32 v[4:5], s[8:9]
.LBB94_118:                             ;   Parent Loop BB94_116 Depth=1
                                        ; =>  This Inner Loop Header: Depth=2
	v_mov_b32_e32 v7, s18
	ds_read2_b64 v[8:11], v7 offset1:1
	ds_read2_b64 v[12:15], v7 offset0:2 offset1:3
	ds_read2_b64 v[16:19], v7 offset0:4 offset1:5
	;; [unrolled: 1-line block ×3, first 2 shown]
	v_mov_b32_e32 v25, s7
	s_waitcnt lgkmcnt(3)
	v_cmp_gt_i64_e32 vcc, v[2:3], v[8:9]
	v_mov_b32_e32 v27, s7
	v_mov_b32_e32 v29, s7
	v_cndmask_b32_e64 v24, 0, 1, vcc
	v_cmp_gt_i64_e32 vcc, v[2:3], v[10:11]
	v_lshl_add_u64 v[4:5], v[4:5], 0, v[24:25]
	v_mov_b32_e32 v31, s7
	v_cndmask_b32_e64 v26, 0, 1, vcc
	s_waitcnt lgkmcnt(2)
	v_cmp_gt_i64_e32 vcc, v[2:3], v[12:13]
	v_lshl_add_u64 v[4:5], v[4:5], 0, v[26:27]
	v_mov_b32_e32 v33, s7
	v_cndmask_b32_e64 v28, 0, 1, vcc
	v_cmp_gt_i64_e32 vcc, v[2:3], v[14:15]
	v_lshl_add_u64 v[4:5], v[4:5], 0, v[28:29]
	v_mov_b32_e32 v35, s7
	v_cndmask_b32_e64 v30, 0, 1, vcc
	s_waitcnt lgkmcnt(1)
	v_cmp_gt_i64_e32 vcc, v[2:3], v[16:17]
	v_lshl_add_u64 v[4:5], v[4:5], 0, v[30:31]
	v_mov_b32_e32 v37, s7
	v_cndmask_b32_e64 v32, 0, 1, vcc
	v_cmp_gt_i64_e32 vcc, v[2:3], v[18:19]
	v_lshl_add_u64 v[4:5], v[4:5], 0, v[32:33]
	s_add_u32 s16, s16, 8
	v_cndmask_b32_e64 v34, 0, 1, vcc
	s_waitcnt lgkmcnt(0)
	v_cmp_gt_i64_e32 vcc, v[2:3], v[20:21]
	v_lshl_add_u64 v[4:5], v[4:5], 0, v[34:35]
	v_mov_b32_e32 v39, s7
	v_cndmask_b32_e64 v36, 0, 1, vcc
	v_cmp_gt_i64_e32 vcc, v[2:3], v[22:23]
	s_addc_u32 s17, s17, 0
	s_add_i32 s18, s18, 64
	v_cndmask_b32_e64 v38, 0, 1, vcc
	v_lshl_add_u64 v[4:5], v[4:5], 0, v[36:37]
	s_cmp_eq_u64 s[10:11], s[16:17]
	v_lshl_add_u64 v[4:5], v[4:5], 0, v[38:39]
	s_cbranch_scc0 .LBB94_118
; %bb.119:                              ;   in Loop: Header=BB94_116 Depth=1
	s_mov_b64 s[16:17], s[10:11]
.LBB94_120:                             ;   in Loop: Header=BB94_116 Depth=1
	s_and_b64 vcc, exec, s[2:3]
	s_cbranch_vccnz .LBB94_115
; %bb.121:                              ;   in Loop: Header=BB94_116 Depth=1
	s_lshl_b32 s16, s16, 3
	s_add_i32 s18, s16, 0
	s_mov_b64 s[16:17], s[6:7]
.LBB94_122:                             ;   Parent Loop BB94_116 Depth=1
                                        ; =>  This Inner Loop Header: Depth=2
	v_mov_b32_e32 v7, s18
	ds_read_b64 v[10:11], v7
	s_add_i32 s18, s18, 8
	s_add_u32 s16, s16, -1
	v_mov_b32_e32 v9, s7
	s_addc_u32 s17, s17, -1
	s_waitcnt lgkmcnt(0)
	v_cmp_gt_i64_e32 vcc, v[2:3], v[10:11]
	s_cmp_lg_u64 s[16:17], 0
	s_nop 0
	v_cndmask_b32_e64 v8, 0, 1, vcc
	v_lshl_add_u64 v[4:5], v[4:5], 0, v[8:9]
	s_cbranch_scc1 .LBB94_122
	s_branch .LBB94_115
.LBB94_123:
	s_endpgm
	.section	.rodata,"a",@progbits
	.p2align	6, 0x0
	.amdhsa_kernel _ZN9rocsparseL41csrgemm_numeric_fill_block_per_row_kernelILj1024ELj64ELj16384ELj137ELj32EllfEEvT5_PKS1_S3_NS_24const_host_device_scalarIT6_EEPKT4_S3_PKS5_S9_S3_SB_S6_S9_S3_SB_S9_S3_PS5_21rocsparse_index_base_SD_SD_SD_bbb
		.amdhsa_group_segment_fixed_size 0
		.amdhsa_private_segment_fixed_size 0
		.amdhsa_kernarg_size 156
		.amdhsa_user_sgpr_count 2
		.amdhsa_user_sgpr_dispatch_ptr 0
		.amdhsa_user_sgpr_queue_ptr 0
		.amdhsa_user_sgpr_kernarg_segment_ptr 1
		.amdhsa_user_sgpr_dispatch_id 0
		.amdhsa_user_sgpr_kernarg_preload_length 0
		.amdhsa_user_sgpr_kernarg_preload_offset 0
		.amdhsa_user_sgpr_private_segment_size 0
		.amdhsa_uses_dynamic_stack 0
		.amdhsa_enable_private_segment 0
		.amdhsa_system_sgpr_workgroup_id_x 1
		.amdhsa_system_sgpr_workgroup_id_y 0
		.amdhsa_system_sgpr_workgroup_id_z 0
		.amdhsa_system_sgpr_workgroup_info 0
		.amdhsa_system_vgpr_workitem_id 0
		.amdhsa_next_free_vgpr 41
		.amdhsa_next_free_sgpr 100
		.amdhsa_accum_offset 44
		.amdhsa_reserve_vcc 1
		.amdhsa_float_round_mode_32 0
		.amdhsa_float_round_mode_16_64 0
		.amdhsa_float_denorm_mode_32 3
		.amdhsa_float_denorm_mode_16_64 3
		.amdhsa_dx10_clamp 1
		.amdhsa_ieee_mode 1
		.amdhsa_fp16_overflow 0
		.amdhsa_tg_split 0
		.amdhsa_exception_fp_ieee_invalid_op 0
		.amdhsa_exception_fp_denorm_src 0
		.amdhsa_exception_fp_ieee_div_zero 0
		.amdhsa_exception_fp_ieee_overflow 0
		.amdhsa_exception_fp_ieee_underflow 0
		.amdhsa_exception_fp_ieee_inexact 0
		.amdhsa_exception_int_div_zero 0
	.end_amdhsa_kernel
	.section	.text._ZN9rocsparseL41csrgemm_numeric_fill_block_per_row_kernelILj1024ELj64ELj16384ELj137ELj32EllfEEvT5_PKS1_S3_NS_24const_host_device_scalarIT6_EEPKT4_S3_PKS5_S9_S3_SB_S6_S9_S3_SB_S9_S3_PS5_21rocsparse_index_base_SD_SD_SD_bbb,"axG",@progbits,_ZN9rocsparseL41csrgemm_numeric_fill_block_per_row_kernelILj1024ELj64ELj16384ELj137ELj32EllfEEvT5_PKS1_S3_NS_24const_host_device_scalarIT6_EEPKT4_S3_PKS5_S9_S3_SB_S6_S9_S3_SB_S9_S3_PS5_21rocsparse_index_base_SD_SD_SD_bbb,comdat
.Lfunc_end94:
	.size	_ZN9rocsparseL41csrgemm_numeric_fill_block_per_row_kernelILj1024ELj64ELj16384ELj137ELj32EllfEEvT5_PKS1_S3_NS_24const_host_device_scalarIT6_EEPKT4_S3_PKS5_S9_S3_SB_S6_S9_S3_SB_S9_S3_PS5_21rocsparse_index_base_SD_SD_SD_bbb, .Lfunc_end94-_ZN9rocsparseL41csrgemm_numeric_fill_block_per_row_kernelILj1024ELj64ELj16384ELj137ELj32EllfEEvT5_PKS1_S3_NS_24const_host_device_scalarIT6_EEPKT4_S3_PKS5_S9_S3_SB_S6_S9_S3_SB_S9_S3_PS5_21rocsparse_index_base_SD_SD_SD_bbb
                                        ; -- End function
	.set _ZN9rocsparseL41csrgemm_numeric_fill_block_per_row_kernelILj1024ELj64ELj16384ELj137ELj32EllfEEvT5_PKS1_S3_NS_24const_host_device_scalarIT6_EEPKT4_S3_PKS5_S9_S3_SB_S6_S9_S3_SB_S9_S3_PS5_21rocsparse_index_base_SD_SD_SD_bbb.num_vgpr, 41
	.set _ZN9rocsparseL41csrgemm_numeric_fill_block_per_row_kernelILj1024ELj64ELj16384ELj137ELj32EllfEEvT5_PKS1_S3_NS_24const_host_device_scalarIT6_EEPKT4_S3_PKS5_S9_S3_SB_S6_S9_S3_SB_S9_S3_PS5_21rocsparse_index_base_SD_SD_SD_bbb.num_agpr, 0
	.set _ZN9rocsparseL41csrgemm_numeric_fill_block_per_row_kernelILj1024ELj64ELj16384ELj137ELj32EllfEEvT5_PKS1_S3_NS_24const_host_device_scalarIT6_EEPKT4_S3_PKS5_S9_S3_SB_S6_S9_S3_SB_S9_S3_PS5_21rocsparse_index_base_SD_SD_SD_bbb.numbered_sgpr, 100
	.set _ZN9rocsparseL41csrgemm_numeric_fill_block_per_row_kernelILj1024ELj64ELj16384ELj137ELj32EllfEEvT5_PKS1_S3_NS_24const_host_device_scalarIT6_EEPKT4_S3_PKS5_S9_S3_SB_S6_S9_S3_SB_S9_S3_PS5_21rocsparse_index_base_SD_SD_SD_bbb.num_named_barrier, 0
	.set _ZN9rocsparseL41csrgemm_numeric_fill_block_per_row_kernelILj1024ELj64ELj16384ELj137ELj32EllfEEvT5_PKS1_S3_NS_24const_host_device_scalarIT6_EEPKT4_S3_PKS5_S9_S3_SB_S6_S9_S3_SB_S9_S3_PS5_21rocsparse_index_base_SD_SD_SD_bbb.private_seg_size, 0
	.set _ZN9rocsparseL41csrgemm_numeric_fill_block_per_row_kernelILj1024ELj64ELj16384ELj137ELj32EllfEEvT5_PKS1_S3_NS_24const_host_device_scalarIT6_EEPKT4_S3_PKS5_S9_S3_SB_S6_S9_S3_SB_S9_S3_PS5_21rocsparse_index_base_SD_SD_SD_bbb.uses_vcc, 1
	.set _ZN9rocsparseL41csrgemm_numeric_fill_block_per_row_kernelILj1024ELj64ELj16384ELj137ELj32EllfEEvT5_PKS1_S3_NS_24const_host_device_scalarIT6_EEPKT4_S3_PKS5_S9_S3_SB_S6_S9_S3_SB_S9_S3_PS5_21rocsparse_index_base_SD_SD_SD_bbb.uses_flat_scratch, 0
	.set _ZN9rocsparseL41csrgemm_numeric_fill_block_per_row_kernelILj1024ELj64ELj16384ELj137ELj32EllfEEvT5_PKS1_S3_NS_24const_host_device_scalarIT6_EEPKT4_S3_PKS5_S9_S3_SB_S6_S9_S3_SB_S9_S3_PS5_21rocsparse_index_base_SD_SD_SD_bbb.has_dyn_sized_stack, 0
	.set _ZN9rocsparseL41csrgemm_numeric_fill_block_per_row_kernelILj1024ELj64ELj16384ELj137ELj32EllfEEvT5_PKS1_S3_NS_24const_host_device_scalarIT6_EEPKT4_S3_PKS5_S9_S3_SB_S6_S9_S3_SB_S9_S3_PS5_21rocsparse_index_base_SD_SD_SD_bbb.has_recursion, 0
	.set _ZN9rocsparseL41csrgemm_numeric_fill_block_per_row_kernelILj1024ELj64ELj16384ELj137ELj32EllfEEvT5_PKS1_S3_NS_24const_host_device_scalarIT6_EEPKT4_S3_PKS5_S9_S3_SB_S6_S9_S3_SB_S9_S3_PS5_21rocsparse_index_base_SD_SD_SD_bbb.has_indirect_call, 0
	.section	.AMDGPU.csdata,"",@progbits
; Kernel info:
; codeLenInByte = 4784
; TotalNumSgprs: 106
; NumVgprs: 41
; NumAgprs: 0
; TotalNumVgprs: 41
; ScratchSize: 0
; MemoryBound: 0
; FloatMode: 240
; IeeeMode: 1
; LDSByteSize: 0 bytes/workgroup (compile time only)
; SGPRBlocks: 13
; VGPRBlocks: 5
; NumSGPRsForWavesPerEU: 106
; NumVGPRsForWavesPerEU: 41
; AccumOffset: 44
; Occupancy: 7
; WaveLimiterHint : 1
; COMPUTE_PGM_RSRC2:SCRATCH_EN: 0
; COMPUTE_PGM_RSRC2:USER_SGPR: 2
; COMPUTE_PGM_RSRC2:TRAP_HANDLER: 0
; COMPUTE_PGM_RSRC2:TGID_X_EN: 1
; COMPUTE_PGM_RSRC2:TGID_Y_EN: 0
; COMPUTE_PGM_RSRC2:TGID_Z_EN: 0
; COMPUTE_PGM_RSRC2:TIDIG_COMP_CNT: 0
; COMPUTE_PGM_RSRC3_GFX90A:ACCUM_OFFSET: 10
; COMPUTE_PGM_RSRC3_GFX90A:TG_SPLIT: 0
	.section	.text._ZN9rocsparseL41csrgemm_numeric_fill_block_per_row_kernelILj1024ELj64ELj16384ELj137ELj64EllfEEvT5_PKS1_S3_NS_24const_host_device_scalarIT6_EEPKT4_S3_PKS5_S9_S3_SB_S6_S9_S3_SB_S9_S3_PS5_21rocsparse_index_base_SD_SD_SD_bbb,"axG",@progbits,_ZN9rocsparseL41csrgemm_numeric_fill_block_per_row_kernelILj1024ELj64ELj16384ELj137ELj64EllfEEvT5_PKS1_S3_NS_24const_host_device_scalarIT6_EEPKT4_S3_PKS5_S9_S3_SB_S6_S9_S3_SB_S9_S3_PS5_21rocsparse_index_base_SD_SD_SD_bbb,comdat
	.globl	_ZN9rocsparseL41csrgemm_numeric_fill_block_per_row_kernelILj1024ELj64ELj16384ELj137ELj64EllfEEvT5_PKS1_S3_NS_24const_host_device_scalarIT6_EEPKT4_S3_PKS5_S9_S3_SB_S6_S9_S3_SB_S9_S3_PS5_21rocsparse_index_base_SD_SD_SD_bbb ; -- Begin function _ZN9rocsparseL41csrgemm_numeric_fill_block_per_row_kernelILj1024ELj64ELj16384ELj137ELj64EllfEEvT5_PKS1_S3_NS_24const_host_device_scalarIT6_EEPKT4_S3_PKS5_S9_S3_SB_S6_S9_S3_SB_S9_S3_PS5_21rocsparse_index_base_SD_SD_SD_bbb
	.p2align	8
	.type	_ZN9rocsparseL41csrgemm_numeric_fill_block_per_row_kernelILj1024ELj64ELj16384ELj137ELj64EllfEEvT5_PKS1_S3_NS_24const_host_device_scalarIT6_EEPKT4_S3_PKS5_S9_S3_SB_S6_S9_S3_SB_S9_S3_PS5_21rocsparse_index_base_SD_SD_SD_bbb,@function
_ZN9rocsparseL41csrgemm_numeric_fill_block_per_row_kernelILj1024ELj64ELj16384ELj137ELj64EllfEEvT5_PKS1_S3_NS_24const_host_device_scalarIT6_EEPKT4_S3_PKS5_S9_S3_SB_S6_S9_S3_SB_S9_S3_PS5_21rocsparse_index_base_SD_SD_SD_bbb: ; @_ZN9rocsparseL41csrgemm_numeric_fill_block_per_row_kernelILj1024ELj64ELj16384ELj137ELj64EllfEEvT5_PKS1_S3_NS_24const_host_device_scalarIT6_EEPKT4_S3_PKS5_S9_S3_SB_S6_S9_S3_SB_S9_S3_PS5_21rocsparse_index_base_SD_SD_SD_bbb
; %bb.0:
	s_load_dword s3, s[0:1], 0x98
	s_load_dwordx4 s[44:47], s[0:1], 0x88
	s_load_dwordx2 s[6:7], s[0:1], 0x18
	s_load_dwordx2 s[24:25], s[0:1], 0x50
	s_waitcnt lgkmcnt(0)
	s_bitcmp1_b32 s3, 0
	s_cselect_b64 s[4:5], -1, 0
	s_bitcmp1_b32 s3, 16
	s_cselect_b64 s[26:27], -1, 0
	s_xor_b64 s[8:9], s[4:5], -1
	s_or_b64 s[8:9], s[26:27], s[8:9]
	s_and_b64 vcc, exec, s[8:9]
	s_cbranch_vccnz .LBB95_2
; %bb.1:
	s_load_dword s6, s[6:7], 0x0
	s_waitcnt lgkmcnt(0)
	v_mov_b32_e32 v22, s6
	s_branch .LBB95_3
.LBB95_2:
	v_mov_b32_e32 v1, s6
	v_cndmask_b32_e64 v22, 0, v1, s[4:5]
.LBB95_3:
	s_load_dwordx2 s[34:35], s[0:1], 0x80
	s_load_dwordx8 s[36:43], s[0:1], 0x58
	s_load_dwordx4 s[16:19], s[0:1], 0x40
	s_load_dwordx4 s[20:23], s[0:1], 0x8
	s_load_dwordx8 s[8:15], s[0:1], 0x20
	s_bitcmp1_b32 s3, 8
	s_cselect_b64 s[6:7], -1, 0
	s_xor_b64 s[28:29], s[6:7], -1
	s_or_b64 s[26:27], s[26:27], s[28:29]
	s_and_b64 vcc, exec, s[26:27]
	s_cbranch_vccnz .LBB95_5
; %bb.4:
	s_load_dword s3, s[24:25], 0x0
	s_waitcnt lgkmcnt(0)
	v_mov_b32_e32 v20, s3
	s_branch .LBB95_6
.LBB95_5:
	v_mov_b32_e32 v1, s24
	v_cndmask_b32_e64 v20, 0, v1, s[6:7]
.LBB95_6:
	s_load_dwordx2 s[48:49], s[0:1], 0x0
	v_lshl_add_u32 v2, v0, 2, 0
	v_or_b32_e32 v1, 0xfffffc00, v0
	v_add_u32_e32 v18, 0x20000, v2
	v_lshl_add_u32 v19, v0, 3, 0
	s_mov_b64 s[0:1], 0
	s_waitcnt lgkmcnt(0)
	v_mov_b64_e32 v[6:7], s[48:49]
	v_mov_b32_e32 v2, 0
	s_movk_i32 s3, 0x3bff
	v_mov_b32_e32 v3, v19
	v_mov_b32_e32 v4, v18
	v_mov_b32_e32 v5, v1
.LBB95_7:                               ; =>This Inner Loop Header: Depth=1
	v_add_u32_e32 v5, 0x400, v5
	v_cmp_lt_u32_e32 vcc, s3, v5
	ds_write_b64 v3, v[6:7]
	ds_write_b32 v4, v2
	v_add_u32_e32 v4, 0x1000, v4
	s_or_b64 s[0:1], vcc, s[0:1]
	v_add_u32_e32 v3, 0x2000, v3
	s_andn2_b64 exec, exec, s[0:1]
	s_cbranch_execnz .LBB95_7
; %bb.8:
	s_or_b64 exec, exec, s[0:1]
	s_waitcnt lgkmcnt(0)
	s_barrier
	s_load_dwordx2 s[0:1], s[20:21], 0x0
	s_mov_b32 s3, 0
	v_lshrrev_b32_e32 v21, 6, v0
	s_waitcnt lgkmcnt(0)
	s_lshl_b64 s[0:1], s[0:1], 3
	s_add_u32 s20, s22, s0
	s_addc_u32 s21, s23, s1
	s_lshl_b64 s[0:1], s[2:3], 3
	s_add_u32 s0, s20, s0
	s_addc_u32 s1, s21, s1
	s_load_dwordx2 s[50:51], s[0:1], 0x0
	s_and_b64 vcc, exec, s[4:5]
	s_cbranch_vccz .LBB95_28
; %bb.9:
	s_waitcnt lgkmcnt(0)
	s_lshl_b64 s[0:1], s[50:51], 3
	s_add_u32 s0, s8, s0
	s_addc_u32 s1, s9, s1
	s_load_dwordx4 s[20:23], s[0:1], 0x0
	v_subrev_co_u32_e32 v2, vcc, s44, v21
	s_nop 1
	v_subb_co_u32_e64 v3, s[0:1], 0, 0, vcc
	s_waitcnt lgkmcnt(0)
	s_sub_u32 s0, s22, s44
	s_subb_u32 s1, s23, 0
	v_lshl_add_u64 v[2:3], s[20:21], 0, v[2:3]
	v_cmp_gt_i64_e32 vcc, s[0:1], v[2:3]
	s_and_saveexec_b64 s[2:3], vcc
	s_cbranch_execz .LBB95_27
; %bb.10:
	v_and_b32_e32 v4, 63, v0
	v_subrev_co_u32_e32 v4, vcc, s45, v4
	s_mov_b32 s33, s45
	s_nop 0
	v_subb_co_u32_e64 v5, s[4:5], 0, 0, vcc
	s_mov_b64 s[4:5], 0
	s_movk_i32 s45, 0x89
	s_branch .LBB95_12
.LBB95_11:                              ;   in Loop: Header=BB95_12 Depth=1
	s_or_b64 exec, exec, s[8:9]
	v_lshl_add_u64 v[2:3], v[2:3], 0, 16
	v_cmp_le_i64_e32 vcc, s[0:1], v[2:3]
	s_or_b64 s[4:5], vcc, s[4:5]
	s_andn2_b64 exec, exec, s[4:5]
	s_cbranch_execz .LBB95_27
.LBB95_12:                              ; =>This Loop Header: Depth=1
                                        ;     Child Loop BB95_16 Depth 2
                                        ;       Child Loop BB95_19 Depth 3
	v_lshl_add_u64 v[6:7], v[2:3], 3, s[10:11]
	global_load_dwordx2 v[6:7], v[6:7], off
	s_waitcnt vmcnt(0)
	v_subrev_co_u32_e32 v6, vcc, s44, v6
	s_nop 1
	v_subbrev_co_u32_e32 v7, vcc, 0, v7, vcc
	v_lshl_add_u64 v[6:7], v[6:7], 3, s[14:15]
	global_load_dwordx4 v[8:11], v[6:7], off
	s_waitcnt vmcnt(0)
	v_subrev_co_u32_e32 v6, vcc, s33, v10
	s_nop 1
	v_subbrev_co_u32_e32 v7, vcc, 0, v11, vcc
	v_lshl_add_u64 v[8:9], v[8:9], 0, v[4:5]
	v_cmp_lt_i64_e32 vcc, v[8:9], v[6:7]
	s_and_saveexec_b64 s[8:9], vcc
	s_cbranch_execz .LBB95_11
; %bb.13:                               ;   in Loop: Header=BB95_12 Depth=1
	v_lshl_add_u64 v[10:11], v[2:3], 2, s[12:13]
	global_load_dword v10, v[10:11], off
	s_mov_b64 s[20:21], 0
	s_waitcnt vmcnt(0)
	v_mul_f32_e32 v23, v22, v10
	s_branch .LBB95_16
.LBB95_14:                              ;   in Loop: Header=BB95_16 Depth=2
	s_or_b64 exec, exec, s[24:25]
.LBB95_15:                              ;   in Loop: Header=BB95_16 Depth=2
	s_or_b64 exec, exec, s[22:23]
	v_lshl_add_u32 v11, v12, 2, 0
	s_waitcnt vmcnt(0)
	v_mul_f32_e32 v10, v23, v24
	v_add_u32_e32 v11, 0x20000, v11
	ds_add_f32 v11, v10
	v_lshl_add_u64 v[8:9], v[8:9], 0, 64
	v_cmp_ge_i64_e32 vcc, v[8:9], v[6:7]
	s_or_b64 s[20:21], vcc, s[20:21]
	s_andn2_b64 exec, exec, s[20:21]
	s_cbranch_execz .LBB95_11
.LBB95_16:                              ;   Parent Loop BB95_12 Depth=1
                                        ; =>  This Loop Header: Depth=2
                                        ;       Child Loop BB95_19 Depth 3
	v_lshl_add_u64 v[10:11], v[8:9], 3, s[16:17]
	global_load_dwordx2 v[10:11], v[10:11], off
	v_lshl_add_u64 v[12:13], v[8:9], 2, s[18:19]
	global_load_dword v24, v[12:13], off
	s_waitcnt vmcnt(1)
	v_subrev_co_u32_e32 v10, vcc, s33, v10
	v_mul_lo_u32 v12, v10, s45
	v_and_b32_e32 v12, 0x3fff, v12
	v_lshl_add_u32 v25, v12, 3, 0
	ds_read_b64 v[16:17], v25
	v_subbrev_co_u32_e32 v11, vcc, 0, v11, vcc
	s_waitcnt lgkmcnt(0)
	v_cmp_ne_u64_e32 vcc, v[16:17], v[10:11]
	s_and_saveexec_b64 s[22:23], vcc
	s_cbranch_execz .LBB95_15
; %bb.17:                               ;   in Loop: Header=BB95_16 Depth=2
	s_mov_b64 s[24:25], 0
                                        ; implicit-def: $sgpr26_sgpr27
                                        ; implicit-def: $sgpr28_sgpr29
	s_branch .LBB95_19
.LBB95_18:                              ;   in Loop: Header=BB95_19 Depth=3
	s_or_b64 exec, exec, s[54:55]
	s_and_b64 s[30:31], exec, s[52:53]
	s_or_b64 s[24:25], s[30:31], s[24:25]
	s_andn2_b64 s[26:27], s[26:27], exec
	s_and_b64 s[30:31], s[28:29], exec
	s_or_b64 s[26:27], s[26:27], s[30:31]
	s_andn2_b64 exec, exec, s[24:25]
	s_cbranch_execz .LBB95_25
.LBB95_19:                              ;   Parent Loop BB95_12 Depth=1
                                        ;     Parent Loop BB95_16 Depth=2
                                        ; =>    This Inner Loop Header: Depth=3
	v_mov_b64_e32 v[14:15], v[12:13]
	v_cmp_ne_u64_e32 vcc, s[48:49], v[16:17]
	s_mov_b64 s[30:31], 0
                                        ; implicit-def: $vgpr12_vgpr13
	s_and_saveexec_b64 s[52:53], vcc
	s_xor_b64 s[52:53], exec, s[52:53]
; %bb.20:                               ;   in Loop: Header=BB95_19 Depth=3
	v_add_u32_e32 v12, 1, v14
	s_mov_b64 s[30:31], exec
	v_and_b32_e32 v12, 0x3fff, v12
                                        ; implicit-def: $vgpr25
; %bb.21:                               ;   in Loop: Header=BB95_19 Depth=3
	s_andn2_saveexec_b64 s[52:53], s[52:53]
	s_cbranch_execz .LBB95_23
; %bb.22:                               ;   in Loop: Header=BB95_19 Depth=3
	v_mov_b64_e32 v[12:13], s[48:49]
	ds_cmpst_rtn_b64 v[12:13], v25, v[12:13], v[10:11]
	s_andn2_b64 s[30:31], s[30:31], exec
	s_waitcnt lgkmcnt(0)
	v_cmp_ne_u64_e32 vcc, s[48:49], v[12:13]
	s_and_b64 s[54:55], vcc, exec
	s_or_b64 s[30:31], s[30:31], s[54:55]
	v_mov_b64_e32 v[12:13], v[14:15]
.LBB95_23:                              ;   in Loop: Header=BB95_19 Depth=3
	s_or_b64 exec, exec, s[52:53]
	s_mov_b64 s[52:53], -1
	s_or_b64 s[28:29], s[28:29], exec
                                        ; implicit-def: $vgpr25
                                        ; implicit-def: $vgpr16_vgpr17
	s_and_saveexec_b64 s[54:55], s[30:31]
	s_cbranch_execz .LBB95_18
; %bb.24:                               ;   in Loop: Header=BB95_19 Depth=3
	v_lshl_add_u32 v25, v12, 3, 0
	ds_read_b64 v[16:17], v25
	s_andn2_b64 s[28:29], s[28:29], exec
	s_waitcnt lgkmcnt(0)
	v_cmp_eq_u64_e32 vcc, v[16:17], v[10:11]
	s_orn2_b64 s[52:53], vcc, exec
	s_branch .LBB95_18
.LBB95_25:                              ;   in Loop: Header=BB95_16 Depth=2
	s_or_b64 exec, exec, s[24:25]
	s_and_saveexec_b64 s[24:25], s[26:27]
	s_xor_b64 s[24:25], exec, s[24:25]
	s_cbranch_execz .LBB95_14
; %bb.26:                               ;   in Loop: Header=BB95_16 Depth=2
	v_mov_b32_e32 v12, v14
	s_branch .LBB95_14
.LBB95_27:
	s_or_b64 exec, exec, s[2:3]
.LBB95_28:
	s_andn2_b64 vcc, exec, s[6:7]
	s_cbranch_vccnz .LBB95_45
; %bb.29:
	s_waitcnt lgkmcnt(0)
	s_lshl_b64 s[0:1], s[50:51], 3
	s_add_u32 s0, s36, s0
	s_addc_u32 s1, s37, s1
	s_load_dwordx4 s[4:7], s[0:1], 0x0
	v_subrev_co_u32_e32 v2, vcc, s47, v0
	s_waitcnt lgkmcnt(0)
	s_sub_u32 s0, s6, s47
	v_subb_co_u32_e64 v3, s[2:3], 0, 0, vcc
	s_subb_u32 s1, s7, 0
	v_lshl_add_u64 v[2:3], s[4:5], 0, v[2:3]
	v_cmp_gt_i64_e32 vcc, s[0:1], v[2:3]
	s_and_saveexec_b64 s[2:3], vcc
	s_cbranch_execz .LBB95_44
; %bb.30:
	s_mov_b32 s22, s47
	s_mov_b64 s[4:5], 0
	s_movk_i32 s23, 0x89
	s_mov_b64 s[6:7], 0x400
	s_branch .LBB95_33
.LBB95_31:                              ;   in Loop: Header=BB95_33 Depth=1
	s_or_b64 exec, exec, s[10:11]
.LBB95_32:                              ;   in Loop: Header=BB95_33 Depth=1
	s_or_b64 exec, exec, s[8:9]
	v_lshl_add_u32 v5, v6, 2, 0
	s_waitcnt vmcnt(0)
	v_mul_f32_e32 v4, v20, v12
	v_add_u32_e32 v5, 0x20000, v5
	ds_add_f32 v5, v4
	v_lshl_add_u64 v[2:3], v[2:3], 0, s[6:7]
	v_cmp_le_i64_e32 vcc, s[0:1], v[2:3]
	s_or_b64 s[4:5], vcc, s[4:5]
	s_andn2_b64 exec, exec, s[4:5]
	s_cbranch_execz .LBB95_44
.LBB95_33:                              ; =>This Loop Header: Depth=1
                                        ;     Child Loop BB95_36 Depth 2
	v_lshl_add_u64 v[4:5], v[2:3], 3, s[38:39]
	global_load_dwordx2 v[4:5], v[4:5], off
	v_lshl_add_u64 v[6:7], v[2:3], 2, s[40:41]
	global_load_dword v12, v[6:7], off
	s_waitcnt vmcnt(1)
	v_subrev_co_u32_e32 v4, vcc, s22, v4
	v_mul_lo_u32 v6, v4, s23
	v_and_b32_e32 v6, 0x3fff, v6
	v_lshl_add_u32 v13, v6, 3, 0
	ds_read_b64 v[10:11], v13
	v_subbrev_co_u32_e32 v5, vcc, 0, v5, vcc
	s_waitcnt lgkmcnt(0)
	v_cmp_ne_u64_e32 vcc, v[10:11], v[4:5]
	s_and_saveexec_b64 s[8:9], vcc
	s_cbranch_execz .LBB95_32
; %bb.34:                               ;   in Loop: Header=BB95_33 Depth=1
	s_mov_b64 s[10:11], 0
                                        ; implicit-def: $sgpr12_sgpr13
                                        ; implicit-def: $sgpr14_sgpr15
	s_branch .LBB95_36
.LBB95_35:                              ;   in Loop: Header=BB95_36 Depth=2
	s_or_b64 exec, exec, s[20:21]
	s_and_b64 s[16:17], exec, s[18:19]
	s_or_b64 s[10:11], s[16:17], s[10:11]
	s_andn2_b64 s[12:13], s[12:13], exec
	s_and_b64 s[16:17], s[14:15], exec
	s_or_b64 s[12:13], s[12:13], s[16:17]
	s_andn2_b64 exec, exec, s[10:11]
	s_cbranch_execz .LBB95_42
.LBB95_36:                              ;   Parent Loop BB95_33 Depth=1
                                        ; =>  This Inner Loop Header: Depth=2
	v_mov_b64_e32 v[8:9], v[6:7]
	v_cmp_ne_u64_e32 vcc, s[48:49], v[10:11]
	s_mov_b64 s[16:17], 0
                                        ; implicit-def: $vgpr6_vgpr7
	s_and_saveexec_b64 s[18:19], vcc
	s_xor_b64 s[18:19], exec, s[18:19]
; %bb.37:                               ;   in Loop: Header=BB95_36 Depth=2
	v_add_u32_e32 v6, 1, v8
	s_mov_b64 s[16:17], exec
	v_and_b32_e32 v6, 0x3fff, v6
                                        ; implicit-def: $vgpr13
; %bb.38:                               ;   in Loop: Header=BB95_36 Depth=2
	s_andn2_saveexec_b64 s[18:19], s[18:19]
	s_cbranch_execz .LBB95_40
; %bb.39:                               ;   in Loop: Header=BB95_36 Depth=2
	v_mov_b64_e32 v[6:7], s[48:49]
	ds_cmpst_rtn_b64 v[6:7], v13, v[6:7], v[4:5]
	s_andn2_b64 s[16:17], s[16:17], exec
	s_waitcnt lgkmcnt(0)
	v_cmp_ne_u64_e32 vcc, s[48:49], v[6:7]
	s_and_b64 s[20:21], vcc, exec
	s_or_b64 s[16:17], s[16:17], s[20:21]
	v_mov_b64_e32 v[6:7], v[8:9]
.LBB95_40:                              ;   in Loop: Header=BB95_36 Depth=2
	s_or_b64 exec, exec, s[18:19]
	s_mov_b64 s[18:19], -1
	s_or_b64 s[14:15], s[14:15], exec
                                        ; implicit-def: $vgpr13
                                        ; implicit-def: $vgpr10_vgpr11
	s_and_saveexec_b64 s[20:21], s[16:17]
	s_cbranch_execz .LBB95_35
; %bb.41:                               ;   in Loop: Header=BB95_36 Depth=2
	v_lshl_add_u32 v13, v6, 3, 0
	ds_read_b64 v[10:11], v13
	s_andn2_b64 s[14:15], s[14:15], exec
	s_waitcnt lgkmcnt(0)
	v_cmp_eq_u64_e32 vcc, v[10:11], v[4:5]
	s_orn2_b64 s[18:19], vcc, exec
	s_branch .LBB95_35
.LBB95_42:                              ;   in Loop: Header=BB95_33 Depth=1
	s_or_b64 exec, exec, s[10:11]
	s_and_saveexec_b64 s[10:11], s[12:13]
	s_xor_b64 s[10:11], exec, s[10:11]
	s_cbranch_execz .LBB95_31
; %bb.43:                               ;   in Loop: Header=BB95_33 Depth=1
	v_mov_b32_e32 v6, v8
	s_branch .LBB95_31
.LBB95_44:
	s_or_b64 exec, exec, s[2:3]
.LBB95_45:
	v_mbcnt_lo_u32_b32 v2, -1, 0
	v_mbcnt_hi_u32_b32 v2, -1, v2
	v_sub_u32_e32 v2, 63, v2
	s_add_i32 s33, 0, 0x30000
	s_movk_i32 s0, 0x3ff
	s_movk_i32 s2, 0x7f
	;; [unrolled: 1-line block ×15, first 2 shown]
	s_add_i32 s61, 0, 0x30078
	v_mov_b32_e32 v3, 0
	v_lshrrev_b64 v[4:5], v2, -1
	v_lshl_add_u32 v12, v21, 3, s33
	v_cmp_eq_u32_e32 vcc, s0, v0
	v_cmp_lt_u32_e64 s[0:1], 63, v0
	v_cmp_lt_u32_e64 s[2:3], s2, v0
	;; [unrolled: 1-line block ×15, first 2 shown]
	s_mov_b64 s[36:37], 0
	v_mov_b64_e32 v[6:7], 0
	s_add_i32 s40, 0, 0x30008
	s_add_i32 s41, 0, 0x30010
	;; [unrolled: 1-line block ×14, first 2 shown]
	v_mov_b32_e32 v13, s61
	s_movk_i32 s62, 0x3bff
	s_waitcnt lgkmcnt(0)
	s_barrier
	s_branch .LBB95_47
.LBB95_46:                              ;   in Loop: Header=BB95_47 Depth=1
	s_or_b64 exec, exec, s[30:31]
	s_waitcnt lgkmcnt(0)
	s_barrier
	ds_read_b64 v[8:9], v13
	v_add_u32_e32 v1, 0x400, v1
	v_cmp_lt_u32_e64 s[30:31], s62, v1
	v_add_u32_e32 v18, 0x1000, v18
	s_or_b64 s[36:37], s[30:31], s[36:37]
	s_waitcnt lgkmcnt(0)
	v_lshl_add_u64 v[6:7], v[8:9], 0, v[6:7]
	v_add_u32_e32 v19, 0x2000, v19
	s_andn2_b64 exec, exec, s[36:37]
	s_cbranch_execz .LBB95_81
.LBB95_47:                              ; =>This Inner Loop Header: Depth=1
	ds_read_b64 v[8:9], v19
	ds_read_b32 v14, v18
	s_waitcnt lgkmcnt(0)
	s_barrier
	v_cmp_gt_i64_e64 s[30:31], s[48:49], v[8:9]
	s_bcnt1_i32_b64 s38, s[30:31]
	v_mov_b32_e32 v2, s38
	v_and_b32_e32 v11, s30, v4
	v_and_b32_e32 v10, s31, v5
	v_bcnt_u32_b32 v11, v11, 0
	v_bcnt_u32_b32 v10, v10, v11
	ds_write_b64 v12, v[2:3]
	s_waitcnt lgkmcnt(0)
	s_barrier
	s_and_saveexec_b64 s[38:39], s[0:1]
	s_cbranch_execnz .LBB95_64
; %bb.48:                               ;   in Loop: Header=BB95_47 Depth=1
	s_or_b64 exec, exec, s[38:39]
	s_and_saveexec_b64 s[38:39], s[2:3]
	s_cbranch_execnz .LBB95_65
.LBB95_49:                              ;   in Loop: Header=BB95_47 Depth=1
	s_or_b64 exec, exec, s[38:39]
	s_and_saveexec_b64 s[38:39], s[4:5]
	s_cbranch_execnz .LBB95_66
.LBB95_50:                              ;   in Loop: Header=BB95_47 Depth=1
	s_or_b64 exec, exec, s[38:39]
	s_and_saveexec_b64 s[38:39], s[6:7]
	s_cbranch_execnz .LBB95_67
.LBB95_51:                              ;   in Loop: Header=BB95_47 Depth=1
	s_or_b64 exec, exec, s[38:39]
	s_and_saveexec_b64 s[38:39], s[8:9]
	s_cbranch_execnz .LBB95_68
.LBB95_52:                              ;   in Loop: Header=BB95_47 Depth=1
	s_or_b64 exec, exec, s[38:39]
	s_and_saveexec_b64 s[38:39], s[10:11]
	s_cbranch_execnz .LBB95_69
.LBB95_53:                              ;   in Loop: Header=BB95_47 Depth=1
	s_or_b64 exec, exec, s[38:39]
	s_and_saveexec_b64 s[38:39], s[12:13]
	s_cbranch_execnz .LBB95_70
.LBB95_54:                              ;   in Loop: Header=BB95_47 Depth=1
	s_or_b64 exec, exec, s[38:39]
	s_and_saveexec_b64 s[38:39], s[14:15]
	s_cbranch_execnz .LBB95_71
.LBB95_55:                              ;   in Loop: Header=BB95_47 Depth=1
	s_or_b64 exec, exec, s[38:39]
	s_and_saveexec_b64 s[38:39], s[16:17]
	s_cbranch_execnz .LBB95_72
.LBB95_56:                              ;   in Loop: Header=BB95_47 Depth=1
	s_or_b64 exec, exec, s[38:39]
	s_and_saveexec_b64 s[38:39], s[18:19]
	s_cbranch_execnz .LBB95_73
.LBB95_57:                              ;   in Loop: Header=BB95_47 Depth=1
	s_or_b64 exec, exec, s[38:39]
	s_and_saveexec_b64 s[38:39], s[20:21]
	s_cbranch_execnz .LBB95_74
.LBB95_58:                              ;   in Loop: Header=BB95_47 Depth=1
	s_or_b64 exec, exec, s[38:39]
	s_and_saveexec_b64 s[38:39], s[22:23]
	s_cbranch_execnz .LBB95_75
.LBB95_59:                              ;   in Loop: Header=BB95_47 Depth=1
	s_or_b64 exec, exec, s[38:39]
	s_and_saveexec_b64 s[38:39], s[24:25]
	s_cbranch_execnz .LBB95_76
.LBB95_60:                              ;   in Loop: Header=BB95_47 Depth=1
	s_or_b64 exec, exec, s[38:39]
	s_and_saveexec_b64 s[38:39], s[26:27]
	s_cbranch_execnz .LBB95_77
.LBB95_61:                              ;   in Loop: Header=BB95_47 Depth=1
	s_or_b64 exec, exec, s[38:39]
	s_and_saveexec_b64 s[38:39], s[28:29]
	s_cbranch_execnz .LBB95_78
.LBB95_62:                              ;   in Loop: Header=BB95_47 Depth=1
	s_or_b64 exec, exec, s[38:39]
	v_ashrrev_i32_e32 v11, 31, v10
	s_and_saveexec_b64 s[38:39], s[30:31]
	s_cbranch_execnz .LBB95_79
.LBB95_63:                              ;   in Loop: Header=BB95_47 Depth=1
	s_or_b64 exec, exec, s[38:39]
	s_and_saveexec_b64 s[30:31], vcc
	s_cbranch_execz .LBB95_46
	s_branch .LBB95_80
.LBB95_64:                              ;   in Loop: Header=BB95_47 Depth=1
	v_mov_b32_e32 v2, s33
	ds_read_b32 v2, v2
	s_waitcnt lgkmcnt(0)
	v_add_u32_e32 v10, v2, v10
	s_or_b64 exec, exec, s[38:39]
	s_and_saveexec_b64 s[38:39], s[2:3]
	s_cbranch_execz .LBB95_49
.LBB95_65:                              ;   in Loop: Header=BB95_47 Depth=1
	v_mov_b32_e32 v2, s40
	ds_read_b32 v2, v2
	s_waitcnt lgkmcnt(0)
	v_add_u32_e32 v10, v10, v2
	s_or_b64 exec, exec, s[38:39]
	s_and_saveexec_b64 s[38:39], s[4:5]
	s_cbranch_execz .LBB95_50
.LBB95_66:                              ;   in Loop: Header=BB95_47 Depth=1
	v_mov_b32_e32 v2, s41
	ds_read_b32 v2, v2
	s_waitcnt lgkmcnt(0)
	v_add_u32_e32 v10, v10, v2
	s_or_b64 exec, exec, s[38:39]
	s_and_saveexec_b64 s[38:39], s[6:7]
	s_cbranch_execz .LBB95_51
.LBB95_67:                              ;   in Loop: Header=BB95_47 Depth=1
	v_mov_b32_e32 v2, s44
	ds_read_b32 v2, v2
	s_waitcnt lgkmcnt(0)
	v_add_u32_e32 v10, v10, v2
	s_or_b64 exec, exec, s[38:39]
	s_and_saveexec_b64 s[38:39], s[8:9]
	s_cbranch_execz .LBB95_52
.LBB95_68:                              ;   in Loop: Header=BB95_47 Depth=1
	v_mov_b32_e32 v2, s45
	ds_read_b32 v2, v2
	s_waitcnt lgkmcnt(0)
	v_add_u32_e32 v10, v10, v2
	s_or_b64 exec, exec, s[38:39]
	s_and_saveexec_b64 s[38:39], s[10:11]
	s_cbranch_execz .LBB95_53
.LBB95_69:                              ;   in Loop: Header=BB95_47 Depth=1
	v_mov_b32_e32 v2, s47
	ds_read_b32 v2, v2
	s_waitcnt lgkmcnt(0)
	v_add_u32_e32 v10, v10, v2
	s_or_b64 exec, exec, s[38:39]
	s_and_saveexec_b64 s[38:39], s[12:13]
	s_cbranch_execz .LBB95_54
.LBB95_70:                              ;   in Loop: Header=BB95_47 Depth=1
	v_mov_b32_e32 v2, s52
	ds_read_b32 v2, v2
	s_waitcnt lgkmcnt(0)
	v_add_u32_e32 v10, v10, v2
	s_or_b64 exec, exec, s[38:39]
	s_and_saveexec_b64 s[38:39], s[14:15]
	s_cbranch_execz .LBB95_55
.LBB95_71:                              ;   in Loop: Header=BB95_47 Depth=1
	v_mov_b32_e32 v2, s53
	ds_read_b32 v2, v2
	s_waitcnt lgkmcnt(0)
	v_add_u32_e32 v10, v10, v2
	s_or_b64 exec, exec, s[38:39]
	s_and_saveexec_b64 s[38:39], s[16:17]
	s_cbranch_execz .LBB95_56
.LBB95_72:                              ;   in Loop: Header=BB95_47 Depth=1
	v_mov_b32_e32 v2, s54
	ds_read_b32 v2, v2
	s_waitcnt lgkmcnt(0)
	v_add_u32_e32 v10, v10, v2
	s_or_b64 exec, exec, s[38:39]
	s_and_saveexec_b64 s[38:39], s[18:19]
	s_cbranch_execz .LBB95_57
.LBB95_73:                              ;   in Loop: Header=BB95_47 Depth=1
	v_mov_b32_e32 v2, s55
	ds_read_b32 v2, v2
	s_waitcnt lgkmcnt(0)
	v_add_u32_e32 v10, v10, v2
	s_or_b64 exec, exec, s[38:39]
	s_and_saveexec_b64 s[38:39], s[20:21]
	s_cbranch_execz .LBB95_58
.LBB95_74:                              ;   in Loop: Header=BB95_47 Depth=1
	v_mov_b32_e32 v2, s56
	ds_read_b32 v2, v2
	s_waitcnt lgkmcnt(0)
	v_add_u32_e32 v10, v10, v2
	s_or_b64 exec, exec, s[38:39]
	s_and_saveexec_b64 s[38:39], s[22:23]
	s_cbranch_execz .LBB95_59
.LBB95_75:                              ;   in Loop: Header=BB95_47 Depth=1
	v_mov_b32_e32 v2, s57
	ds_read_b32 v2, v2
	s_waitcnt lgkmcnt(0)
	v_add_u32_e32 v10, v10, v2
	s_or_b64 exec, exec, s[38:39]
	s_and_saveexec_b64 s[38:39], s[24:25]
	s_cbranch_execz .LBB95_60
.LBB95_76:                              ;   in Loop: Header=BB95_47 Depth=1
	v_mov_b32_e32 v2, s58
	ds_read_b32 v2, v2
	s_waitcnt lgkmcnt(0)
	v_add_u32_e32 v10, v10, v2
	s_or_b64 exec, exec, s[38:39]
	s_and_saveexec_b64 s[38:39], s[26:27]
	s_cbranch_execz .LBB95_61
.LBB95_77:                              ;   in Loop: Header=BB95_47 Depth=1
	v_mov_b32_e32 v2, s59
	ds_read_b32 v2, v2
	s_waitcnt lgkmcnt(0)
	v_add_u32_e32 v10, v10, v2
	s_or_b64 exec, exec, s[38:39]
	s_and_saveexec_b64 s[38:39], s[28:29]
	s_cbranch_execz .LBB95_62
.LBB95_78:                              ;   in Loop: Header=BB95_47 Depth=1
	v_mov_b32_e32 v2, s60
	ds_read_b32 v2, v2
	s_waitcnt lgkmcnt(0)
	v_add_u32_e32 v10, v10, v2
	s_or_b64 exec, exec, s[38:39]
	v_ashrrev_i32_e32 v11, 31, v10
	s_and_saveexec_b64 s[38:39], s[30:31]
	s_cbranch_execz .LBB95_63
.LBB95_79:                              ;   in Loop: Header=BB95_47 Depth=1
	v_add3_u32 v2, v6, -1, v10
	v_lshl_add_u32 v15, v2, 3, 0
	v_lshl_add_u32 v2, v2, 2, 0
	v_add_u32_e32 v2, 0x20000, v2
	ds_write_b64 v15, v[8:9]
	ds_write_b32 v2, v14
	s_or_b64 exec, exec, s[38:39]
	s_and_saveexec_b64 s[30:31], vcc
	s_cbranch_execz .LBB95_46
.LBB95_80:                              ;   in Loop: Header=BB95_47 Depth=1
	v_mov_b32_e32 v2, s61
	ds_write_b64 v2, v[10:11]
	s_branch .LBB95_46
.LBB95_81:
	s_or_b64 exec, exec, s[36:37]
	s_lshl_b64 s[0:1], s[50:51], 3
	s_add_u32 s4, s42, s0
	s_addc_u32 s5, s43, s1
	s_load_dwordx4 s[0:3], s[4:5], 0x0
	v_mov_b32_e32 v1, 0
	s_waitcnt lgkmcnt(0)
	s_sub_u32 s4, s2, s0
	s_subb_u32 s5, s3, s1
	v_cmp_gt_i64_e32 vcc, s[4:5], v[0:1]
	s_and_saveexec_b64 s[6:7], vcc
	s_cbranch_execz .LBB95_91
; %bb.82:
	s_sub_u32 s8, s0, s46
	s_subb_u32 s9, s1, 0
	s_and_b32 s6, s4, 7
	s_sub_u32 s0, s0, s2
	s_mov_b32 s7, 0
	s_subb_u32 s1, s1, s3
	s_and_b32 s10, s4, -8
	s_cmp_lg_u64 s[6:7], 0
	v_cmp_lt_u64_e64 s[0:1], s[0:1], -7
	s_cselect_b64 s[2:3], -1, 0
	s_mov_b32 s11, s5
	v_cndmask_b32_e64 v2, 0, 1, s[0:1]
	v_cmp_ne_u32_e64 s[0:1], 1, v2
	v_cndmask_b32_e64 v2, 0, 1, s[2:3]
	s_mov_b64 s[12:13], 0
	v_cmp_ne_u32_e64 s[2:3], 1, v2
	s_mov_b64 s[14:15], 0x400
	s_branch .LBB95_84
.LBB95_83:                              ;   in Loop: Header=BB95_84 Depth=1
	v_lshl_add_u64 v[0:1], v[0:1], 0, s[14:15]
	v_cmp_le_i64_e32 vcc, s[4:5], v[0:1]
	s_waitcnt lgkmcnt(1)
	v_lshl_add_u64 v[2:3], v[4:5], 2, s[34:35]
	s_or_b64 s[12:13], vcc, s[12:13]
	s_waitcnt lgkmcnt(0)
	global_store_dword v[2:3], v6, off
	s_andn2_b64 exec, exec, s[12:13]
	s_cbranch_execz .LBB95_91
.LBB95_84:                              ; =>This Loop Header: Depth=1
                                        ;     Child Loop BB95_86 Depth 2
                                        ;     Child Loop BB95_90 Depth 2
	v_lshl_add_u32 v2, v0, 3, 0
	v_lshl_add_u32 v3, v0, 2, 0
	v_add_u32_e32 v4, 0x20000, v3
	ds_read_b64 v[2:3], v2
	ds_read_b32 v6, v4
	s_and_b64 vcc, exec, s[0:1]
	v_mov_b64_e32 v[4:5], s[8:9]
	s_mov_b64 s[16:17], 0
	s_cbranch_vccnz .LBB95_88
; %bb.85:                               ;   in Loop: Header=BB95_84 Depth=1
	s_mov_b32 s18, 0
	v_mov_b64_e32 v[4:5], s[8:9]
.LBB95_86:                              ;   Parent Loop BB95_84 Depth=1
                                        ; =>  This Inner Loop Header: Depth=2
	v_mov_b32_e32 v7, s18
	ds_read2_b64 v[8:11], v7 offset1:1
	ds_read2_b64 v[12:15], v7 offset0:2 offset1:3
	ds_read2_b64 v[16:19], v7 offset0:4 offset1:5
	;; [unrolled: 1-line block ×3, first 2 shown]
	v_mov_b32_e32 v25, s7
	s_waitcnt lgkmcnt(3)
	v_cmp_gt_i64_e32 vcc, v[2:3], v[8:9]
	v_mov_b32_e32 v27, s7
	v_mov_b32_e32 v29, s7
	v_cndmask_b32_e64 v24, 0, 1, vcc
	v_cmp_gt_i64_e32 vcc, v[2:3], v[10:11]
	v_lshl_add_u64 v[4:5], v[4:5], 0, v[24:25]
	v_mov_b32_e32 v31, s7
	v_cndmask_b32_e64 v26, 0, 1, vcc
	s_waitcnt lgkmcnt(2)
	v_cmp_gt_i64_e32 vcc, v[2:3], v[12:13]
	v_lshl_add_u64 v[4:5], v[4:5], 0, v[26:27]
	v_mov_b32_e32 v33, s7
	v_cndmask_b32_e64 v28, 0, 1, vcc
	v_cmp_gt_i64_e32 vcc, v[2:3], v[14:15]
	v_lshl_add_u64 v[4:5], v[4:5], 0, v[28:29]
	v_mov_b32_e32 v35, s7
	v_cndmask_b32_e64 v30, 0, 1, vcc
	s_waitcnt lgkmcnt(1)
	v_cmp_gt_i64_e32 vcc, v[2:3], v[16:17]
	v_lshl_add_u64 v[4:5], v[4:5], 0, v[30:31]
	v_mov_b32_e32 v37, s7
	v_cndmask_b32_e64 v32, 0, 1, vcc
	v_cmp_gt_i64_e32 vcc, v[2:3], v[18:19]
	v_lshl_add_u64 v[4:5], v[4:5], 0, v[32:33]
	s_add_u32 s16, s16, 8
	v_cndmask_b32_e64 v34, 0, 1, vcc
	s_waitcnt lgkmcnt(0)
	v_cmp_gt_i64_e32 vcc, v[2:3], v[20:21]
	v_lshl_add_u64 v[4:5], v[4:5], 0, v[34:35]
	v_mov_b32_e32 v39, s7
	v_cndmask_b32_e64 v36, 0, 1, vcc
	v_cmp_gt_i64_e32 vcc, v[2:3], v[22:23]
	s_addc_u32 s17, s17, 0
	s_add_i32 s18, s18, 64
	v_cndmask_b32_e64 v38, 0, 1, vcc
	v_lshl_add_u64 v[4:5], v[4:5], 0, v[36:37]
	s_cmp_eq_u64 s[10:11], s[16:17]
	v_lshl_add_u64 v[4:5], v[4:5], 0, v[38:39]
	s_cbranch_scc0 .LBB95_86
; %bb.87:                               ;   in Loop: Header=BB95_84 Depth=1
	s_mov_b64 s[16:17], s[10:11]
.LBB95_88:                              ;   in Loop: Header=BB95_84 Depth=1
	s_and_b64 vcc, exec, s[2:3]
	s_cbranch_vccnz .LBB95_83
; %bb.89:                               ;   in Loop: Header=BB95_84 Depth=1
	s_lshl_b32 s16, s16, 3
	s_add_i32 s18, s16, 0
	s_mov_b64 s[16:17], s[6:7]
.LBB95_90:                              ;   Parent Loop BB95_84 Depth=1
                                        ; =>  This Inner Loop Header: Depth=2
	v_mov_b32_e32 v7, s18
	ds_read_b64 v[10:11], v7
	s_add_i32 s18, s18, 8
	s_add_u32 s16, s16, -1
	v_mov_b32_e32 v9, s7
	s_addc_u32 s17, s17, -1
	s_waitcnt lgkmcnt(0)
	v_cmp_gt_i64_e32 vcc, v[2:3], v[10:11]
	s_cmp_lg_u64 s[16:17], 0
	s_nop 0
	v_cndmask_b32_e64 v8, 0, 1, vcc
	v_lshl_add_u64 v[4:5], v[4:5], 0, v[8:9]
	s_cbranch_scc1 .LBB95_90
	s_branch .LBB95_83
.LBB95_91:
	s_endpgm
	.section	.rodata,"a",@progbits
	.p2align	6, 0x0
	.amdhsa_kernel _ZN9rocsparseL41csrgemm_numeric_fill_block_per_row_kernelILj1024ELj64ELj16384ELj137ELj64EllfEEvT5_PKS1_S3_NS_24const_host_device_scalarIT6_EEPKT4_S3_PKS5_S9_S3_SB_S6_S9_S3_SB_S9_S3_PS5_21rocsparse_index_base_SD_SD_SD_bbb
		.amdhsa_group_segment_fixed_size 0
		.amdhsa_private_segment_fixed_size 0
		.amdhsa_kernarg_size 156
		.amdhsa_user_sgpr_count 2
		.amdhsa_user_sgpr_dispatch_ptr 0
		.amdhsa_user_sgpr_queue_ptr 0
		.amdhsa_user_sgpr_kernarg_segment_ptr 1
		.amdhsa_user_sgpr_dispatch_id 0
		.amdhsa_user_sgpr_kernarg_preload_length 0
		.amdhsa_user_sgpr_kernarg_preload_offset 0
		.amdhsa_user_sgpr_private_segment_size 0
		.amdhsa_uses_dynamic_stack 0
		.amdhsa_enable_private_segment 0
		.amdhsa_system_sgpr_workgroup_id_x 1
		.amdhsa_system_sgpr_workgroup_id_y 0
		.amdhsa_system_sgpr_workgroup_id_z 0
		.amdhsa_system_sgpr_workgroup_info 0
		.amdhsa_system_vgpr_workitem_id 0
		.amdhsa_next_free_vgpr 40
		.amdhsa_next_free_sgpr 63
		.amdhsa_accum_offset 40
		.amdhsa_reserve_vcc 1
		.amdhsa_float_round_mode_32 0
		.amdhsa_float_round_mode_16_64 0
		.amdhsa_float_denorm_mode_32 3
		.amdhsa_float_denorm_mode_16_64 3
		.amdhsa_dx10_clamp 1
		.amdhsa_ieee_mode 1
		.amdhsa_fp16_overflow 0
		.amdhsa_tg_split 0
		.amdhsa_exception_fp_ieee_invalid_op 0
		.amdhsa_exception_fp_denorm_src 0
		.amdhsa_exception_fp_ieee_div_zero 0
		.amdhsa_exception_fp_ieee_overflow 0
		.amdhsa_exception_fp_ieee_underflow 0
		.amdhsa_exception_fp_ieee_inexact 0
		.amdhsa_exception_int_div_zero 0
	.end_amdhsa_kernel
	.section	.text._ZN9rocsparseL41csrgemm_numeric_fill_block_per_row_kernelILj1024ELj64ELj16384ELj137ELj64EllfEEvT5_PKS1_S3_NS_24const_host_device_scalarIT6_EEPKT4_S3_PKS5_S9_S3_SB_S6_S9_S3_SB_S9_S3_PS5_21rocsparse_index_base_SD_SD_SD_bbb,"axG",@progbits,_ZN9rocsparseL41csrgemm_numeric_fill_block_per_row_kernelILj1024ELj64ELj16384ELj137ELj64EllfEEvT5_PKS1_S3_NS_24const_host_device_scalarIT6_EEPKT4_S3_PKS5_S9_S3_SB_S6_S9_S3_SB_S9_S3_PS5_21rocsparse_index_base_SD_SD_SD_bbb,comdat
.Lfunc_end95:
	.size	_ZN9rocsparseL41csrgemm_numeric_fill_block_per_row_kernelILj1024ELj64ELj16384ELj137ELj64EllfEEvT5_PKS1_S3_NS_24const_host_device_scalarIT6_EEPKT4_S3_PKS5_S9_S3_SB_S6_S9_S3_SB_S9_S3_PS5_21rocsparse_index_base_SD_SD_SD_bbb, .Lfunc_end95-_ZN9rocsparseL41csrgemm_numeric_fill_block_per_row_kernelILj1024ELj64ELj16384ELj137ELj64EllfEEvT5_PKS1_S3_NS_24const_host_device_scalarIT6_EEPKT4_S3_PKS5_S9_S3_SB_S6_S9_S3_SB_S9_S3_PS5_21rocsparse_index_base_SD_SD_SD_bbb
                                        ; -- End function
	.set _ZN9rocsparseL41csrgemm_numeric_fill_block_per_row_kernelILj1024ELj64ELj16384ELj137ELj64EllfEEvT5_PKS1_S3_NS_24const_host_device_scalarIT6_EEPKT4_S3_PKS5_S9_S3_SB_S6_S9_S3_SB_S9_S3_PS5_21rocsparse_index_base_SD_SD_SD_bbb.num_vgpr, 40
	.set _ZN9rocsparseL41csrgemm_numeric_fill_block_per_row_kernelILj1024ELj64ELj16384ELj137ELj64EllfEEvT5_PKS1_S3_NS_24const_host_device_scalarIT6_EEPKT4_S3_PKS5_S9_S3_SB_S6_S9_S3_SB_S9_S3_PS5_21rocsparse_index_base_SD_SD_SD_bbb.num_agpr, 0
	.set _ZN9rocsparseL41csrgemm_numeric_fill_block_per_row_kernelILj1024ELj64ELj16384ELj137ELj64EllfEEvT5_PKS1_S3_NS_24const_host_device_scalarIT6_EEPKT4_S3_PKS5_S9_S3_SB_S6_S9_S3_SB_S9_S3_PS5_21rocsparse_index_base_SD_SD_SD_bbb.numbered_sgpr, 63
	.set _ZN9rocsparseL41csrgemm_numeric_fill_block_per_row_kernelILj1024ELj64ELj16384ELj137ELj64EllfEEvT5_PKS1_S3_NS_24const_host_device_scalarIT6_EEPKT4_S3_PKS5_S9_S3_SB_S6_S9_S3_SB_S9_S3_PS5_21rocsparse_index_base_SD_SD_SD_bbb.num_named_barrier, 0
	.set _ZN9rocsparseL41csrgemm_numeric_fill_block_per_row_kernelILj1024ELj64ELj16384ELj137ELj64EllfEEvT5_PKS1_S3_NS_24const_host_device_scalarIT6_EEPKT4_S3_PKS5_S9_S3_SB_S6_S9_S3_SB_S9_S3_PS5_21rocsparse_index_base_SD_SD_SD_bbb.private_seg_size, 0
	.set _ZN9rocsparseL41csrgemm_numeric_fill_block_per_row_kernelILj1024ELj64ELj16384ELj137ELj64EllfEEvT5_PKS1_S3_NS_24const_host_device_scalarIT6_EEPKT4_S3_PKS5_S9_S3_SB_S6_S9_S3_SB_S9_S3_PS5_21rocsparse_index_base_SD_SD_SD_bbb.uses_vcc, 1
	.set _ZN9rocsparseL41csrgemm_numeric_fill_block_per_row_kernelILj1024ELj64ELj16384ELj137ELj64EllfEEvT5_PKS1_S3_NS_24const_host_device_scalarIT6_EEPKT4_S3_PKS5_S9_S3_SB_S6_S9_S3_SB_S9_S3_PS5_21rocsparse_index_base_SD_SD_SD_bbb.uses_flat_scratch, 0
	.set _ZN9rocsparseL41csrgemm_numeric_fill_block_per_row_kernelILj1024ELj64ELj16384ELj137ELj64EllfEEvT5_PKS1_S3_NS_24const_host_device_scalarIT6_EEPKT4_S3_PKS5_S9_S3_SB_S6_S9_S3_SB_S9_S3_PS5_21rocsparse_index_base_SD_SD_SD_bbb.has_dyn_sized_stack, 0
	.set _ZN9rocsparseL41csrgemm_numeric_fill_block_per_row_kernelILj1024ELj64ELj16384ELj137ELj64EllfEEvT5_PKS1_S3_NS_24const_host_device_scalarIT6_EEPKT4_S3_PKS5_S9_S3_SB_S6_S9_S3_SB_S9_S3_PS5_21rocsparse_index_base_SD_SD_SD_bbb.has_recursion, 0
	.set _ZN9rocsparseL41csrgemm_numeric_fill_block_per_row_kernelILj1024ELj64ELj16384ELj137ELj64EllfEEvT5_PKS1_S3_NS_24const_host_device_scalarIT6_EEPKT4_S3_PKS5_S9_S3_SB_S6_S9_S3_SB_S9_S3_PS5_21rocsparse_index_base_SD_SD_SD_bbb.has_indirect_call, 0
	.section	.AMDGPU.csdata,"",@progbits
; Kernel info:
; codeLenInByte = 3392
; TotalNumSgprs: 69
; NumVgprs: 40
; NumAgprs: 0
; TotalNumVgprs: 40
; ScratchSize: 0
; MemoryBound: 0
; FloatMode: 240
; IeeeMode: 1
; LDSByteSize: 0 bytes/workgroup (compile time only)
; SGPRBlocks: 8
; VGPRBlocks: 4
; NumSGPRsForWavesPerEU: 69
; NumVGPRsForWavesPerEU: 40
; AccumOffset: 40
; Occupancy: 8
; WaveLimiterHint : 1
; COMPUTE_PGM_RSRC2:SCRATCH_EN: 0
; COMPUTE_PGM_RSRC2:USER_SGPR: 2
; COMPUTE_PGM_RSRC2:TRAP_HANDLER: 0
; COMPUTE_PGM_RSRC2:TGID_X_EN: 1
; COMPUTE_PGM_RSRC2:TGID_Y_EN: 0
; COMPUTE_PGM_RSRC2:TGID_Z_EN: 0
; COMPUTE_PGM_RSRC2:TIDIG_COMP_CNT: 0
; COMPUTE_PGM_RSRC3_GFX90A:ACCUM_OFFSET: 9
; COMPUTE_PGM_RSRC3_GFX90A:TG_SPLIT: 0
	.section	.text._ZN9rocsparseL41csrgemm_numeric_fill_block_per_row_kernelILj1024ELj64ELj32768ELj137ELj32EllfEEvT5_PKS1_S3_NS_24const_host_device_scalarIT6_EEPKT4_S3_PKS5_S9_S3_SB_S6_S9_S3_SB_S9_S3_PS5_21rocsparse_index_base_SD_SD_SD_bbb,"axG",@progbits,_ZN9rocsparseL41csrgemm_numeric_fill_block_per_row_kernelILj1024ELj64ELj32768ELj137ELj32EllfEEvT5_PKS1_S3_NS_24const_host_device_scalarIT6_EEPKT4_S3_PKS5_S9_S3_SB_S6_S9_S3_SB_S9_S3_PS5_21rocsparse_index_base_SD_SD_SD_bbb,comdat
	.globl	_ZN9rocsparseL41csrgemm_numeric_fill_block_per_row_kernelILj1024ELj64ELj32768ELj137ELj32EllfEEvT5_PKS1_S3_NS_24const_host_device_scalarIT6_EEPKT4_S3_PKS5_S9_S3_SB_S6_S9_S3_SB_S9_S3_PS5_21rocsparse_index_base_SD_SD_SD_bbb ; -- Begin function _ZN9rocsparseL41csrgemm_numeric_fill_block_per_row_kernelILj1024ELj64ELj32768ELj137ELj32EllfEEvT5_PKS1_S3_NS_24const_host_device_scalarIT6_EEPKT4_S3_PKS5_S9_S3_SB_S6_S9_S3_SB_S9_S3_PS5_21rocsparse_index_base_SD_SD_SD_bbb
	.p2align	8
	.type	_ZN9rocsparseL41csrgemm_numeric_fill_block_per_row_kernelILj1024ELj64ELj32768ELj137ELj32EllfEEvT5_PKS1_S3_NS_24const_host_device_scalarIT6_EEPKT4_S3_PKS5_S9_S3_SB_S6_S9_S3_SB_S9_S3_PS5_21rocsparse_index_base_SD_SD_SD_bbb,@function
_ZN9rocsparseL41csrgemm_numeric_fill_block_per_row_kernelILj1024ELj64ELj32768ELj137ELj32EllfEEvT5_PKS1_S3_NS_24const_host_device_scalarIT6_EEPKT4_S3_PKS5_S9_S3_SB_S6_S9_S3_SB_S9_S3_PS5_21rocsparse_index_base_SD_SD_SD_bbb: ; @_ZN9rocsparseL41csrgemm_numeric_fill_block_per_row_kernelILj1024ELj64ELj32768ELj137ELj32EllfEEvT5_PKS1_S3_NS_24const_host_device_scalarIT6_EEPKT4_S3_PKS5_S9_S3_SB_S6_S9_S3_SB_S9_S3_PS5_21rocsparse_index_base_SD_SD_SD_bbb
; %bb.0:
	s_load_dword s3, s[0:1], 0x98
	s_load_dwordx4 s[40:43], s[0:1], 0x88
	s_load_dwordx2 s[6:7], s[0:1], 0x18
	s_load_dwordx2 s[24:25], s[0:1], 0x50
	s_waitcnt lgkmcnt(0)
	s_bitcmp1_b32 s3, 0
	s_cselect_b64 s[4:5], -1, 0
	s_bitcmp1_b32 s3, 16
	s_cselect_b64 s[26:27], -1, 0
	s_xor_b64 s[8:9], s[4:5], -1
	s_or_b64 s[8:9], s[26:27], s[8:9]
	s_and_b64 vcc, exec, s[8:9]
	s_cbranch_vccnz .LBB96_2
; %bb.1:
	s_load_dword s6, s[6:7], 0x0
	s_waitcnt lgkmcnt(0)
	v_mov_b32_e32 v21, s6
	s_branch .LBB96_3
.LBB96_2:
	v_mov_b32_e32 v1, s6
	v_cndmask_b32_e64 v21, 0, v1, s[4:5]
.LBB96_3:
	s_load_dwordx2 s[6:7], s[0:1], 0x80
	s_load_dwordx8 s[44:51], s[0:1], 0x58
	s_load_dwordx4 s[16:19], s[0:1], 0x40
	s_load_dwordx4 s[20:23], s[0:1], 0x8
	s_load_dwordx8 s[8:15], s[0:1], 0x20
                                        ; implicit-def: $vgpr40 : SGPR spill to VGPR lane
	s_bitcmp1_b32 s3, 8
	s_waitcnt lgkmcnt(0)
	v_writelane_b32 v40, s6, 0
	s_nop 1
	v_writelane_b32 v40, s7, 1
	s_cselect_b64 s[6:7], -1, 0
	s_xor_b64 s[28:29], s[6:7], -1
	s_or_b64 s[26:27], s[26:27], s[28:29]
	s_and_b64 vcc, exec, s[26:27]
	s_cbranch_vccnz .LBB96_5
; %bb.4:
	s_load_dword s3, s[24:25], 0x0
	s_waitcnt lgkmcnt(0)
	v_mov_b32_e32 v20, s3
	s_branch .LBB96_6
.LBB96_5:
	v_mov_b32_e32 v1, s24
	v_cndmask_b32_e64 v20, 0, v1, s[6:7]
.LBB96_6:
	s_load_dwordx2 s[74:75], s[0:1], 0x0
	v_lshl_add_u32 v2, v0, 2, 0
	v_or_b32_e32 v1, 0xfffffc00, v0
	v_add_u32_e32 v18, 0x40000, v2
	v_lshl_add_u32 v19, v0, 3, 0
	s_mov_b64 s[0:1], 0
	s_waitcnt lgkmcnt(0)
	v_mov_b64_e32 v[6:7], s[74:75]
	v_mov_b32_e32 v2, 0
	s_movk_i32 s3, 0x7bff
	v_mov_b32_e32 v3, v19
	v_mov_b32_e32 v4, v18
	;; [unrolled: 1-line block ×3, first 2 shown]
.LBB96_7:                               ; =>This Inner Loop Header: Depth=1
	v_add_u32_e32 v5, 0x400, v5
	v_cmp_lt_u32_e32 vcc, s3, v5
	ds_write_b64 v3, v[6:7]
	ds_write_b32 v4, v2
	v_add_u32_e32 v4, 0x1000, v4
	s_or_b64 s[0:1], vcc, s[0:1]
	v_add_u32_e32 v3, 0x2000, v3
	s_andn2_b64 exec, exec, s[0:1]
	s_cbranch_execnz .LBB96_7
; %bb.8:
	s_or_b64 exec, exec, s[0:1]
	s_waitcnt lgkmcnt(0)
	s_barrier
	s_load_dwordx2 s[0:1], s[20:21], 0x0
	s_mov_b32 s3, 0
	s_waitcnt lgkmcnt(0)
	s_lshl_b64 s[0:1], s[0:1], 3
	s_add_u32 s20, s22, s0
	s_addc_u32 s21, s23, s1
	s_lshl_b64 s[0:1], s[2:3], 3
	s_add_u32 s0, s20, s0
	s_addc_u32 s1, s21, s1
	s_load_dwordx2 s[52:53], s[0:1], 0x0
	s_and_b64 vcc, exec, s[4:5]
	s_cbranch_vccz .LBB96_28
; %bb.9:
	s_waitcnt lgkmcnt(0)
	s_lshl_b64 s[0:1], s[52:53], 3
	s_add_u32 s0, s8, s0
	s_addc_u32 s1, s9, s1
	s_load_dwordx4 s[20:23], s[0:1], 0x0
	v_lshrrev_b32_e32 v2, 6, v0
	v_subrev_co_u32_e32 v2, vcc, s40, v2
	s_waitcnt lgkmcnt(0)
	s_sub_u32 s0, s22, s40
	v_subb_co_u32_e64 v3, s[2:3], 0, 0, vcc
	s_subb_u32 s1, s23, 0
	v_lshl_add_u64 v[2:3], s[20:21], 0, v[2:3]
	v_cmp_gt_i64_e32 vcc, s[0:1], v[2:3]
	s_and_saveexec_b64 s[2:3], vcc
	s_cbranch_execz .LBB96_27
; %bb.10:
	v_and_b32_e32 v4, 63, v0
	v_subrev_co_u32_e32 v4, vcc, s41, v4
	s_mov_b32 s33, s41
	s_nop 0
	v_subb_co_u32_e64 v5, s[4:5], 0, 0, vcc
	s_mov_b64 s[4:5], 0
	s_movk_i32 s38, 0x89
	s_branch .LBB96_12
.LBB96_11:                              ;   in Loop: Header=BB96_12 Depth=1
	s_or_b64 exec, exec, s[8:9]
	v_lshl_add_u64 v[2:3], v[2:3], 0, 16
	v_cmp_le_i64_e32 vcc, s[0:1], v[2:3]
	s_or_b64 s[4:5], vcc, s[4:5]
	s_andn2_b64 exec, exec, s[4:5]
	s_cbranch_execz .LBB96_27
.LBB96_12:                              ; =>This Loop Header: Depth=1
                                        ;     Child Loop BB96_16 Depth 2
                                        ;       Child Loop BB96_19 Depth 3
	v_lshl_add_u64 v[6:7], v[2:3], 3, s[10:11]
	global_load_dwordx2 v[6:7], v[6:7], off
	s_waitcnt vmcnt(0)
	v_subrev_co_u32_e32 v6, vcc, s40, v6
	s_nop 1
	v_subbrev_co_u32_e32 v7, vcc, 0, v7, vcc
	v_lshl_add_u64 v[6:7], v[6:7], 3, s[14:15]
	global_load_dwordx4 v[8:11], v[6:7], off
	s_waitcnt vmcnt(0)
	v_subrev_co_u32_e32 v6, vcc, s33, v10
	s_nop 1
	v_subbrev_co_u32_e32 v7, vcc, 0, v11, vcc
	v_lshl_add_u64 v[8:9], v[8:9], 0, v[4:5]
	v_cmp_lt_i64_e32 vcc, v[8:9], v[6:7]
	s_and_saveexec_b64 s[8:9], vcc
	s_cbranch_execz .LBB96_11
; %bb.13:                               ;   in Loop: Header=BB96_12 Depth=1
	v_lshl_add_u64 v[10:11], v[2:3], 2, s[12:13]
	global_load_dword v10, v[10:11], off
	s_mov_b64 s[20:21], 0
	s_waitcnt vmcnt(0)
	v_mul_f32_e32 v22, v21, v10
	s_branch .LBB96_16
.LBB96_14:                              ;   in Loop: Header=BB96_16 Depth=2
	s_or_b64 exec, exec, s[24:25]
.LBB96_15:                              ;   in Loop: Header=BB96_16 Depth=2
	s_or_b64 exec, exec, s[22:23]
	v_lshl_add_u32 v11, v12, 2, 0
	s_waitcnt vmcnt(0)
	v_mul_f32_e32 v10, v22, v23
	v_add_u32_e32 v11, 0x40000, v11
	ds_add_f32 v11, v10
	v_lshl_add_u64 v[8:9], v[8:9], 0, 64
	v_cmp_ge_i64_e32 vcc, v[8:9], v[6:7]
	s_or_b64 s[20:21], vcc, s[20:21]
	s_andn2_b64 exec, exec, s[20:21]
	s_cbranch_execz .LBB96_11
.LBB96_16:                              ;   Parent Loop BB96_12 Depth=1
                                        ; =>  This Loop Header: Depth=2
                                        ;       Child Loop BB96_19 Depth 3
	v_lshl_add_u64 v[10:11], v[8:9], 3, s[16:17]
	global_load_dwordx2 v[10:11], v[10:11], off
	v_lshl_add_u64 v[12:13], v[8:9], 2, s[18:19]
	global_load_dword v23, v[12:13], off
	s_waitcnt vmcnt(1)
	v_subrev_co_u32_e32 v10, vcc, s33, v10
	v_mul_lo_u32 v12, v10, s38
	v_and_b32_e32 v12, 0x7fff, v12
	v_lshl_add_u32 v24, v12, 3, 0
	ds_read_b64 v[16:17], v24
	v_subbrev_co_u32_e32 v11, vcc, 0, v11, vcc
	s_waitcnt lgkmcnt(0)
	v_cmp_ne_u64_e32 vcc, v[16:17], v[10:11]
	s_and_saveexec_b64 s[22:23], vcc
	s_cbranch_execz .LBB96_15
; %bb.17:                               ;   in Loop: Header=BB96_16 Depth=2
	s_mov_b64 s[24:25], 0
                                        ; implicit-def: $sgpr26_sgpr27
                                        ; implicit-def: $sgpr28_sgpr29
	s_branch .LBB96_19
.LBB96_18:                              ;   in Loop: Header=BB96_19 Depth=3
	s_or_b64 exec, exec, s[36:37]
	s_and_b64 s[30:31], exec, s[34:35]
	s_or_b64 s[24:25], s[30:31], s[24:25]
	s_andn2_b64 s[26:27], s[26:27], exec
	s_and_b64 s[30:31], s[28:29], exec
	s_or_b64 s[26:27], s[26:27], s[30:31]
	s_andn2_b64 exec, exec, s[24:25]
	s_cbranch_execz .LBB96_25
.LBB96_19:                              ;   Parent Loop BB96_12 Depth=1
                                        ;     Parent Loop BB96_16 Depth=2
                                        ; =>    This Inner Loop Header: Depth=3
	v_mov_b64_e32 v[14:15], v[12:13]
	v_cmp_ne_u64_e32 vcc, s[74:75], v[16:17]
	s_mov_b64 s[30:31], 0
                                        ; implicit-def: $vgpr12_vgpr13
	s_and_saveexec_b64 s[34:35], vcc
	s_xor_b64 s[34:35], exec, s[34:35]
; %bb.20:                               ;   in Loop: Header=BB96_19 Depth=3
	v_add_u32_e32 v12, 1, v14
	s_mov_b64 s[30:31], exec
	v_and_b32_e32 v12, 0x7fff, v12
                                        ; implicit-def: $vgpr24
; %bb.21:                               ;   in Loop: Header=BB96_19 Depth=3
	s_andn2_saveexec_b64 s[34:35], s[34:35]
	s_cbranch_execz .LBB96_23
; %bb.22:                               ;   in Loop: Header=BB96_19 Depth=3
	v_mov_b64_e32 v[12:13], s[74:75]
	ds_cmpst_rtn_b64 v[12:13], v24, v[12:13], v[10:11]
	s_andn2_b64 s[30:31], s[30:31], exec
	s_waitcnt lgkmcnt(0)
	v_cmp_ne_u64_e32 vcc, s[74:75], v[12:13]
	s_and_b64 s[36:37], vcc, exec
	s_or_b64 s[30:31], s[30:31], s[36:37]
	v_mov_b64_e32 v[12:13], v[14:15]
.LBB96_23:                              ;   in Loop: Header=BB96_19 Depth=3
	s_or_b64 exec, exec, s[34:35]
	s_mov_b64 s[34:35], -1
	s_or_b64 s[28:29], s[28:29], exec
                                        ; implicit-def: $vgpr24
                                        ; implicit-def: $vgpr16_vgpr17
	s_and_saveexec_b64 s[36:37], s[30:31]
	s_cbranch_execz .LBB96_18
; %bb.24:                               ;   in Loop: Header=BB96_19 Depth=3
	v_lshl_add_u32 v24, v12, 3, 0
	ds_read_b64 v[16:17], v24
	s_andn2_b64 s[28:29], s[28:29], exec
	s_waitcnt lgkmcnt(0)
	v_cmp_eq_u64_e32 vcc, v[16:17], v[10:11]
	s_orn2_b64 s[34:35], vcc, exec
	s_branch .LBB96_18
.LBB96_25:                              ;   in Loop: Header=BB96_16 Depth=2
	s_or_b64 exec, exec, s[24:25]
	s_and_saveexec_b64 s[24:25], s[26:27]
	s_xor_b64 s[24:25], exec, s[24:25]
	s_cbranch_execz .LBB96_14
; %bb.26:                               ;   in Loop: Header=BB96_16 Depth=2
	v_mov_b32_e32 v12, v14
	s_branch .LBB96_14
.LBB96_27:
	s_or_b64 exec, exec, s[2:3]
.LBB96_28:
	s_andn2_b64 vcc, exec, s[6:7]
	s_cbranch_vccnz .LBB96_45
; %bb.29:
	s_waitcnt lgkmcnt(0)
	s_lshl_b64 s[0:1], s[52:53], 3
	s_add_u32 s0, s44, s0
	s_addc_u32 s1, s45, s1
	s_load_dwordx4 s[4:7], s[0:1], 0x0
	v_subrev_co_u32_e32 v2, vcc, s43, v0
	s_waitcnt lgkmcnt(0)
	s_sub_u32 s0, s6, s43
	v_subb_co_u32_e64 v3, s[2:3], 0, 0, vcc
	s_subb_u32 s1, s7, 0
	v_lshl_add_u64 v[2:3], s[4:5], 0, v[2:3]
	v_cmp_gt_i64_e32 vcc, s[0:1], v[2:3]
	s_and_saveexec_b64 s[2:3], vcc
	s_cbranch_execz .LBB96_44
; %bb.30:
	s_mov_b32 s22, s43
	s_mov_b64 s[4:5], 0
	s_movk_i32 s23, 0x89
	s_mov_b64 s[6:7], 0x400
	s_branch .LBB96_33
.LBB96_31:                              ;   in Loop: Header=BB96_33 Depth=1
	s_or_b64 exec, exec, s[10:11]
.LBB96_32:                              ;   in Loop: Header=BB96_33 Depth=1
	s_or_b64 exec, exec, s[8:9]
	v_lshl_add_u32 v5, v6, 2, 0
	s_waitcnt vmcnt(0)
	v_mul_f32_e32 v4, v20, v12
	v_add_u32_e32 v5, 0x40000, v5
	ds_add_f32 v5, v4
	v_lshl_add_u64 v[2:3], v[2:3], 0, s[6:7]
	v_cmp_le_i64_e32 vcc, s[0:1], v[2:3]
	s_or_b64 s[4:5], vcc, s[4:5]
	s_andn2_b64 exec, exec, s[4:5]
	s_cbranch_execz .LBB96_44
.LBB96_33:                              ; =>This Loop Header: Depth=1
                                        ;     Child Loop BB96_36 Depth 2
	v_lshl_add_u64 v[4:5], v[2:3], 3, s[46:47]
	global_load_dwordx2 v[4:5], v[4:5], off
	v_lshl_add_u64 v[6:7], v[2:3], 2, s[48:49]
	global_load_dword v12, v[6:7], off
	s_waitcnt vmcnt(1)
	v_subrev_co_u32_e32 v4, vcc, s22, v4
	v_mul_lo_u32 v6, v4, s23
	v_and_b32_e32 v6, 0x7fff, v6
	v_lshl_add_u32 v13, v6, 3, 0
	ds_read_b64 v[10:11], v13
	v_subbrev_co_u32_e32 v5, vcc, 0, v5, vcc
	s_waitcnt lgkmcnt(0)
	v_cmp_ne_u64_e32 vcc, v[10:11], v[4:5]
	s_and_saveexec_b64 s[8:9], vcc
	s_cbranch_execz .LBB96_32
; %bb.34:                               ;   in Loop: Header=BB96_33 Depth=1
	s_mov_b64 s[10:11], 0
                                        ; implicit-def: $sgpr12_sgpr13
                                        ; implicit-def: $sgpr14_sgpr15
	s_branch .LBB96_36
.LBB96_35:                              ;   in Loop: Header=BB96_36 Depth=2
	s_or_b64 exec, exec, s[20:21]
	s_and_b64 s[16:17], exec, s[18:19]
	s_or_b64 s[10:11], s[16:17], s[10:11]
	s_andn2_b64 s[12:13], s[12:13], exec
	s_and_b64 s[16:17], s[14:15], exec
	s_or_b64 s[12:13], s[12:13], s[16:17]
	s_andn2_b64 exec, exec, s[10:11]
	s_cbranch_execz .LBB96_42
.LBB96_36:                              ;   Parent Loop BB96_33 Depth=1
                                        ; =>  This Inner Loop Header: Depth=2
	v_mov_b64_e32 v[8:9], v[6:7]
	v_cmp_ne_u64_e32 vcc, s[74:75], v[10:11]
	s_mov_b64 s[16:17], 0
                                        ; implicit-def: $vgpr6_vgpr7
	s_and_saveexec_b64 s[18:19], vcc
	s_xor_b64 s[18:19], exec, s[18:19]
; %bb.37:                               ;   in Loop: Header=BB96_36 Depth=2
	v_add_u32_e32 v6, 1, v8
	s_mov_b64 s[16:17], exec
	v_and_b32_e32 v6, 0x7fff, v6
                                        ; implicit-def: $vgpr13
; %bb.38:                               ;   in Loop: Header=BB96_36 Depth=2
	s_andn2_saveexec_b64 s[18:19], s[18:19]
	s_cbranch_execz .LBB96_40
; %bb.39:                               ;   in Loop: Header=BB96_36 Depth=2
	v_mov_b64_e32 v[6:7], s[74:75]
	ds_cmpst_rtn_b64 v[6:7], v13, v[6:7], v[4:5]
	s_andn2_b64 s[16:17], s[16:17], exec
	s_waitcnt lgkmcnt(0)
	v_cmp_ne_u64_e32 vcc, s[74:75], v[6:7]
	s_and_b64 s[20:21], vcc, exec
	s_or_b64 s[16:17], s[16:17], s[20:21]
	v_mov_b64_e32 v[6:7], v[8:9]
.LBB96_40:                              ;   in Loop: Header=BB96_36 Depth=2
	s_or_b64 exec, exec, s[18:19]
	s_mov_b64 s[18:19], -1
	s_or_b64 s[14:15], s[14:15], exec
                                        ; implicit-def: $vgpr13
                                        ; implicit-def: $vgpr10_vgpr11
	s_and_saveexec_b64 s[20:21], s[16:17]
	s_cbranch_execz .LBB96_35
; %bb.41:                               ;   in Loop: Header=BB96_36 Depth=2
	v_lshl_add_u32 v13, v6, 3, 0
	ds_read_b64 v[10:11], v13
	s_andn2_b64 s[14:15], s[14:15], exec
	s_waitcnt lgkmcnt(0)
	v_cmp_eq_u64_e32 vcc, v[10:11], v[4:5]
	s_orn2_b64 s[18:19], vcc, exec
	s_branch .LBB96_35
.LBB96_42:                              ;   in Loop: Header=BB96_33 Depth=1
	s_or_b64 exec, exec, s[10:11]
	s_and_saveexec_b64 s[10:11], s[12:13]
	s_xor_b64 s[10:11], exec, s[10:11]
	s_cbranch_execz .LBB96_31
; %bb.43:                               ;   in Loop: Header=BB96_33 Depth=1
	v_mov_b32_e32 v6, v8
	s_branch .LBB96_31
.LBB96_44:
	s_or_b64 exec, exec, s[2:3]
.LBB96_45:
	s_waitcnt lgkmcnt(0)
	v_writelane_b32 v40, s52, 2
	s_movk_i32 s33, 0x25f
	v_cmp_lt_u32_e64 s[34:35], s33, v0
	v_writelane_b32 v40, s53, 3
	v_writelane_b32 v40, s44, 4
	s_movk_i32 s33, 0x27f
	v_cmp_lt_u32_e64 s[36:37], s33, v0
	v_writelane_b32 v40, s45, 5
	v_writelane_b32 v40, s46, 6
	;; [unrolled: 1-line block ×8, first 2 shown]
	s_movk_i32 s33, 0x29f
	v_cmp_lt_u32_e64 s[38:39], s33, v0
	v_writelane_b32 v40, s41, 13
	v_writelane_b32 v40, s42, 14
	s_movk_i32 s33, 0x2bf
	v_writelane_b32 v40, s43, 15
	v_cmp_lt_u32_e64 s[40:41], s33, v0
	s_movk_i32 s33, 0x2df
	v_cmp_lt_u32_e64 s[42:43], s33, v0
	s_movk_i32 s33, 0x2ff
	;; [unrolled: 2-line block ×6, first 2 shown]
	v_mbcnt_lo_u32_b32 v2, -1, 0
	v_cmp_lt_u32_e64 s[52:53], s33, v0
	s_movk_i32 s33, 0x39f
	v_mbcnt_hi_u32_b32 v2, -1, v2
	v_cmp_lt_u32_e64 s[54:55], s33, v0
	s_movk_i32 s33, 0x3bf
	v_sub_u32_e32 v2, 63, v2
	s_add_i32 s0, 0, 0x60000
	v_cmp_lt_u32_e64 s[56:57], s33, v0
	s_movk_i32 s33, 0x3df
	v_lshrrev_b64 v[4:5], v2, -1
	v_lshrrev_b32_e32 v2, 2, v0
	v_writelane_b32 v40, s0, 16
	v_cmp_lt_u32_e64 s[58:59], s33, v0
	s_add_i32 s33, 0, 0x60008
	v_and_b32_e32 v2, 0xf8, v2
	v_writelane_b32 v40, s33, 17
	s_add_i32 s33, 0, 0x60010
	v_add_u32_e32 v12, s0, v2
	s_movk_i32 s0, 0x3ff
	v_writelane_b32 v40, s33, 18
	s_add_i32 s33, 0, 0x60018
	v_cmp_eq_u32_e32 vcc, s0, v0
	s_movk_i32 s0, 0x5f
	s_movk_i32 s2, 0x7f
	;; [unrolled: 1-line block ×16, first 2 shown]
	v_writelane_b32 v40, s33, 19
	s_add_i32 s33, 0, 0x60028
	v_mov_b32_e32 v3, 0
	v_cmp_lt_u32_e64 s[0:1], s0, v0
	v_cmp_lt_u32_e64 s[2:3], s2, v0
	;; [unrolled: 1-line block ×16, first 2 shown]
	v_mov_b64_e32 v[6:7], 0
	s_add_i32 s81, 0, 0x60020
	v_writelane_b32 v40, s33, 20
	s_add_i32 s84, 0, 0x60030
	s_add_i32 s85, 0, 0x60038
	;; [unrolled: 1-line block ×26, first 2 shown]
	v_cmp_lt_u32_e64 s[60:61], 31, v0
	v_cmp_lt_u32_e64 s[62:63], 63, v0
	s_mov_b64 s[68:69], 0
	s_barrier
	s_branch .LBB96_47
.LBB96_46:                              ;   in Loop: Header=BB96_47 Depth=1
	s_or_b64 exec, exec, s[64:65]
	v_mov_b32_e32 v2, s80
	s_waitcnt lgkmcnt(0)
	s_barrier
	ds_read_b64 v[8:9], v2
	v_add_u32_e32 v1, 0x400, v1
	s_movk_i32 s64, 0x7bff
	v_cmp_lt_u32_e64 s[64:65], s64, v1
	v_add_u32_e32 v18, 0x1000, v18
	s_waitcnt lgkmcnt(0)
	v_lshl_add_u64 v[6:7], v[8:9], 0, v[6:7]
	s_or_b64 s[68:69], s[64:65], s[68:69]
	v_add_u32_e32 v19, 0x2000, v19
	s_andn2_b64 exec, exec, s[68:69]
	s_cbranch_execz .LBB96_113
.LBB96_47:                              ; =>This Inner Loop Header: Depth=1
	ds_read_b64 v[8:9], v19
	ds_read_b32 v13, v18
	s_waitcnt lgkmcnt(0)
	s_barrier
	v_cmp_gt_i64_e64 s[64:65], s[74:75], v[8:9]
	s_bcnt1_i32_b64 s78, s[64:65]
	v_mov_b32_e32 v2, s78
	v_and_b32_e32 v11, s64, v4
	v_and_b32_e32 v10, s65, v5
	v_bcnt_u32_b32 v11, v11, 0
	v_bcnt_u32_b32 v10, v10, v11
	ds_write_b64 v12, v[2:3]
	s_waitcnt lgkmcnt(0)
	s_barrier
	s_and_saveexec_b64 s[78:79], s[60:61]
	s_cbranch_execnz .LBB96_80
; %bb.48:                               ;   in Loop: Header=BB96_47 Depth=1
	s_or_b64 exec, exec, s[78:79]
	s_and_saveexec_b64 s[78:79], s[62:63]
	s_cbranch_execnz .LBB96_81
.LBB96_49:                              ;   in Loop: Header=BB96_47 Depth=1
	s_or_b64 exec, exec, s[78:79]
	s_and_saveexec_b64 s[78:79], s[0:1]
	s_cbranch_execnz .LBB96_82
.LBB96_50:                              ;   in Loop: Header=BB96_47 Depth=1
	s_or_b64 exec, exec, s[78:79]
	s_and_saveexec_b64 s[78:79], s[2:3]
	s_cbranch_execnz .LBB96_83
.LBB96_51:                              ;   in Loop: Header=BB96_47 Depth=1
	s_or_b64 exec, exec, s[78:79]
	s_and_saveexec_b64 s[78:79], s[4:5]
	s_cbranch_execnz .LBB96_84
.LBB96_52:                              ;   in Loop: Header=BB96_47 Depth=1
	s_or_b64 exec, exec, s[78:79]
	s_and_saveexec_b64 s[78:79], s[6:7]
	s_cbranch_execnz .LBB96_85
.LBB96_53:                              ;   in Loop: Header=BB96_47 Depth=1
	s_or_b64 exec, exec, s[78:79]
	s_and_saveexec_b64 s[78:79], s[8:9]
	s_cbranch_execnz .LBB96_86
.LBB96_54:                              ;   in Loop: Header=BB96_47 Depth=1
	s_or_b64 exec, exec, s[78:79]
	s_and_saveexec_b64 s[78:79], s[10:11]
	s_cbranch_execnz .LBB96_87
.LBB96_55:                              ;   in Loop: Header=BB96_47 Depth=1
	s_or_b64 exec, exec, s[78:79]
	s_and_saveexec_b64 s[78:79], s[12:13]
	s_cbranch_execnz .LBB96_88
.LBB96_56:                              ;   in Loop: Header=BB96_47 Depth=1
	s_or_b64 exec, exec, s[78:79]
	s_and_saveexec_b64 s[78:79], s[14:15]
	s_cbranch_execnz .LBB96_89
.LBB96_57:                              ;   in Loop: Header=BB96_47 Depth=1
	s_or_b64 exec, exec, s[78:79]
	s_and_saveexec_b64 s[78:79], s[16:17]
	s_cbranch_execnz .LBB96_90
.LBB96_58:                              ;   in Loop: Header=BB96_47 Depth=1
	s_or_b64 exec, exec, s[78:79]
	s_and_saveexec_b64 s[78:79], s[18:19]
	s_cbranch_execnz .LBB96_91
.LBB96_59:                              ;   in Loop: Header=BB96_47 Depth=1
	s_or_b64 exec, exec, s[78:79]
	s_and_saveexec_b64 s[78:79], s[20:21]
	s_cbranch_execnz .LBB96_92
.LBB96_60:                              ;   in Loop: Header=BB96_47 Depth=1
	s_or_b64 exec, exec, s[78:79]
	s_and_saveexec_b64 s[78:79], s[22:23]
	s_cbranch_execnz .LBB96_93
.LBB96_61:                              ;   in Loop: Header=BB96_47 Depth=1
	s_or_b64 exec, exec, s[78:79]
	s_and_saveexec_b64 s[78:79], s[24:25]
	s_cbranch_execnz .LBB96_94
.LBB96_62:                              ;   in Loop: Header=BB96_47 Depth=1
	s_or_b64 exec, exec, s[78:79]
	s_and_saveexec_b64 s[78:79], s[26:27]
	s_cbranch_execnz .LBB96_95
.LBB96_63:                              ;   in Loop: Header=BB96_47 Depth=1
	s_or_b64 exec, exec, s[78:79]
	s_and_saveexec_b64 s[78:79], s[28:29]
	s_cbranch_execnz .LBB96_96
.LBB96_64:                              ;   in Loop: Header=BB96_47 Depth=1
	s_or_b64 exec, exec, s[78:79]
	s_and_saveexec_b64 s[78:79], s[30:31]
	s_cbranch_execnz .LBB96_97
.LBB96_65:                              ;   in Loop: Header=BB96_47 Depth=1
	s_or_b64 exec, exec, s[78:79]
	s_and_saveexec_b64 s[78:79], s[34:35]
	s_cbranch_execnz .LBB96_98
.LBB96_66:                              ;   in Loop: Header=BB96_47 Depth=1
	s_or_b64 exec, exec, s[78:79]
	s_and_saveexec_b64 s[78:79], s[36:37]
	s_cbranch_execnz .LBB96_99
.LBB96_67:                              ;   in Loop: Header=BB96_47 Depth=1
	s_or_b64 exec, exec, s[78:79]
	s_and_saveexec_b64 s[78:79], s[38:39]
	s_cbranch_execnz .LBB96_100
.LBB96_68:                              ;   in Loop: Header=BB96_47 Depth=1
	s_or_b64 exec, exec, s[78:79]
	s_and_saveexec_b64 s[78:79], s[40:41]
	s_cbranch_execnz .LBB96_101
.LBB96_69:                              ;   in Loop: Header=BB96_47 Depth=1
	s_or_b64 exec, exec, s[78:79]
	s_and_saveexec_b64 s[78:79], s[42:43]
	s_cbranch_execnz .LBB96_102
.LBB96_70:                              ;   in Loop: Header=BB96_47 Depth=1
	s_or_b64 exec, exec, s[78:79]
	s_and_saveexec_b64 s[78:79], s[44:45]
	s_cbranch_execnz .LBB96_103
.LBB96_71:                              ;   in Loop: Header=BB96_47 Depth=1
	s_or_b64 exec, exec, s[78:79]
	s_and_saveexec_b64 s[78:79], s[46:47]
	s_cbranch_execnz .LBB96_104
.LBB96_72:                              ;   in Loop: Header=BB96_47 Depth=1
	s_or_b64 exec, exec, s[78:79]
	s_and_saveexec_b64 s[78:79], s[48:49]
	s_cbranch_execnz .LBB96_105
.LBB96_73:                              ;   in Loop: Header=BB96_47 Depth=1
	s_or_b64 exec, exec, s[78:79]
	s_and_saveexec_b64 s[78:79], s[50:51]
	s_cbranch_execnz .LBB96_106
.LBB96_74:                              ;   in Loop: Header=BB96_47 Depth=1
	s_or_b64 exec, exec, s[78:79]
	s_and_saveexec_b64 s[78:79], s[52:53]
	s_cbranch_execnz .LBB96_107
.LBB96_75:                              ;   in Loop: Header=BB96_47 Depth=1
	s_or_b64 exec, exec, s[78:79]
	s_and_saveexec_b64 s[78:79], s[54:55]
	s_cbranch_execnz .LBB96_108
.LBB96_76:                              ;   in Loop: Header=BB96_47 Depth=1
	s_or_b64 exec, exec, s[78:79]
	s_and_saveexec_b64 s[78:79], s[56:57]
	s_cbranch_execnz .LBB96_109
.LBB96_77:                              ;   in Loop: Header=BB96_47 Depth=1
	s_or_b64 exec, exec, s[78:79]
	s_and_saveexec_b64 s[78:79], s[58:59]
	s_cbranch_execnz .LBB96_110
.LBB96_78:                              ;   in Loop: Header=BB96_47 Depth=1
	s_or_b64 exec, exec, s[78:79]
	v_ashrrev_i32_e32 v11, 31, v10
	s_and_saveexec_b64 s[78:79], s[64:65]
	s_cbranch_execnz .LBB96_111
.LBB96_79:                              ;   in Loop: Header=BB96_47 Depth=1
	s_or_b64 exec, exec, s[78:79]
	s_and_saveexec_b64 s[64:65], vcc
	s_cbranch_execz .LBB96_46
	s_branch .LBB96_112
.LBB96_80:                              ;   in Loop: Header=BB96_47 Depth=1
	v_readlane_b32 s82, v40, 16
	s_nop 1
	v_mov_b32_e32 v2, s82
	ds_read_b32 v2, v2
	s_waitcnt lgkmcnt(0)
	v_add_u32_e32 v10, v2, v10
	s_or_b64 exec, exec, s[78:79]
	s_and_saveexec_b64 s[78:79], s[62:63]
	s_cbranch_execz .LBB96_49
.LBB96_81:                              ;   in Loop: Header=BB96_47 Depth=1
	v_readlane_b32 s82, v40, 17
	s_nop 1
	v_mov_b32_e32 v2, s82
	ds_read_b32 v2, v2
	s_waitcnt lgkmcnt(0)
	v_add_u32_e32 v10, v10, v2
	s_or_b64 exec, exec, s[78:79]
	s_and_saveexec_b64 s[78:79], s[0:1]
	s_cbranch_execz .LBB96_50
.LBB96_82:                              ;   in Loop: Header=BB96_47 Depth=1
	v_readlane_b32 s82, v40, 18
	s_nop 1
	v_mov_b32_e32 v2, s82
	ds_read_b32 v2, v2
	s_waitcnt lgkmcnt(0)
	v_add_u32_e32 v10, v10, v2
	s_or_b64 exec, exec, s[78:79]
	s_and_saveexec_b64 s[78:79], s[2:3]
	s_cbranch_execz .LBB96_51
.LBB96_83:                              ;   in Loop: Header=BB96_47 Depth=1
	v_readlane_b32 s82, v40, 19
	s_nop 1
	v_mov_b32_e32 v2, s82
	ds_read_b32 v2, v2
	s_waitcnt lgkmcnt(0)
	v_add_u32_e32 v10, v10, v2
	s_or_b64 exec, exec, s[78:79]
	s_and_saveexec_b64 s[78:79], s[4:5]
	s_cbranch_execz .LBB96_52
.LBB96_84:                              ;   in Loop: Header=BB96_47 Depth=1
	v_mov_b32_e32 v2, s81
	ds_read_b32 v2, v2
	s_waitcnt lgkmcnt(0)
	v_add_u32_e32 v10, v10, v2
	s_or_b64 exec, exec, s[78:79]
	s_and_saveexec_b64 s[78:79], s[6:7]
	s_cbranch_execz .LBB96_53
.LBB96_85:                              ;   in Loop: Header=BB96_47 Depth=1
	v_readlane_b32 s82, v40, 20
	s_nop 1
	v_mov_b32_e32 v2, s82
	ds_read_b32 v2, v2
	s_waitcnt lgkmcnt(0)
	v_add_u32_e32 v10, v10, v2
	s_or_b64 exec, exec, s[78:79]
	s_and_saveexec_b64 s[78:79], s[8:9]
	s_cbranch_execz .LBB96_54
.LBB96_86:                              ;   in Loop: Header=BB96_47 Depth=1
	v_mov_b32_e32 v2, s84
	ds_read_b32 v2, v2
	s_waitcnt lgkmcnt(0)
	v_add_u32_e32 v10, v10, v2
	s_or_b64 exec, exec, s[78:79]
	s_and_saveexec_b64 s[78:79], s[10:11]
	s_cbranch_execz .LBB96_55
.LBB96_87:                              ;   in Loop: Header=BB96_47 Depth=1
	v_mov_b32_e32 v2, s85
	ds_read_b32 v2, v2
	s_waitcnt lgkmcnt(0)
	v_add_u32_e32 v10, v10, v2
	s_or_b64 exec, exec, s[78:79]
	s_and_saveexec_b64 s[78:79], s[12:13]
	s_cbranch_execz .LBB96_56
.LBB96_88:                              ;   in Loop: Header=BB96_47 Depth=1
	v_mov_b32_e32 v2, s86
	ds_read_b32 v2, v2
	s_waitcnt lgkmcnt(0)
	v_add_u32_e32 v10, v10, v2
	s_or_b64 exec, exec, s[78:79]
	s_and_saveexec_b64 s[78:79], s[14:15]
	s_cbranch_execz .LBB96_57
.LBB96_89:                              ;   in Loop: Header=BB96_47 Depth=1
	v_mov_b32_e32 v2, s87
	ds_read_b32 v2, v2
	s_waitcnt lgkmcnt(0)
	v_add_u32_e32 v10, v10, v2
	s_or_b64 exec, exec, s[78:79]
	s_and_saveexec_b64 s[78:79], s[16:17]
	s_cbranch_execz .LBB96_58
.LBB96_90:                              ;   in Loop: Header=BB96_47 Depth=1
	v_mov_b32_e32 v2, s88
	ds_read_b32 v2, v2
	s_waitcnt lgkmcnt(0)
	v_add_u32_e32 v10, v10, v2
	s_or_b64 exec, exec, s[78:79]
	s_and_saveexec_b64 s[78:79], s[18:19]
	s_cbranch_execz .LBB96_59
.LBB96_91:                              ;   in Loop: Header=BB96_47 Depth=1
	v_mov_b32_e32 v2, s89
	ds_read_b32 v2, v2
	s_waitcnt lgkmcnt(0)
	v_add_u32_e32 v10, v10, v2
	s_or_b64 exec, exec, s[78:79]
	s_and_saveexec_b64 s[78:79], s[20:21]
	s_cbranch_execz .LBB96_60
.LBB96_92:                              ;   in Loop: Header=BB96_47 Depth=1
	v_mov_b32_e32 v2, s90
	ds_read_b32 v2, v2
	s_waitcnt lgkmcnt(0)
	v_add_u32_e32 v10, v10, v2
	s_or_b64 exec, exec, s[78:79]
	s_and_saveexec_b64 s[78:79], s[22:23]
	s_cbranch_execz .LBB96_61
.LBB96_93:                              ;   in Loop: Header=BB96_47 Depth=1
	v_mov_b32_e32 v2, s91
	ds_read_b32 v2, v2
	s_waitcnt lgkmcnt(0)
	v_add_u32_e32 v10, v10, v2
	s_or_b64 exec, exec, s[78:79]
	s_and_saveexec_b64 s[78:79], s[24:25]
	s_cbranch_execz .LBB96_62
.LBB96_94:                              ;   in Loop: Header=BB96_47 Depth=1
	v_mov_b32_e32 v2, s92
	ds_read_b32 v2, v2
	s_waitcnt lgkmcnt(0)
	v_add_u32_e32 v10, v10, v2
	s_or_b64 exec, exec, s[78:79]
	s_and_saveexec_b64 s[78:79], s[26:27]
	s_cbranch_execz .LBB96_63
.LBB96_95:                              ;   in Loop: Header=BB96_47 Depth=1
	v_mov_b32_e32 v2, s93
	ds_read_b32 v2, v2
	s_waitcnt lgkmcnt(0)
	v_add_u32_e32 v10, v10, v2
	s_or_b64 exec, exec, s[78:79]
	s_and_saveexec_b64 s[78:79], s[28:29]
	s_cbranch_execz .LBB96_64
.LBB96_96:                              ;   in Loop: Header=BB96_47 Depth=1
	v_mov_b32_e32 v2, s94
	ds_read_b32 v2, v2
	s_waitcnt lgkmcnt(0)
	v_add_u32_e32 v10, v10, v2
	s_or_b64 exec, exec, s[78:79]
	s_and_saveexec_b64 s[78:79], s[30:31]
	s_cbranch_execz .LBB96_65
.LBB96_97:                              ;   in Loop: Header=BB96_47 Depth=1
	v_mov_b32_e32 v2, s95
	ds_read_b32 v2, v2
	s_waitcnt lgkmcnt(0)
	v_add_u32_e32 v10, v10, v2
	s_or_b64 exec, exec, s[78:79]
	s_and_saveexec_b64 s[78:79], s[34:35]
	s_cbranch_execz .LBB96_66
.LBB96_98:                              ;   in Loop: Header=BB96_47 Depth=1
	v_mov_b32_e32 v2, s96
	ds_read_b32 v2, v2
	s_waitcnt lgkmcnt(0)
	v_add_u32_e32 v10, v10, v2
	s_or_b64 exec, exec, s[78:79]
	s_and_saveexec_b64 s[78:79], s[36:37]
	s_cbranch_execz .LBB96_67
.LBB96_99:                              ;   in Loop: Header=BB96_47 Depth=1
	v_mov_b32_e32 v2, s97
	ds_read_b32 v2, v2
	s_waitcnt lgkmcnt(0)
	v_add_u32_e32 v10, v10, v2
	s_or_b64 exec, exec, s[78:79]
	s_and_saveexec_b64 s[78:79], s[38:39]
	s_cbranch_execz .LBB96_68
.LBB96_100:                             ;   in Loop: Header=BB96_47 Depth=1
	v_mov_b32_e32 v2, s98
	ds_read_b32 v2, v2
	s_waitcnt lgkmcnt(0)
	v_add_u32_e32 v10, v10, v2
	s_or_b64 exec, exec, s[78:79]
	s_and_saveexec_b64 s[78:79], s[40:41]
	s_cbranch_execz .LBB96_69
.LBB96_101:                             ;   in Loop: Header=BB96_47 Depth=1
	v_mov_b32_e32 v2, s99
	ds_read_b32 v2, v2
	s_waitcnt lgkmcnt(0)
	v_add_u32_e32 v10, v10, v2
	s_or_b64 exec, exec, s[78:79]
	s_and_saveexec_b64 s[78:79], s[42:43]
	s_cbranch_execz .LBB96_70
.LBB96_102:                             ;   in Loop: Header=BB96_47 Depth=1
	v_mov_b32_e32 v2, s76
	ds_read_b32 v2, v2
	s_waitcnt lgkmcnt(0)
	v_add_u32_e32 v10, v10, v2
	s_or_b64 exec, exec, s[78:79]
	s_and_saveexec_b64 s[78:79], s[44:45]
	s_cbranch_execz .LBB96_71
.LBB96_103:                             ;   in Loop: Header=BB96_47 Depth=1
	v_mov_b32_e32 v2, s77
	ds_read_b32 v2, v2
	s_waitcnt lgkmcnt(0)
	v_add_u32_e32 v10, v10, v2
	s_or_b64 exec, exec, s[78:79]
	s_and_saveexec_b64 s[78:79], s[46:47]
	s_cbranch_execz .LBB96_72
.LBB96_104:                             ;   in Loop: Header=BB96_47 Depth=1
	v_mov_b32_e32 v2, s70
	ds_read_b32 v2, v2
	s_waitcnt lgkmcnt(0)
	v_add_u32_e32 v10, v10, v2
	s_or_b64 exec, exec, s[78:79]
	s_and_saveexec_b64 s[78:79], s[48:49]
	s_cbranch_execz .LBB96_73
.LBB96_105:                             ;   in Loop: Header=BB96_47 Depth=1
	v_mov_b32_e32 v2, s72
	ds_read_b32 v2, v2
	s_waitcnt lgkmcnt(0)
	v_add_u32_e32 v10, v10, v2
	s_or_b64 exec, exec, s[78:79]
	s_and_saveexec_b64 s[78:79], s[50:51]
	s_cbranch_execz .LBB96_74
.LBB96_106:                             ;   in Loop: Header=BB96_47 Depth=1
	v_mov_b32_e32 v2, s73
	ds_read_b32 v2, v2
	s_waitcnt lgkmcnt(0)
	v_add_u32_e32 v10, v10, v2
	s_or_b64 exec, exec, s[78:79]
	s_and_saveexec_b64 s[78:79], s[52:53]
	s_cbranch_execz .LBB96_75
.LBB96_107:                             ;   in Loop: Header=BB96_47 Depth=1
	v_mov_b32_e32 v2, s66
	ds_read_b32 v2, v2
	s_waitcnt lgkmcnt(0)
	v_add_u32_e32 v10, v10, v2
	s_or_b64 exec, exec, s[78:79]
	s_and_saveexec_b64 s[78:79], s[54:55]
	s_cbranch_execz .LBB96_76
.LBB96_108:                             ;   in Loop: Header=BB96_47 Depth=1
	v_mov_b32_e32 v2, s67
	ds_read_b32 v2, v2
	s_waitcnt lgkmcnt(0)
	v_add_u32_e32 v10, v10, v2
	s_or_b64 exec, exec, s[78:79]
	s_and_saveexec_b64 s[78:79], s[56:57]
	s_cbranch_execz .LBB96_77
.LBB96_109:                             ;   in Loop: Header=BB96_47 Depth=1
	v_mov_b32_e32 v2, s33
	ds_read_b32 v2, v2
	s_waitcnt lgkmcnt(0)
	v_add_u32_e32 v10, v10, v2
	s_or_b64 exec, exec, s[78:79]
	s_and_saveexec_b64 s[78:79], s[58:59]
	s_cbranch_execz .LBB96_78
.LBB96_110:                             ;   in Loop: Header=BB96_47 Depth=1
	v_mov_b32_e32 v2, s71
	ds_read_b32 v2, v2
	s_waitcnt lgkmcnt(0)
	v_add_u32_e32 v10, v10, v2
	s_or_b64 exec, exec, s[78:79]
	v_ashrrev_i32_e32 v11, 31, v10
	s_and_saveexec_b64 s[78:79], s[64:65]
	s_cbranch_execz .LBB96_79
.LBB96_111:                             ;   in Loop: Header=BB96_47 Depth=1
	v_add3_u32 v2, v6, -1, v10
	v_lshl_add_u32 v14, v2, 3, 0
	v_lshl_add_u32 v2, v2, 2, 0
	v_add_u32_e32 v2, 0x40000, v2
	ds_write_b64 v14, v[8:9]
	ds_write_b32 v2, v13
	s_or_b64 exec, exec, s[78:79]
	s_and_saveexec_b64 s[64:65], vcc
	s_cbranch_execz .LBB96_46
.LBB96_112:                             ;   in Loop: Header=BB96_47 Depth=1
	v_mov_b32_e32 v2, s80
	ds_write_b64 v2, v[10:11]
	s_branch .LBB96_46
.LBB96_113:
	s_or_b64 exec, exec, s[68:69]
	v_readlane_b32 s0, v40, 2
	v_readlane_b32 s4, v40, 4
	;; [unrolled: 1-line block ×7, first 2 shown]
	s_lshl_b64 s[0:1], s[0:1], 3
	s_mov_b64 s[6:7], s[10:11]
	v_readlane_b32 s5, v40, 5
	s_add_u32 s4, s6, s0
	s_addc_u32 s5, s7, s1
	s_load_dwordx4 s[0:3], s[4:5], 0x0
	v_mov_b32_e32 v1, 0
	v_readlane_b32 s8, v40, 8
	v_readlane_b32 s9, v40, 9
	s_waitcnt lgkmcnt(0)
	s_sub_u32 s4, s2, s0
	s_subb_u32 s5, s3, s1
	v_cmp_gt_i64_e32 vcc, s[4:5], v[0:1]
	s_and_saveexec_b64 s[6:7], vcc
	s_cbranch_execz .LBB96_123
; %bb.114:
	v_readlane_b32 s8, v40, 12
	v_readlane_b32 s10, v40, 14
	;; [unrolled: 1-line block ×3, first 2 shown]
	s_sub_u32 s8, s0, s10
	s_subb_u32 s9, s1, 0
	s_and_b32 s6, s4, 7
	s_sub_u32 s0, s0, s2
	s_mov_b32 s7, 0
	s_subb_u32 s1, s1, s3
	s_and_b32 s10, s4, -8
	s_cmp_lg_u64 s[6:7], 0
	v_cmp_lt_u64_e64 s[0:1], s[0:1], -7
	s_cselect_b64 s[2:3], -1, 0
	v_readlane_b32 s11, v40, 15
	v_cndmask_b32_e64 v2, 0, 1, s[0:1]
	v_cmp_ne_u32_e64 s[0:1], 1, v2
	v_cndmask_b32_e64 v2, 0, 1, s[2:3]
	s_mov_b32 s11, s5
	s_mov_b64 s[12:13], 0
	v_cmp_ne_u32_e64 s[2:3], 1, v2
	s_mov_b64 s[14:15], 0x400
	s_branch .LBB96_116
.LBB96_115:                             ;   in Loop: Header=BB96_116 Depth=1
	v_readlane_b32 s16, v40, 0
	v_lshl_add_u64 v[0:1], v[0:1], 0, s[14:15]
	v_readlane_b32 s17, v40, 1
	v_cmp_le_i64_e32 vcc, s[4:5], v[0:1]
	s_or_b64 s[12:13], vcc, s[12:13]
	s_waitcnt lgkmcnt(1)
	v_lshl_add_u64 v[2:3], v[4:5], 2, s[16:17]
	s_waitcnt lgkmcnt(0)
	global_store_dword v[2:3], v6, off
	s_andn2_b64 exec, exec, s[12:13]
	s_cbranch_execz .LBB96_123
.LBB96_116:                             ; =>This Loop Header: Depth=1
                                        ;     Child Loop BB96_118 Depth 2
                                        ;     Child Loop BB96_122 Depth 2
	v_lshl_add_u32 v2, v0, 3, 0
	v_lshl_add_u32 v3, v0, 2, 0
	v_add_u32_e32 v4, 0x40000, v3
	ds_read_b64 v[2:3], v2
	ds_read_b32 v6, v4
	s_and_b64 vcc, exec, s[0:1]
	v_mov_b64_e32 v[4:5], s[8:9]
	s_mov_b64 s[16:17], 0
	s_cbranch_vccnz .LBB96_120
; %bb.117:                              ;   in Loop: Header=BB96_116 Depth=1
	s_mov_b32 s18, 0
	v_mov_b64_e32 v[4:5], s[8:9]
.LBB96_118:                             ;   Parent Loop BB96_116 Depth=1
                                        ; =>  This Inner Loop Header: Depth=2
	v_mov_b32_e32 v7, s18
	ds_read2_b64 v[8:11], v7 offset1:1
	ds_read2_b64 v[12:15], v7 offset0:2 offset1:3
	ds_read2_b64 v[16:19], v7 offset0:4 offset1:5
	;; [unrolled: 1-line block ×3, first 2 shown]
	v_mov_b32_e32 v25, s7
	s_waitcnt lgkmcnt(3)
	v_cmp_gt_i64_e32 vcc, v[2:3], v[8:9]
	v_mov_b32_e32 v27, s7
	v_mov_b32_e32 v29, s7
	v_cndmask_b32_e64 v24, 0, 1, vcc
	v_cmp_gt_i64_e32 vcc, v[2:3], v[10:11]
	v_lshl_add_u64 v[4:5], v[4:5], 0, v[24:25]
	v_mov_b32_e32 v31, s7
	v_cndmask_b32_e64 v26, 0, 1, vcc
	s_waitcnt lgkmcnt(2)
	v_cmp_gt_i64_e32 vcc, v[2:3], v[12:13]
	v_lshl_add_u64 v[4:5], v[4:5], 0, v[26:27]
	v_mov_b32_e32 v33, s7
	v_cndmask_b32_e64 v28, 0, 1, vcc
	v_cmp_gt_i64_e32 vcc, v[2:3], v[14:15]
	v_lshl_add_u64 v[4:5], v[4:5], 0, v[28:29]
	v_mov_b32_e32 v35, s7
	v_cndmask_b32_e64 v30, 0, 1, vcc
	s_waitcnt lgkmcnt(1)
	v_cmp_gt_i64_e32 vcc, v[2:3], v[16:17]
	v_lshl_add_u64 v[4:5], v[4:5], 0, v[30:31]
	v_mov_b32_e32 v37, s7
	v_cndmask_b32_e64 v32, 0, 1, vcc
	v_cmp_gt_i64_e32 vcc, v[2:3], v[18:19]
	v_lshl_add_u64 v[4:5], v[4:5], 0, v[32:33]
	s_add_u32 s16, s16, 8
	v_cndmask_b32_e64 v34, 0, 1, vcc
	s_waitcnt lgkmcnt(0)
	v_cmp_gt_i64_e32 vcc, v[2:3], v[20:21]
	v_lshl_add_u64 v[4:5], v[4:5], 0, v[34:35]
	v_mov_b32_e32 v39, s7
	v_cndmask_b32_e64 v36, 0, 1, vcc
	v_cmp_gt_i64_e32 vcc, v[2:3], v[22:23]
	s_addc_u32 s17, s17, 0
	s_add_i32 s18, s18, 64
	v_cndmask_b32_e64 v38, 0, 1, vcc
	v_lshl_add_u64 v[4:5], v[4:5], 0, v[36:37]
	s_cmp_eq_u64 s[10:11], s[16:17]
	v_lshl_add_u64 v[4:5], v[4:5], 0, v[38:39]
	s_cbranch_scc0 .LBB96_118
; %bb.119:                              ;   in Loop: Header=BB96_116 Depth=1
	s_mov_b64 s[16:17], s[10:11]
.LBB96_120:                             ;   in Loop: Header=BB96_116 Depth=1
	s_and_b64 vcc, exec, s[2:3]
	s_cbranch_vccnz .LBB96_115
; %bb.121:                              ;   in Loop: Header=BB96_116 Depth=1
	s_lshl_b32 s16, s16, 3
	s_add_i32 s18, s16, 0
	s_mov_b64 s[16:17], s[6:7]
.LBB96_122:                             ;   Parent Loop BB96_116 Depth=1
                                        ; =>  This Inner Loop Header: Depth=2
	v_mov_b32_e32 v7, s18
	ds_read_b64 v[10:11], v7
	s_add_i32 s18, s18, 8
	s_add_u32 s16, s16, -1
	v_mov_b32_e32 v9, s7
	s_addc_u32 s17, s17, -1
	s_waitcnt lgkmcnt(0)
	v_cmp_gt_i64_e32 vcc, v[2:3], v[10:11]
	s_cmp_lg_u64 s[16:17], 0
	s_nop 0
	v_cndmask_b32_e64 v8, 0, 1, vcc
	v_lshl_add_u64 v[4:5], v[4:5], 0, v[8:9]
	s_cbranch_scc1 .LBB96_122
	s_branch .LBB96_115
.LBB96_123:
	s_endpgm
	.section	.rodata,"a",@progbits
	.p2align	6, 0x0
	.amdhsa_kernel _ZN9rocsparseL41csrgemm_numeric_fill_block_per_row_kernelILj1024ELj64ELj32768ELj137ELj32EllfEEvT5_PKS1_S3_NS_24const_host_device_scalarIT6_EEPKT4_S3_PKS5_S9_S3_SB_S6_S9_S3_SB_S9_S3_PS5_21rocsparse_index_base_SD_SD_SD_bbb
		.amdhsa_group_segment_fixed_size 0
		.amdhsa_private_segment_fixed_size 0
		.amdhsa_kernarg_size 156
		.amdhsa_user_sgpr_count 2
		.amdhsa_user_sgpr_dispatch_ptr 0
		.amdhsa_user_sgpr_queue_ptr 0
		.amdhsa_user_sgpr_kernarg_segment_ptr 1
		.amdhsa_user_sgpr_dispatch_id 0
		.amdhsa_user_sgpr_kernarg_preload_length 0
		.amdhsa_user_sgpr_kernarg_preload_offset 0
		.amdhsa_user_sgpr_private_segment_size 0
		.amdhsa_uses_dynamic_stack 0
		.amdhsa_enable_private_segment 0
		.amdhsa_system_sgpr_workgroup_id_x 1
		.amdhsa_system_sgpr_workgroup_id_y 0
		.amdhsa_system_sgpr_workgroup_id_z 0
		.amdhsa_system_sgpr_workgroup_info 0
		.amdhsa_system_vgpr_workitem_id 0
		.amdhsa_next_free_vgpr 41
		.amdhsa_next_free_sgpr 100
		.amdhsa_accum_offset 44
		.amdhsa_reserve_vcc 1
		.amdhsa_float_round_mode_32 0
		.amdhsa_float_round_mode_16_64 0
		.amdhsa_float_denorm_mode_32 3
		.amdhsa_float_denorm_mode_16_64 3
		.amdhsa_dx10_clamp 1
		.amdhsa_ieee_mode 1
		.amdhsa_fp16_overflow 0
		.amdhsa_tg_split 0
		.amdhsa_exception_fp_ieee_invalid_op 0
		.amdhsa_exception_fp_denorm_src 0
		.amdhsa_exception_fp_ieee_div_zero 0
		.amdhsa_exception_fp_ieee_overflow 0
		.amdhsa_exception_fp_ieee_underflow 0
		.amdhsa_exception_fp_ieee_inexact 0
		.amdhsa_exception_int_div_zero 0
	.end_amdhsa_kernel
	.section	.text._ZN9rocsparseL41csrgemm_numeric_fill_block_per_row_kernelILj1024ELj64ELj32768ELj137ELj32EllfEEvT5_PKS1_S3_NS_24const_host_device_scalarIT6_EEPKT4_S3_PKS5_S9_S3_SB_S6_S9_S3_SB_S9_S3_PS5_21rocsparse_index_base_SD_SD_SD_bbb,"axG",@progbits,_ZN9rocsparseL41csrgemm_numeric_fill_block_per_row_kernelILj1024ELj64ELj32768ELj137ELj32EllfEEvT5_PKS1_S3_NS_24const_host_device_scalarIT6_EEPKT4_S3_PKS5_S9_S3_SB_S6_S9_S3_SB_S9_S3_PS5_21rocsparse_index_base_SD_SD_SD_bbb,comdat
.Lfunc_end96:
	.size	_ZN9rocsparseL41csrgemm_numeric_fill_block_per_row_kernelILj1024ELj64ELj32768ELj137ELj32EllfEEvT5_PKS1_S3_NS_24const_host_device_scalarIT6_EEPKT4_S3_PKS5_S9_S3_SB_S6_S9_S3_SB_S9_S3_PS5_21rocsparse_index_base_SD_SD_SD_bbb, .Lfunc_end96-_ZN9rocsparseL41csrgemm_numeric_fill_block_per_row_kernelILj1024ELj64ELj32768ELj137ELj32EllfEEvT5_PKS1_S3_NS_24const_host_device_scalarIT6_EEPKT4_S3_PKS5_S9_S3_SB_S6_S9_S3_SB_S9_S3_PS5_21rocsparse_index_base_SD_SD_SD_bbb
                                        ; -- End function
	.set _ZN9rocsparseL41csrgemm_numeric_fill_block_per_row_kernelILj1024ELj64ELj32768ELj137ELj32EllfEEvT5_PKS1_S3_NS_24const_host_device_scalarIT6_EEPKT4_S3_PKS5_S9_S3_SB_S6_S9_S3_SB_S9_S3_PS5_21rocsparse_index_base_SD_SD_SD_bbb.num_vgpr, 41
	.set _ZN9rocsparseL41csrgemm_numeric_fill_block_per_row_kernelILj1024ELj64ELj32768ELj137ELj32EllfEEvT5_PKS1_S3_NS_24const_host_device_scalarIT6_EEPKT4_S3_PKS5_S9_S3_SB_S6_S9_S3_SB_S9_S3_PS5_21rocsparse_index_base_SD_SD_SD_bbb.num_agpr, 0
	.set _ZN9rocsparseL41csrgemm_numeric_fill_block_per_row_kernelILj1024ELj64ELj32768ELj137ELj32EllfEEvT5_PKS1_S3_NS_24const_host_device_scalarIT6_EEPKT4_S3_PKS5_S9_S3_SB_S6_S9_S3_SB_S9_S3_PS5_21rocsparse_index_base_SD_SD_SD_bbb.numbered_sgpr, 100
	.set _ZN9rocsparseL41csrgemm_numeric_fill_block_per_row_kernelILj1024ELj64ELj32768ELj137ELj32EllfEEvT5_PKS1_S3_NS_24const_host_device_scalarIT6_EEPKT4_S3_PKS5_S9_S3_SB_S6_S9_S3_SB_S9_S3_PS5_21rocsparse_index_base_SD_SD_SD_bbb.num_named_barrier, 0
	.set _ZN9rocsparseL41csrgemm_numeric_fill_block_per_row_kernelILj1024ELj64ELj32768ELj137ELj32EllfEEvT5_PKS1_S3_NS_24const_host_device_scalarIT6_EEPKT4_S3_PKS5_S9_S3_SB_S6_S9_S3_SB_S9_S3_PS5_21rocsparse_index_base_SD_SD_SD_bbb.private_seg_size, 0
	.set _ZN9rocsparseL41csrgemm_numeric_fill_block_per_row_kernelILj1024ELj64ELj32768ELj137ELj32EllfEEvT5_PKS1_S3_NS_24const_host_device_scalarIT6_EEPKT4_S3_PKS5_S9_S3_SB_S6_S9_S3_SB_S9_S3_PS5_21rocsparse_index_base_SD_SD_SD_bbb.uses_vcc, 1
	.set _ZN9rocsparseL41csrgemm_numeric_fill_block_per_row_kernelILj1024ELj64ELj32768ELj137ELj32EllfEEvT5_PKS1_S3_NS_24const_host_device_scalarIT6_EEPKT4_S3_PKS5_S9_S3_SB_S6_S9_S3_SB_S9_S3_PS5_21rocsparse_index_base_SD_SD_SD_bbb.uses_flat_scratch, 0
	.set _ZN9rocsparseL41csrgemm_numeric_fill_block_per_row_kernelILj1024ELj64ELj32768ELj137ELj32EllfEEvT5_PKS1_S3_NS_24const_host_device_scalarIT6_EEPKT4_S3_PKS5_S9_S3_SB_S6_S9_S3_SB_S9_S3_PS5_21rocsparse_index_base_SD_SD_SD_bbb.has_dyn_sized_stack, 0
	.set _ZN9rocsparseL41csrgemm_numeric_fill_block_per_row_kernelILj1024ELj64ELj32768ELj137ELj32EllfEEvT5_PKS1_S3_NS_24const_host_device_scalarIT6_EEPKT4_S3_PKS5_S9_S3_SB_S6_S9_S3_SB_S9_S3_PS5_21rocsparse_index_base_SD_SD_SD_bbb.has_recursion, 0
	.set _ZN9rocsparseL41csrgemm_numeric_fill_block_per_row_kernelILj1024ELj64ELj32768ELj137ELj32EllfEEvT5_PKS1_S3_NS_24const_host_device_scalarIT6_EEPKT4_S3_PKS5_S9_S3_SB_S6_S9_S3_SB_S9_S3_PS5_21rocsparse_index_base_SD_SD_SD_bbb.has_indirect_call, 0
	.section	.AMDGPU.csdata,"",@progbits
; Kernel info:
; codeLenInByte = 4784
; TotalNumSgprs: 106
; NumVgprs: 41
; NumAgprs: 0
; TotalNumVgprs: 41
; ScratchSize: 0
; MemoryBound: 0
; FloatMode: 240
; IeeeMode: 1
; LDSByteSize: 0 bytes/workgroup (compile time only)
; SGPRBlocks: 13
; VGPRBlocks: 5
; NumSGPRsForWavesPerEU: 106
; NumVGPRsForWavesPerEU: 41
; AccumOffset: 44
; Occupancy: 7
; WaveLimiterHint : 1
; COMPUTE_PGM_RSRC2:SCRATCH_EN: 0
; COMPUTE_PGM_RSRC2:USER_SGPR: 2
; COMPUTE_PGM_RSRC2:TRAP_HANDLER: 0
; COMPUTE_PGM_RSRC2:TGID_X_EN: 1
; COMPUTE_PGM_RSRC2:TGID_Y_EN: 0
; COMPUTE_PGM_RSRC2:TGID_Z_EN: 0
; COMPUTE_PGM_RSRC2:TIDIG_COMP_CNT: 0
; COMPUTE_PGM_RSRC3_GFX90A:ACCUM_OFFSET: 10
; COMPUTE_PGM_RSRC3_GFX90A:TG_SPLIT: 0
	.section	.text._ZN9rocsparseL41csrgemm_numeric_fill_block_per_row_kernelILj1024ELj64ELj32768ELj137ELj64EllfEEvT5_PKS1_S3_NS_24const_host_device_scalarIT6_EEPKT4_S3_PKS5_S9_S3_SB_S6_S9_S3_SB_S9_S3_PS5_21rocsparse_index_base_SD_SD_SD_bbb,"axG",@progbits,_ZN9rocsparseL41csrgemm_numeric_fill_block_per_row_kernelILj1024ELj64ELj32768ELj137ELj64EllfEEvT5_PKS1_S3_NS_24const_host_device_scalarIT6_EEPKT4_S3_PKS5_S9_S3_SB_S6_S9_S3_SB_S9_S3_PS5_21rocsparse_index_base_SD_SD_SD_bbb,comdat
	.globl	_ZN9rocsparseL41csrgemm_numeric_fill_block_per_row_kernelILj1024ELj64ELj32768ELj137ELj64EllfEEvT5_PKS1_S3_NS_24const_host_device_scalarIT6_EEPKT4_S3_PKS5_S9_S3_SB_S6_S9_S3_SB_S9_S3_PS5_21rocsparse_index_base_SD_SD_SD_bbb ; -- Begin function _ZN9rocsparseL41csrgemm_numeric_fill_block_per_row_kernelILj1024ELj64ELj32768ELj137ELj64EllfEEvT5_PKS1_S3_NS_24const_host_device_scalarIT6_EEPKT4_S3_PKS5_S9_S3_SB_S6_S9_S3_SB_S9_S3_PS5_21rocsparse_index_base_SD_SD_SD_bbb
	.p2align	8
	.type	_ZN9rocsparseL41csrgemm_numeric_fill_block_per_row_kernelILj1024ELj64ELj32768ELj137ELj64EllfEEvT5_PKS1_S3_NS_24const_host_device_scalarIT6_EEPKT4_S3_PKS5_S9_S3_SB_S6_S9_S3_SB_S9_S3_PS5_21rocsparse_index_base_SD_SD_SD_bbb,@function
_ZN9rocsparseL41csrgemm_numeric_fill_block_per_row_kernelILj1024ELj64ELj32768ELj137ELj64EllfEEvT5_PKS1_S3_NS_24const_host_device_scalarIT6_EEPKT4_S3_PKS5_S9_S3_SB_S6_S9_S3_SB_S9_S3_PS5_21rocsparse_index_base_SD_SD_SD_bbb: ; @_ZN9rocsparseL41csrgemm_numeric_fill_block_per_row_kernelILj1024ELj64ELj32768ELj137ELj64EllfEEvT5_PKS1_S3_NS_24const_host_device_scalarIT6_EEPKT4_S3_PKS5_S9_S3_SB_S6_S9_S3_SB_S9_S3_PS5_21rocsparse_index_base_SD_SD_SD_bbb
; %bb.0:
	s_load_dword s3, s[0:1], 0x98
	s_load_dwordx4 s[44:47], s[0:1], 0x88
	s_load_dwordx2 s[6:7], s[0:1], 0x18
	s_load_dwordx2 s[24:25], s[0:1], 0x50
	s_waitcnt lgkmcnt(0)
	s_bitcmp1_b32 s3, 0
	s_cselect_b64 s[4:5], -1, 0
	s_bitcmp1_b32 s3, 16
	s_cselect_b64 s[26:27], -1, 0
	s_xor_b64 s[8:9], s[4:5], -1
	s_or_b64 s[8:9], s[26:27], s[8:9]
	s_and_b64 vcc, exec, s[8:9]
	s_cbranch_vccnz .LBB97_2
; %bb.1:
	s_load_dword s6, s[6:7], 0x0
	s_waitcnt lgkmcnt(0)
	v_mov_b32_e32 v22, s6
	s_branch .LBB97_3
.LBB97_2:
	v_mov_b32_e32 v1, s6
	v_cndmask_b32_e64 v22, 0, v1, s[4:5]
.LBB97_3:
	s_load_dwordx2 s[34:35], s[0:1], 0x80
	s_load_dwordx8 s[36:43], s[0:1], 0x58
	s_load_dwordx4 s[16:19], s[0:1], 0x40
	s_load_dwordx4 s[20:23], s[0:1], 0x8
	s_load_dwordx8 s[8:15], s[0:1], 0x20
	s_bitcmp1_b32 s3, 8
	s_cselect_b64 s[6:7], -1, 0
	s_xor_b64 s[28:29], s[6:7], -1
	s_or_b64 s[26:27], s[26:27], s[28:29]
	s_and_b64 vcc, exec, s[26:27]
	s_cbranch_vccnz .LBB97_5
; %bb.4:
	s_load_dword s3, s[24:25], 0x0
	s_waitcnt lgkmcnt(0)
	v_mov_b32_e32 v20, s3
	s_branch .LBB97_6
.LBB97_5:
	v_mov_b32_e32 v1, s24
	v_cndmask_b32_e64 v20, 0, v1, s[6:7]
.LBB97_6:
	s_load_dwordx2 s[48:49], s[0:1], 0x0
	v_lshl_add_u32 v2, v0, 2, 0
	v_or_b32_e32 v1, 0xfffffc00, v0
	v_add_u32_e32 v18, 0x40000, v2
	v_lshl_add_u32 v19, v0, 3, 0
	s_mov_b64 s[0:1], 0
	s_waitcnt lgkmcnt(0)
	v_mov_b64_e32 v[6:7], s[48:49]
	v_mov_b32_e32 v2, 0
	s_movk_i32 s3, 0x7bff
	v_mov_b32_e32 v3, v19
	v_mov_b32_e32 v4, v18
	;; [unrolled: 1-line block ×3, first 2 shown]
.LBB97_7:                               ; =>This Inner Loop Header: Depth=1
	v_add_u32_e32 v5, 0x400, v5
	v_cmp_lt_u32_e32 vcc, s3, v5
	ds_write_b64 v3, v[6:7]
	ds_write_b32 v4, v2
	v_add_u32_e32 v4, 0x1000, v4
	s_or_b64 s[0:1], vcc, s[0:1]
	v_add_u32_e32 v3, 0x2000, v3
	s_andn2_b64 exec, exec, s[0:1]
	s_cbranch_execnz .LBB97_7
; %bb.8:
	s_or_b64 exec, exec, s[0:1]
	s_waitcnt lgkmcnt(0)
	s_barrier
	s_load_dwordx2 s[0:1], s[20:21], 0x0
	s_mov_b32 s3, 0
	v_lshrrev_b32_e32 v21, 6, v0
	s_waitcnt lgkmcnt(0)
	s_lshl_b64 s[0:1], s[0:1], 3
	s_add_u32 s20, s22, s0
	s_addc_u32 s21, s23, s1
	s_lshl_b64 s[0:1], s[2:3], 3
	s_add_u32 s0, s20, s0
	s_addc_u32 s1, s21, s1
	s_load_dwordx2 s[50:51], s[0:1], 0x0
	s_and_b64 vcc, exec, s[4:5]
	s_cbranch_vccz .LBB97_28
; %bb.9:
	s_waitcnt lgkmcnt(0)
	s_lshl_b64 s[0:1], s[50:51], 3
	s_add_u32 s0, s8, s0
	s_addc_u32 s1, s9, s1
	s_load_dwordx4 s[20:23], s[0:1], 0x0
	v_subrev_co_u32_e32 v2, vcc, s44, v21
	s_nop 1
	v_subb_co_u32_e64 v3, s[0:1], 0, 0, vcc
	s_waitcnt lgkmcnt(0)
	s_sub_u32 s0, s22, s44
	s_subb_u32 s1, s23, 0
	v_lshl_add_u64 v[2:3], s[20:21], 0, v[2:3]
	v_cmp_gt_i64_e32 vcc, s[0:1], v[2:3]
	s_and_saveexec_b64 s[2:3], vcc
	s_cbranch_execz .LBB97_27
; %bb.10:
	v_and_b32_e32 v4, 63, v0
	v_subrev_co_u32_e32 v4, vcc, s45, v4
	s_mov_b32 s33, s45
	s_nop 0
	v_subb_co_u32_e64 v5, s[4:5], 0, 0, vcc
	s_mov_b64 s[4:5], 0
	s_movk_i32 s45, 0x89
	s_branch .LBB97_12
.LBB97_11:                              ;   in Loop: Header=BB97_12 Depth=1
	s_or_b64 exec, exec, s[8:9]
	v_lshl_add_u64 v[2:3], v[2:3], 0, 16
	v_cmp_le_i64_e32 vcc, s[0:1], v[2:3]
	s_or_b64 s[4:5], vcc, s[4:5]
	s_andn2_b64 exec, exec, s[4:5]
	s_cbranch_execz .LBB97_27
.LBB97_12:                              ; =>This Loop Header: Depth=1
                                        ;     Child Loop BB97_16 Depth 2
                                        ;       Child Loop BB97_19 Depth 3
	v_lshl_add_u64 v[6:7], v[2:3], 3, s[10:11]
	global_load_dwordx2 v[6:7], v[6:7], off
	s_waitcnt vmcnt(0)
	v_subrev_co_u32_e32 v6, vcc, s44, v6
	s_nop 1
	v_subbrev_co_u32_e32 v7, vcc, 0, v7, vcc
	v_lshl_add_u64 v[6:7], v[6:7], 3, s[14:15]
	global_load_dwordx4 v[8:11], v[6:7], off
	s_waitcnt vmcnt(0)
	v_subrev_co_u32_e32 v6, vcc, s33, v10
	s_nop 1
	v_subbrev_co_u32_e32 v7, vcc, 0, v11, vcc
	v_lshl_add_u64 v[8:9], v[8:9], 0, v[4:5]
	v_cmp_lt_i64_e32 vcc, v[8:9], v[6:7]
	s_and_saveexec_b64 s[8:9], vcc
	s_cbranch_execz .LBB97_11
; %bb.13:                               ;   in Loop: Header=BB97_12 Depth=1
	v_lshl_add_u64 v[10:11], v[2:3], 2, s[12:13]
	global_load_dword v10, v[10:11], off
	s_mov_b64 s[20:21], 0
	s_waitcnt vmcnt(0)
	v_mul_f32_e32 v23, v22, v10
	s_branch .LBB97_16
.LBB97_14:                              ;   in Loop: Header=BB97_16 Depth=2
	s_or_b64 exec, exec, s[24:25]
.LBB97_15:                              ;   in Loop: Header=BB97_16 Depth=2
	s_or_b64 exec, exec, s[22:23]
	v_lshl_add_u32 v11, v12, 2, 0
	s_waitcnt vmcnt(0)
	v_mul_f32_e32 v10, v23, v24
	v_add_u32_e32 v11, 0x40000, v11
	ds_add_f32 v11, v10
	v_lshl_add_u64 v[8:9], v[8:9], 0, 64
	v_cmp_ge_i64_e32 vcc, v[8:9], v[6:7]
	s_or_b64 s[20:21], vcc, s[20:21]
	s_andn2_b64 exec, exec, s[20:21]
	s_cbranch_execz .LBB97_11
.LBB97_16:                              ;   Parent Loop BB97_12 Depth=1
                                        ; =>  This Loop Header: Depth=2
                                        ;       Child Loop BB97_19 Depth 3
	v_lshl_add_u64 v[10:11], v[8:9], 3, s[16:17]
	global_load_dwordx2 v[10:11], v[10:11], off
	v_lshl_add_u64 v[12:13], v[8:9], 2, s[18:19]
	global_load_dword v24, v[12:13], off
	s_waitcnt vmcnt(1)
	v_subrev_co_u32_e32 v10, vcc, s33, v10
	v_mul_lo_u32 v12, v10, s45
	v_and_b32_e32 v12, 0x7fff, v12
	v_lshl_add_u32 v25, v12, 3, 0
	ds_read_b64 v[16:17], v25
	v_subbrev_co_u32_e32 v11, vcc, 0, v11, vcc
	s_waitcnt lgkmcnt(0)
	v_cmp_ne_u64_e32 vcc, v[16:17], v[10:11]
	s_and_saveexec_b64 s[22:23], vcc
	s_cbranch_execz .LBB97_15
; %bb.17:                               ;   in Loop: Header=BB97_16 Depth=2
	s_mov_b64 s[24:25], 0
                                        ; implicit-def: $sgpr26_sgpr27
                                        ; implicit-def: $sgpr28_sgpr29
	s_branch .LBB97_19
.LBB97_18:                              ;   in Loop: Header=BB97_19 Depth=3
	s_or_b64 exec, exec, s[54:55]
	s_and_b64 s[30:31], exec, s[52:53]
	s_or_b64 s[24:25], s[30:31], s[24:25]
	s_andn2_b64 s[26:27], s[26:27], exec
	s_and_b64 s[30:31], s[28:29], exec
	s_or_b64 s[26:27], s[26:27], s[30:31]
	s_andn2_b64 exec, exec, s[24:25]
	s_cbranch_execz .LBB97_25
.LBB97_19:                              ;   Parent Loop BB97_12 Depth=1
                                        ;     Parent Loop BB97_16 Depth=2
                                        ; =>    This Inner Loop Header: Depth=3
	v_mov_b64_e32 v[14:15], v[12:13]
	v_cmp_ne_u64_e32 vcc, s[48:49], v[16:17]
	s_mov_b64 s[30:31], 0
                                        ; implicit-def: $vgpr12_vgpr13
	s_and_saveexec_b64 s[52:53], vcc
	s_xor_b64 s[52:53], exec, s[52:53]
; %bb.20:                               ;   in Loop: Header=BB97_19 Depth=3
	v_add_u32_e32 v12, 1, v14
	s_mov_b64 s[30:31], exec
	v_and_b32_e32 v12, 0x7fff, v12
                                        ; implicit-def: $vgpr25
; %bb.21:                               ;   in Loop: Header=BB97_19 Depth=3
	s_andn2_saveexec_b64 s[52:53], s[52:53]
	s_cbranch_execz .LBB97_23
; %bb.22:                               ;   in Loop: Header=BB97_19 Depth=3
	v_mov_b64_e32 v[12:13], s[48:49]
	ds_cmpst_rtn_b64 v[12:13], v25, v[12:13], v[10:11]
	s_andn2_b64 s[30:31], s[30:31], exec
	s_waitcnt lgkmcnt(0)
	v_cmp_ne_u64_e32 vcc, s[48:49], v[12:13]
	s_and_b64 s[54:55], vcc, exec
	s_or_b64 s[30:31], s[30:31], s[54:55]
	v_mov_b64_e32 v[12:13], v[14:15]
.LBB97_23:                              ;   in Loop: Header=BB97_19 Depth=3
	s_or_b64 exec, exec, s[52:53]
	s_mov_b64 s[52:53], -1
	s_or_b64 s[28:29], s[28:29], exec
                                        ; implicit-def: $vgpr25
                                        ; implicit-def: $vgpr16_vgpr17
	s_and_saveexec_b64 s[54:55], s[30:31]
	s_cbranch_execz .LBB97_18
; %bb.24:                               ;   in Loop: Header=BB97_19 Depth=3
	v_lshl_add_u32 v25, v12, 3, 0
	ds_read_b64 v[16:17], v25
	s_andn2_b64 s[28:29], s[28:29], exec
	s_waitcnt lgkmcnt(0)
	v_cmp_eq_u64_e32 vcc, v[16:17], v[10:11]
	s_orn2_b64 s[52:53], vcc, exec
	s_branch .LBB97_18
.LBB97_25:                              ;   in Loop: Header=BB97_16 Depth=2
	s_or_b64 exec, exec, s[24:25]
	s_and_saveexec_b64 s[24:25], s[26:27]
	s_xor_b64 s[24:25], exec, s[24:25]
	s_cbranch_execz .LBB97_14
; %bb.26:                               ;   in Loop: Header=BB97_16 Depth=2
	v_mov_b32_e32 v12, v14
	s_branch .LBB97_14
.LBB97_27:
	s_or_b64 exec, exec, s[2:3]
.LBB97_28:
	s_andn2_b64 vcc, exec, s[6:7]
	s_cbranch_vccnz .LBB97_45
; %bb.29:
	s_waitcnt lgkmcnt(0)
	s_lshl_b64 s[0:1], s[50:51], 3
	s_add_u32 s0, s36, s0
	s_addc_u32 s1, s37, s1
	s_load_dwordx4 s[4:7], s[0:1], 0x0
	v_subrev_co_u32_e32 v2, vcc, s47, v0
	s_waitcnt lgkmcnt(0)
	s_sub_u32 s0, s6, s47
	v_subb_co_u32_e64 v3, s[2:3], 0, 0, vcc
	s_subb_u32 s1, s7, 0
	v_lshl_add_u64 v[2:3], s[4:5], 0, v[2:3]
	v_cmp_gt_i64_e32 vcc, s[0:1], v[2:3]
	s_and_saveexec_b64 s[2:3], vcc
	s_cbranch_execz .LBB97_44
; %bb.30:
	s_mov_b32 s22, s47
	s_mov_b64 s[4:5], 0
	s_movk_i32 s23, 0x89
	s_mov_b64 s[6:7], 0x400
	s_branch .LBB97_33
.LBB97_31:                              ;   in Loop: Header=BB97_33 Depth=1
	s_or_b64 exec, exec, s[10:11]
.LBB97_32:                              ;   in Loop: Header=BB97_33 Depth=1
	s_or_b64 exec, exec, s[8:9]
	v_lshl_add_u32 v5, v6, 2, 0
	s_waitcnt vmcnt(0)
	v_mul_f32_e32 v4, v20, v12
	v_add_u32_e32 v5, 0x40000, v5
	ds_add_f32 v5, v4
	v_lshl_add_u64 v[2:3], v[2:3], 0, s[6:7]
	v_cmp_le_i64_e32 vcc, s[0:1], v[2:3]
	s_or_b64 s[4:5], vcc, s[4:5]
	s_andn2_b64 exec, exec, s[4:5]
	s_cbranch_execz .LBB97_44
.LBB97_33:                              ; =>This Loop Header: Depth=1
                                        ;     Child Loop BB97_36 Depth 2
	v_lshl_add_u64 v[4:5], v[2:3], 3, s[38:39]
	global_load_dwordx2 v[4:5], v[4:5], off
	v_lshl_add_u64 v[6:7], v[2:3], 2, s[40:41]
	global_load_dword v12, v[6:7], off
	s_waitcnt vmcnt(1)
	v_subrev_co_u32_e32 v4, vcc, s22, v4
	v_mul_lo_u32 v6, v4, s23
	v_and_b32_e32 v6, 0x7fff, v6
	v_lshl_add_u32 v13, v6, 3, 0
	ds_read_b64 v[10:11], v13
	v_subbrev_co_u32_e32 v5, vcc, 0, v5, vcc
	s_waitcnt lgkmcnt(0)
	v_cmp_ne_u64_e32 vcc, v[10:11], v[4:5]
	s_and_saveexec_b64 s[8:9], vcc
	s_cbranch_execz .LBB97_32
; %bb.34:                               ;   in Loop: Header=BB97_33 Depth=1
	s_mov_b64 s[10:11], 0
                                        ; implicit-def: $sgpr12_sgpr13
                                        ; implicit-def: $sgpr14_sgpr15
	s_branch .LBB97_36
.LBB97_35:                              ;   in Loop: Header=BB97_36 Depth=2
	s_or_b64 exec, exec, s[20:21]
	s_and_b64 s[16:17], exec, s[18:19]
	s_or_b64 s[10:11], s[16:17], s[10:11]
	s_andn2_b64 s[12:13], s[12:13], exec
	s_and_b64 s[16:17], s[14:15], exec
	s_or_b64 s[12:13], s[12:13], s[16:17]
	s_andn2_b64 exec, exec, s[10:11]
	s_cbranch_execz .LBB97_42
.LBB97_36:                              ;   Parent Loop BB97_33 Depth=1
                                        ; =>  This Inner Loop Header: Depth=2
	v_mov_b64_e32 v[8:9], v[6:7]
	v_cmp_ne_u64_e32 vcc, s[48:49], v[10:11]
	s_mov_b64 s[16:17], 0
                                        ; implicit-def: $vgpr6_vgpr7
	s_and_saveexec_b64 s[18:19], vcc
	s_xor_b64 s[18:19], exec, s[18:19]
; %bb.37:                               ;   in Loop: Header=BB97_36 Depth=2
	v_add_u32_e32 v6, 1, v8
	s_mov_b64 s[16:17], exec
	v_and_b32_e32 v6, 0x7fff, v6
                                        ; implicit-def: $vgpr13
; %bb.38:                               ;   in Loop: Header=BB97_36 Depth=2
	s_andn2_saveexec_b64 s[18:19], s[18:19]
	s_cbranch_execz .LBB97_40
; %bb.39:                               ;   in Loop: Header=BB97_36 Depth=2
	v_mov_b64_e32 v[6:7], s[48:49]
	ds_cmpst_rtn_b64 v[6:7], v13, v[6:7], v[4:5]
	s_andn2_b64 s[16:17], s[16:17], exec
	s_waitcnt lgkmcnt(0)
	v_cmp_ne_u64_e32 vcc, s[48:49], v[6:7]
	s_and_b64 s[20:21], vcc, exec
	s_or_b64 s[16:17], s[16:17], s[20:21]
	v_mov_b64_e32 v[6:7], v[8:9]
.LBB97_40:                              ;   in Loop: Header=BB97_36 Depth=2
	s_or_b64 exec, exec, s[18:19]
	s_mov_b64 s[18:19], -1
	s_or_b64 s[14:15], s[14:15], exec
                                        ; implicit-def: $vgpr13
                                        ; implicit-def: $vgpr10_vgpr11
	s_and_saveexec_b64 s[20:21], s[16:17]
	s_cbranch_execz .LBB97_35
; %bb.41:                               ;   in Loop: Header=BB97_36 Depth=2
	v_lshl_add_u32 v13, v6, 3, 0
	ds_read_b64 v[10:11], v13
	s_andn2_b64 s[14:15], s[14:15], exec
	s_waitcnt lgkmcnt(0)
	v_cmp_eq_u64_e32 vcc, v[10:11], v[4:5]
	s_orn2_b64 s[18:19], vcc, exec
	s_branch .LBB97_35
.LBB97_42:                              ;   in Loop: Header=BB97_33 Depth=1
	s_or_b64 exec, exec, s[10:11]
	s_and_saveexec_b64 s[10:11], s[12:13]
	s_xor_b64 s[10:11], exec, s[10:11]
	s_cbranch_execz .LBB97_31
; %bb.43:                               ;   in Loop: Header=BB97_33 Depth=1
	v_mov_b32_e32 v6, v8
	s_branch .LBB97_31
.LBB97_44:
	s_or_b64 exec, exec, s[2:3]
.LBB97_45:
	v_mbcnt_lo_u32_b32 v2, -1, 0
	v_mbcnt_hi_u32_b32 v2, -1, v2
	v_sub_u32_e32 v2, 63, v2
	s_add_i32 s33, 0, 0x60000
	s_movk_i32 s0, 0x3ff
	s_movk_i32 s2, 0x7f
	;; [unrolled: 1-line block ×15, first 2 shown]
	s_add_i32 s61, 0, 0x60078
	v_mov_b32_e32 v3, 0
	v_lshrrev_b64 v[4:5], v2, -1
	v_lshl_add_u32 v12, v21, 3, s33
	v_cmp_eq_u32_e32 vcc, s0, v0
	v_cmp_lt_u32_e64 s[0:1], 63, v0
	v_cmp_lt_u32_e64 s[2:3], s2, v0
	;; [unrolled: 1-line block ×15, first 2 shown]
	s_mov_b64 s[36:37], 0
	v_mov_b64_e32 v[6:7], 0
	s_add_i32 s40, 0, 0x60008
	s_add_i32 s41, 0, 0x60010
	;; [unrolled: 1-line block ×14, first 2 shown]
	v_mov_b32_e32 v13, s61
	s_movk_i32 s62, 0x7bff
	s_waitcnt lgkmcnt(0)
	s_barrier
	s_branch .LBB97_47
.LBB97_46:                              ;   in Loop: Header=BB97_47 Depth=1
	s_or_b64 exec, exec, s[30:31]
	s_waitcnt lgkmcnt(0)
	s_barrier
	ds_read_b64 v[8:9], v13
	v_add_u32_e32 v1, 0x400, v1
	v_cmp_lt_u32_e64 s[30:31], s62, v1
	v_add_u32_e32 v18, 0x1000, v18
	s_or_b64 s[36:37], s[30:31], s[36:37]
	s_waitcnt lgkmcnt(0)
	v_lshl_add_u64 v[6:7], v[8:9], 0, v[6:7]
	v_add_u32_e32 v19, 0x2000, v19
	s_andn2_b64 exec, exec, s[36:37]
	s_cbranch_execz .LBB97_81
.LBB97_47:                              ; =>This Inner Loop Header: Depth=1
	ds_read_b64 v[8:9], v19
	ds_read_b32 v14, v18
	s_waitcnt lgkmcnt(0)
	s_barrier
	v_cmp_gt_i64_e64 s[30:31], s[48:49], v[8:9]
	s_bcnt1_i32_b64 s38, s[30:31]
	v_mov_b32_e32 v2, s38
	v_and_b32_e32 v11, s30, v4
	v_and_b32_e32 v10, s31, v5
	v_bcnt_u32_b32 v11, v11, 0
	v_bcnt_u32_b32 v10, v10, v11
	ds_write_b64 v12, v[2:3]
	s_waitcnt lgkmcnt(0)
	s_barrier
	s_and_saveexec_b64 s[38:39], s[0:1]
	s_cbranch_execnz .LBB97_64
; %bb.48:                               ;   in Loop: Header=BB97_47 Depth=1
	s_or_b64 exec, exec, s[38:39]
	s_and_saveexec_b64 s[38:39], s[2:3]
	s_cbranch_execnz .LBB97_65
.LBB97_49:                              ;   in Loop: Header=BB97_47 Depth=1
	s_or_b64 exec, exec, s[38:39]
	s_and_saveexec_b64 s[38:39], s[4:5]
	s_cbranch_execnz .LBB97_66
.LBB97_50:                              ;   in Loop: Header=BB97_47 Depth=1
	s_or_b64 exec, exec, s[38:39]
	s_and_saveexec_b64 s[38:39], s[6:7]
	s_cbranch_execnz .LBB97_67
.LBB97_51:                              ;   in Loop: Header=BB97_47 Depth=1
	s_or_b64 exec, exec, s[38:39]
	s_and_saveexec_b64 s[38:39], s[8:9]
	s_cbranch_execnz .LBB97_68
.LBB97_52:                              ;   in Loop: Header=BB97_47 Depth=1
	s_or_b64 exec, exec, s[38:39]
	s_and_saveexec_b64 s[38:39], s[10:11]
	s_cbranch_execnz .LBB97_69
.LBB97_53:                              ;   in Loop: Header=BB97_47 Depth=1
	s_or_b64 exec, exec, s[38:39]
	s_and_saveexec_b64 s[38:39], s[12:13]
	s_cbranch_execnz .LBB97_70
.LBB97_54:                              ;   in Loop: Header=BB97_47 Depth=1
	s_or_b64 exec, exec, s[38:39]
	s_and_saveexec_b64 s[38:39], s[14:15]
	s_cbranch_execnz .LBB97_71
.LBB97_55:                              ;   in Loop: Header=BB97_47 Depth=1
	s_or_b64 exec, exec, s[38:39]
	s_and_saveexec_b64 s[38:39], s[16:17]
	s_cbranch_execnz .LBB97_72
.LBB97_56:                              ;   in Loop: Header=BB97_47 Depth=1
	s_or_b64 exec, exec, s[38:39]
	s_and_saveexec_b64 s[38:39], s[18:19]
	s_cbranch_execnz .LBB97_73
.LBB97_57:                              ;   in Loop: Header=BB97_47 Depth=1
	s_or_b64 exec, exec, s[38:39]
	s_and_saveexec_b64 s[38:39], s[20:21]
	s_cbranch_execnz .LBB97_74
.LBB97_58:                              ;   in Loop: Header=BB97_47 Depth=1
	s_or_b64 exec, exec, s[38:39]
	s_and_saveexec_b64 s[38:39], s[22:23]
	s_cbranch_execnz .LBB97_75
.LBB97_59:                              ;   in Loop: Header=BB97_47 Depth=1
	s_or_b64 exec, exec, s[38:39]
	s_and_saveexec_b64 s[38:39], s[24:25]
	s_cbranch_execnz .LBB97_76
.LBB97_60:                              ;   in Loop: Header=BB97_47 Depth=1
	s_or_b64 exec, exec, s[38:39]
	s_and_saveexec_b64 s[38:39], s[26:27]
	s_cbranch_execnz .LBB97_77
.LBB97_61:                              ;   in Loop: Header=BB97_47 Depth=1
	s_or_b64 exec, exec, s[38:39]
	s_and_saveexec_b64 s[38:39], s[28:29]
	s_cbranch_execnz .LBB97_78
.LBB97_62:                              ;   in Loop: Header=BB97_47 Depth=1
	s_or_b64 exec, exec, s[38:39]
	v_ashrrev_i32_e32 v11, 31, v10
	s_and_saveexec_b64 s[38:39], s[30:31]
	s_cbranch_execnz .LBB97_79
.LBB97_63:                              ;   in Loop: Header=BB97_47 Depth=1
	s_or_b64 exec, exec, s[38:39]
	s_and_saveexec_b64 s[30:31], vcc
	s_cbranch_execz .LBB97_46
	s_branch .LBB97_80
.LBB97_64:                              ;   in Loop: Header=BB97_47 Depth=1
	v_mov_b32_e32 v2, s33
	ds_read_b32 v2, v2
	s_waitcnt lgkmcnt(0)
	v_add_u32_e32 v10, v2, v10
	s_or_b64 exec, exec, s[38:39]
	s_and_saveexec_b64 s[38:39], s[2:3]
	s_cbranch_execz .LBB97_49
.LBB97_65:                              ;   in Loop: Header=BB97_47 Depth=1
	v_mov_b32_e32 v2, s40
	ds_read_b32 v2, v2
	s_waitcnt lgkmcnt(0)
	v_add_u32_e32 v10, v10, v2
	s_or_b64 exec, exec, s[38:39]
	s_and_saveexec_b64 s[38:39], s[4:5]
	s_cbranch_execz .LBB97_50
.LBB97_66:                              ;   in Loop: Header=BB97_47 Depth=1
	v_mov_b32_e32 v2, s41
	ds_read_b32 v2, v2
	s_waitcnt lgkmcnt(0)
	v_add_u32_e32 v10, v10, v2
	s_or_b64 exec, exec, s[38:39]
	s_and_saveexec_b64 s[38:39], s[6:7]
	s_cbranch_execz .LBB97_51
.LBB97_67:                              ;   in Loop: Header=BB97_47 Depth=1
	v_mov_b32_e32 v2, s44
	ds_read_b32 v2, v2
	s_waitcnt lgkmcnt(0)
	v_add_u32_e32 v10, v10, v2
	s_or_b64 exec, exec, s[38:39]
	s_and_saveexec_b64 s[38:39], s[8:9]
	s_cbranch_execz .LBB97_52
.LBB97_68:                              ;   in Loop: Header=BB97_47 Depth=1
	v_mov_b32_e32 v2, s45
	ds_read_b32 v2, v2
	s_waitcnt lgkmcnt(0)
	v_add_u32_e32 v10, v10, v2
	s_or_b64 exec, exec, s[38:39]
	s_and_saveexec_b64 s[38:39], s[10:11]
	s_cbranch_execz .LBB97_53
.LBB97_69:                              ;   in Loop: Header=BB97_47 Depth=1
	v_mov_b32_e32 v2, s47
	ds_read_b32 v2, v2
	s_waitcnt lgkmcnt(0)
	v_add_u32_e32 v10, v10, v2
	s_or_b64 exec, exec, s[38:39]
	s_and_saveexec_b64 s[38:39], s[12:13]
	s_cbranch_execz .LBB97_54
.LBB97_70:                              ;   in Loop: Header=BB97_47 Depth=1
	v_mov_b32_e32 v2, s52
	ds_read_b32 v2, v2
	s_waitcnt lgkmcnt(0)
	v_add_u32_e32 v10, v10, v2
	s_or_b64 exec, exec, s[38:39]
	s_and_saveexec_b64 s[38:39], s[14:15]
	s_cbranch_execz .LBB97_55
.LBB97_71:                              ;   in Loop: Header=BB97_47 Depth=1
	v_mov_b32_e32 v2, s53
	ds_read_b32 v2, v2
	s_waitcnt lgkmcnt(0)
	v_add_u32_e32 v10, v10, v2
	s_or_b64 exec, exec, s[38:39]
	s_and_saveexec_b64 s[38:39], s[16:17]
	s_cbranch_execz .LBB97_56
.LBB97_72:                              ;   in Loop: Header=BB97_47 Depth=1
	v_mov_b32_e32 v2, s54
	ds_read_b32 v2, v2
	s_waitcnt lgkmcnt(0)
	v_add_u32_e32 v10, v10, v2
	s_or_b64 exec, exec, s[38:39]
	s_and_saveexec_b64 s[38:39], s[18:19]
	s_cbranch_execz .LBB97_57
.LBB97_73:                              ;   in Loop: Header=BB97_47 Depth=1
	v_mov_b32_e32 v2, s55
	ds_read_b32 v2, v2
	s_waitcnt lgkmcnt(0)
	v_add_u32_e32 v10, v10, v2
	s_or_b64 exec, exec, s[38:39]
	s_and_saveexec_b64 s[38:39], s[20:21]
	s_cbranch_execz .LBB97_58
.LBB97_74:                              ;   in Loop: Header=BB97_47 Depth=1
	v_mov_b32_e32 v2, s56
	ds_read_b32 v2, v2
	s_waitcnt lgkmcnt(0)
	v_add_u32_e32 v10, v10, v2
	s_or_b64 exec, exec, s[38:39]
	s_and_saveexec_b64 s[38:39], s[22:23]
	s_cbranch_execz .LBB97_59
.LBB97_75:                              ;   in Loop: Header=BB97_47 Depth=1
	v_mov_b32_e32 v2, s57
	ds_read_b32 v2, v2
	s_waitcnt lgkmcnt(0)
	v_add_u32_e32 v10, v10, v2
	s_or_b64 exec, exec, s[38:39]
	s_and_saveexec_b64 s[38:39], s[24:25]
	s_cbranch_execz .LBB97_60
.LBB97_76:                              ;   in Loop: Header=BB97_47 Depth=1
	v_mov_b32_e32 v2, s58
	ds_read_b32 v2, v2
	s_waitcnt lgkmcnt(0)
	v_add_u32_e32 v10, v10, v2
	s_or_b64 exec, exec, s[38:39]
	s_and_saveexec_b64 s[38:39], s[26:27]
	s_cbranch_execz .LBB97_61
.LBB97_77:                              ;   in Loop: Header=BB97_47 Depth=1
	v_mov_b32_e32 v2, s59
	ds_read_b32 v2, v2
	s_waitcnt lgkmcnt(0)
	v_add_u32_e32 v10, v10, v2
	s_or_b64 exec, exec, s[38:39]
	s_and_saveexec_b64 s[38:39], s[28:29]
	s_cbranch_execz .LBB97_62
.LBB97_78:                              ;   in Loop: Header=BB97_47 Depth=1
	v_mov_b32_e32 v2, s60
	ds_read_b32 v2, v2
	s_waitcnt lgkmcnt(0)
	v_add_u32_e32 v10, v10, v2
	s_or_b64 exec, exec, s[38:39]
	v_ashrrev_i32_e32 v11, 31, v10
	s_and_saveexec_b64 s[38:39], s[30:31]
	s_cbranch_execz .LBB97_63
.LBB97_79:                              ;   in Loop: Header=BB97_47 Depth=1
	v_add3_u32 v2, v6, -1, v10
	v_lshl_add_u32 v15, v2, 3, 0
	v_lshl_add_u32 v2, v2, 2, 0
	v_add_u32_e32 v2, 0x40000, v2
	ds_write_b64 v15, v[8:9]
	ds_write_b32 v2, v14
	s_or_b64 exec, exec, s[38:39]
	s_and_saveexec_b64 s[30:31], vcc
	s_cbranch_execz .LBB97_46
.LBB97_80:                              ;   in Loop: Header=BB97_47 Depth=1
	v_mov_b32_e32 v2, s61
	ds_write_b64 v2, v[10:11]
	s_branch .LBB97_46
.LBB97_81:
	s_or_b64 exec, exec, s[36:37]
	s_lshl_b64 s[0:1], s[50:51], 3
	s_add_u32 s4, s42, s0
	s_addc_u32 s5, s43, s1
	s_load_dwordx4 s[0:3], s[4:5], 0x0
	v_mov_b32_e32 v1, 0
	s_waitcnt lgkmcnt(0)
	s_sub_u32 s4, s2, s0
	s_subb_u32 s5, s3, s1
	v_cmp_gt_i64_e32 vcc, s[4:5], v[0:1]
	s_and_saveexec_b64 s[6:7], vcc
	s_cbranch_execz .LBB97_91
; %bb.82:
	s_sub_u32 s8, s0, s46
	s_subb_u32 s9, s1, 0
	s_and_b32 s6, s4, 7
	s_sub_u32 s0, s0, s2
	s_mov_b32 s7, 0
	s_subb_u32 s1, s1, s3
	s_and_b32 s10, s4, -8
	s_cmp_lg_u64 s[6:7], 0
	v_cmp_lt_u64_e64 s[0:1], s[0:1], -7
	s_cselect_b64 s[2:3], -1, 0
	s_mov_b32 s11, s5
	v_cndmask_b32_e64 v2, 0, 1, s[0:1]
	v_cmp_ne_u32_e64 s[0:1], 1, v2
	v_cndmask_b32_e64 v2, 0, 1, s[2:3]
	s_mov_b64 s[12:13], 0
	v_cmp_ne_u32_e64 s[2:3], 1, v2
	s_mov_b64 s[14:15], 0x400
	s_branch .LBB97_84
.LBB97_83:                              ;   in Loop: Header=BB97_84 Depth=1
	v_lshl_add_u64 v[0:1], v[0:1], 0, s[14:15]
	v_cmp_le_i64_e32 vcc, s[4:5], v[0:1]
	s_waitcnt lgkmcnt(1)
	v_lshl_add_u64 v[2:3], v[4:5], 2, s[34:35]
	s_or_b64 s[12:13], vcc, s[12:13]
	s_waitcnt lgkmcnt(0)
	global_store_dword v[2:3], v6, off
	s_andn2_b64 exec, exec, s[12:13]
	s_cbranch_execz .LBB97_91
.LBB97_84:                              ; =>This Loop Header: Depth=1
                                        ;     Child Loop BB97_86 Depth 2
                                        ;     Child Loop BB97_90 Depth 2
	v_lshl_add_u32 v2, v0, 3, 0
	v_lshl_add_u32 v3, v0, 2, 0
	v_add_u32_e32 v4, 0x40000, v3
	ds_read_b64 v[2:3], v2
	ds_read_b32 v6, v4
	s_and_b64 vcc, exec, s[0:1]
	v_mov_b64_e32 v[4:5], s[8:9]
	s_mov_b64 s[16:17], 0
	s_cbranch_vccnz .LBB97_88
; %bb.85:                               ;   in Loop: Header=BB97_84 Depth=1
	s_mov_b32 s18, 0
	v_mov_b64_e32 v[4:5], s[8:9]
.LBB97_86:                              ;   Parent Loop BB97_84 Depth=1
                                        ; =>  This Inner Loop Header: Depth=2
	v_mov_b32_e32 v7, s18
	ds_read2_b64 v[8:11], v7 offset1:1
	ds_read2_b64 v[12:15], v7 offset0:2 offset1:3
	ds_read2_b64 v[16:19], v7 offset0:4 offset1:5
	;; [unrolled: 1-line block ×3, first 2 shown]
	v_mov_b32_e32 v25, s7
	s_waitcnt lgkmcnt(3)
	v_cmp_gt_i64_e32 vcc, v[2:3], v[8:9]
	v_mov_b32_e32 v27, s7
	v_mov_b32_e32 v29, s7
	v_cndmask_b32_e64 v24, 0, 1, vcc
	v_cmp_gt_i64_e32 vcc, v[2:3], v[10:11]
	v_lshl_add_u64 v[4:5], v[4:5], 0, v[24:25]
	v_mov_b32_e32 v31, s7
	v_cndmask_b32_e64 v26, 0, 1, vcc
	s_waitcnt lgkmcnt(2)
	v_cmp_gt_i64_e32 vcc, v[2:3], v[12:13]
	v_lshl_add_u64 v[4:5], v[4:5], 0, v[26:27]
	v_mov_b32_e32 v33, s7
	v_cndmask_b32_e64 v28, 0, 1, vcc
	v_cmp_gt_i64_e32 vcc, v[2:3], v[14:15]
	v_lshl_add_u64 v[4:5], v[4:5], 0, v[28:29]
	v_mov_b32_e32 v35, s7
	v_cndmask_b32_e64 v30, 0, 1, vcc
	s_waitcnt lgkmcnt(1)
	v_cmp_gt_i64_e32 vcc, v[2:3], v[16:17]
	v_lshl_add_u64 v[4:5], v[4:5], 0, v[30:31]
	v_mov_b32_e32 v37, s7
	v_cndmask_b32_e64 v32, 0, 1, vcc
	v_cmp_gt_i64_e32 vcc, v[2:3], v[18:19]
	v_lshl_add_u64 v[4:5], v[4:5], 0, v[32:33]
	s_add_u32 s16, s16, 8
	v_cndmask_b32_e64 v34, 0, 1, vcc
	s_waitcnt lgkmcnt(0)
	v_cmp_gt_i64_e32 vcc, v[2:3], v[20:21]
	v_lshl_add_u64 v[4:5], v[4:5], 0, v[34:35]
	v_mov_b32_e32 v39, s7
	v_cndmask_b32_e64 v36, 0, 1, vcc
	v_cmp_gt_i64_e32 vcc, v[2:3], v[22:23]
	s_addc_u32 s17, s17, 0
	s_add_i32 s18, s18, 64
	v_cndmask_b32_e64 v38, 0, 1, vcc
	v_lshl_add_u64 v[4:5], v[4:5], 0, v[36:37]
	s_cmp_eq_u64 s[10:11], s[16:17]
	v_lshl_add_u64 v[4:5], v[4:5], 0, v[38:39]
	s_cbranch_scc0 .LBB97_86
; %bb.87:                               ;   in Loop: Header=BB97_84 Depth=1
	s_mov_b64 s[16:17], s[10:11]
.LBB97_88:                              ;   in Loop: Header=BB97_84 Depth=1
	s_and_b64 vcc, exec, s[2:3]
	s_cbranch_vccnz .LBB97_83
; %bb.89:                               ;   in Loop: Header=BB97_84 Depth=1
	s_lshl_b32 s16, s16, 3
	s_add_i32 s18, s16, 0
	s_mov_b64 s[16:17], s[6:7]
.LBB97_90:                              ;   Parent Loop BB97_84 Depth=1
                                        ; =>  This Inner Loop Header: Depth=2
	v_mov_b32_e32 v7, s18
	ds_read_b64 v[10:11], v7
	s_add_i32 s18, s18, 8
	s_add_u32 s16, s16, -1
	v_mov_b32_e32 v9, s7
	s_addc_u32 s17, s17, -1
	s_waitcnt lgkmcnt(0)
	v_cmp_gt_i64_e32 vcc, v[2:3], v[10:11]
	s_cmp_lg_u64 s[16:17], 0
	s_nop 0
	v_cndmask_b32_e64 v8, 0, 1, vcc
	v_lshl_add_u64 v[4:5], v[4:5], 0, v[8:9]
	s_cbranch_scc1 .LBB97_90
	s_branch .LBB97_83
.LBB97_91:
	s_endpgm
	.section	.rodata,"a",@progbits
	.p2align	6, 0x0
	.amdhsa_kernel _ZN9rocsparseL41csrgemm_numeric_fill_block_per_row_kernelILj1024ELj64ELj32768ELj137ELj64EllfEEvT5_PKS1_S3_NS_24const_host_device_scalarIT6_EEPKT4_S3_PKS5_S9_S3_SB_S6_S9_S3_SB_S9_S3_PS5_21rocsparse_index_base_SD_SD_SD_bbb
		.amdhsa_group_segment_fixed_size 0
		.amdhsa_private_segment_fixed_size 0
		.amdhsa_kernarg_size 156
		.amdhsa_user_sgpr_count 2
		.amdhsa_user_sgpr_dispatch_ptr 0
		.amdhsa_user_sgpr_queue_ptr 0
		.amdhsa_user_sgpr_kernarg_segment_ptr 1
		.amdhsa_user_sgpr_dispatch_id 0
		.amdhsa_user_sgpr_kernarg_preload_length 0
		.amdhsa_user_sgpr_kernarg_preload_offset 0
		.amdhsa_user_sgpr_private_segment_size 0
		.amdhsa_uses_dynamic_stack 0
		.amdhsa_enable_private_segment 0
		.amdhsa_system_sgpr_workgroup_id_x 1
		.amdhsa_system_sgpr_workgroup_id_y 0
		.amdhsa_system_sgpr_workgroup_id_z 0
		.amdhsa_system_sgpr_workgroup_info 0
		.amdhsa_system_vgpr_workitem_id 0
		.amdhsa_next_free_vgpr 40
		.amdhsa_next_free_sgpr 63
		.amdhsa_accum_offset 40
		.amdhsa_reserve_vcc 1
		.amdhsa_float_round_mode_32 0
		.amdhsa_float_round_mode_16_64 0
		.amdhsa_float_denorm_mode_32 3
		.amdhsa_float_denorm_mode_16_64 3
		.amdhsa_dx10_clamp 1
		.amdhsa_ieee_mode 1
		.amdhsa_fp16_overflow 0
		.amdhsa_tg_split 0
		.amdhsa_exception_fp_ieee_invalid_op 0
		.amdhsa_exception_fp_denorm_src 0
		.amdhsa_exception_fp_ieee_div_zero 0
		.amdhsa_exception_fp_ieee_overflow 0
		.amdhsa_exception_fp_ieee_underflow 0
		.amdhsa_exception_fp_ieee_inexact 0
		.amdhsa_exception_int_div_zero 0
	.end_amdhsa_kernel
	.section	.text._ZN9rocsparseL41csrgemm_numeric_fill_block_per_row_kernelILj1024ELj64ELj32768ELj137ELj64EllfEEvT5_PKS1_S3_NS_24const_host_device_scalarIT6_EEPKT4_S3_PKS5_S9_S3_SB_S6_S9_S3_SB_S9_S3_PS5_21rocsparse_index_base_SD_SD_SD_bbb,"axG",@progbits,_ZN9rocsparseL41csrgemm_numeric_fill_block_per_row_kernelILj1024ELj64ELj32768ELj137ELj64EllfEEvT5_PKS1_S3_NS_24const_host_device_scalarIT6_EEPKT4_S3_PKS5_S9_S3_SB_S6_S9_S3_SB_S9_S3_PS5_21rocsparse_index_base_SD_SD_SD_bbb,comdat
.Lfunc_end97:
	.size	_ZN9rocsparseL41csrgemm_numeric_fill_block_per_row_kernelILj1024ELj64ELj32768ELj137ELj64EllfEEvT5_PKS1_S3_NS_24const_host_device_scalarIT6_EEPKT4_S3_PKS5_S9_S3_SB_S6_S9_S3_SB_S9_S3_PS5_21rocsparse_index_base_SD_SD_SD_bbb, .Lfunc_end97-_ZN9rocsparseL41csrgemm_numeric_fill_block_per_row_kernelILj1024ELj64ELj32768ELj137ELj64EllfEEvT5_PKS1_S3_NS_24const_host_device_scalarIT6_EEPKT4_S3_PKS5_S9_S3_SB_S6_S9_S3_SB_S9_S3_PS5_21rocsparse_index_base_SD_SD_SD_bbb
                                        ; -- End function
	.set _ZN9rocsparseL41csrgemm_numeric_fill_block_per_row_kernelILj1024ELj64ELj32768ELj137ELj64EllfEEvT5_PKS1_S3_NS_24const_host_device_scalarIT6_EEPKT4_S3_PKS5_S9_S3_SB_S6_S9_S3_SB_S9_S3_PS5_21rocsparse_index_base_SD_SD_SD_bbb.num_vgpr, 40
	.set _ZN9rocsparseL41csrgemm_numeric_fill_block_per_row_kernelILj1024ELj64ELj32768ELj137ELj64EllfEEvT5_PKS1_S3_NS_24const_host_device_scalarIT6_EEPKT4_S3_PKS5_S9_S3_SB_S6_S9_S3_SB_S9_S3_PS5_21rocsparse_index_base_SD_SD_SD_bbb.num_agpr, 0
	.set _ZN9rocsparseL41csrgemm_numeric_fill_block_per_row_kernelILj1024ELj64ELj32768ELj137ELj64EllfEEvT5_PKS1_S3_NS_24const_host_device_scalarIT6_EEPKT4_S3_PKS5_S9_S3_SB_S6_S9_S3_SB_S9_S3_PS5_21rocsparse_index_base_SD_SD_SD_bbb.numbered_sgpr, 63
	.set _ZN9rocsparseL41csrgemm_numeric_fill_block_per_row_kernelILj1024ELj64ELj32768ELj137ELj64EllfEEvT5_PKS1_S3_NS_24const_host_device_scalarIT6_EEPKT4_S3_PKS5_S9_S3_SB_S6_S9_S3_SB_S9_S3_PS5_21rocsparse_index_base_SD_SD_SD_bbb.num_named_barrier, 0
	.set _ZN9rocsparseL41csrgemm_numeric_fill_block_per_row_kernelILj1024ELj64ELj32768ELj137ELj64EllfEEvT5_PKS1_S3_NS_24const_host_device_scalarIT6_EEPKT4_S3_PKS5_S9_S3_SB_S6_S9_S3_SB_S9_S3_PS5_21rocsparse_index_base_SD_SD_SD_bbb.private_seg_size, 0
	.set _ZN9rocsparseL41csrgemm_numeric_fill_block_per_row_kernelILj1024ELj64ELj32768ELj137ELj64EllfEEvT5_PKS1_S3_NS_24const_host_device_scalarIT6_EEPKT4_S3_PKS5_S9_S3_SB_S6_S9_S3_SB_S9_S3_PS5_21rocsparse_index_base_SD_SD_SD_bbb.uses_vcc, 1
	.set _ZN9rocsparseL41csrgemm_numeric_fill_block_per_row_kernelILj1024ELj64ELj32768ELj137ELj64EllfEEvT5_PKS1_S3_NS_24const_host_device_scalarIT6_EEPKT4_S3_PKS5_S9_S3_SB_S6_S9_S3_SB_S9_S3_PS5_21rocsparse_index_base_SD_SD_SD_bbb.uses_flat_scratch, 0
	.set _ZN9rocsparseL41csrgemm_numeric_fill_block_per_row_kernelILj1024ELj64ELj32768ELj137ELj64EllfEEvT5_PKS1_S3_NS_24const_host_device_scalarIT6_EEPKT4_S3_PKS5_S9_S3_SB_S6_S9_S3_SB_S9_S3_PS5_21rocsparse_index_base_SD_SD_SD_bbb.has_dyn_sized_stack, 0
	.set _ZN9rocsparseL41csrgemm_numeric_fill_block_per_row_kernelILj1024ELj64ELj32768ELj137ELj64EllfEEvT5_PKS1_S3_NS_24const_host_device_scalarIT6_EEPKT4_S3_PKS5_S9_S3_SB_S6_S9_S3_SB_S9_S3_PS5_21rocsparse_index_base_SD_SD_SD_bbb.has_recursion, 0
	.set _ZN9rocsparseL41csrgemm_numeric_fill_block_per_row_kernelILj1024ELj64ELj32768ELj137ELj64EllfEEvT5_PKS1_S3_NS_24const_host_device_scalarIT6_EEPKT4_S3_PKS5_S9_S3_SB_S6_S9_S3_SB_S9_S3_PS5_21rocsparse_index_base_SD_SD_SD_bbb.has_indirect_call, 0
	.section	.AMDGPU.csdata,"",@progbits
; Kernel info:
; codeLenInByte = 3392
; TotalNumSgprs: 69
; NumVgprs: 40
; NumAgprs: 0
; TotalNumVgprs: 40
; ScratchSize: 0
; MemoryBound: 0
; FloatMode: 240
; IeeeMode: 1
; LDSByteSize: 0 bytes/workgroup (compile time only)
; SGPRBlocks: 8
; VGPRBlocks: 4
; NumSGPRsForWavesPerEU: 69
; NumVGPRsForWavesPerEU: 40
; AccumOffset: 40
; Occupancy: 8
; WaveLimiterHint : 1
; COMPUTE_PGM_RSRC2:SCRATCH_EN: 0
; COMPUTE_PGM_RSRC2:USER_SGPR: 2
; COMPUTE_PGM_RSRC2:TRAP_HANDLER: 0
; COMPUTE_PGM_RSRC2:TGID_X_EN: 1
; COMPUTE_PGM_RSRC2:TGID_Y_EN: 0
; COMPUTE_PGM_RSRC2:TGID_Z_EN: 0
; COMPUTE_PGM_RSRC2:TIDIG_COMP_CNT: 0
; COMPUTE_PGM_RSRC3_GFX90A:ACCUM_OFFSET: 9
; COMPUTE_PGM_RSRC3_GFX90A:TG_SPLIT: 0
	.section	.text._ZN9rocsparseL51csrgemm_numeric_fill_block_per_row_multipass_kernelILj512ELj16ELj2048ELj32EllfEEvT4_PKS1_S3_NS_24const_host_device_scalarIT5_EEPKT3_S3_PKS5_S9_S3_SB_S6_S9_S3_SB_S9_S3_PS5_PS7_21rocsparse_index_base_SE_SE_SE_bbb,"axG",@progbits,_ZN9rocsparseL51csrgemm_numeric_fill_block_per_row_multipass_kernelILj512ELj16ELj2048ELj32EllfEEvT4_PKS1_S3_NS_24const_host_device_scalarIT5_EEPKT3_S3_PKS5_S9_S3_SB_S6_S9_S3_SB_S9_S3_PS5_PS7_21rocsparse_index_base_SE_SE_SE_bbb,comdat
	.globl	_ZN9rocsparseL51csrgemm_numeric_fill_block_per_row_multipass_kernelILj512ELj16ELj2048ELj32EllfEEvT4_PKS1_S3_NS_24const_host_device_scalarIT5_EEPKT3_S3_PKS5_S9_S3_SB_S6_S9_S3_SB_S9_S3_PS5_PS7_21rocsparse_index_base_SE_SE_SE_bbb ; -- Begin function _ZN9rocsparseL51csrgemm_numeric_fill_block_per_row_multipass_kernelILj512ELj16ELj2048ELj32EllfEEvT4_PKS1_S3_NS_24const_host_device_scalarIT5_EEPKT3_S3_PKS5_S9_S3_SB_S6_S9_S3_SB_S9_S3_PS5_PS7_21rocsparse_index_base_SE_SE_SE_bbb
	.p2align	8
	.type	_ZN9rocsparseL51csrgemm_numeric_fill_block_per_row_multipass_kernelILj512ELj16ELj2048ELj32EllfEEvT4_PKS1_S3_NS_24const_host_device_scalarIT5_EEPKT3_S3_PKS5_S9_S3_SB_S6_S9_S3_SB_S9_S3_PS5_PS7_21rocsparse_index_base_SE_SE_SE_bbb,@function
_ZN9rocsparseL51csrgemm_numeric_fill_block_per_row_multipass_kernelILj512ELj16ELj2048ELj32EllfEEvT4_PKS1_S3_NS_24const_host_device_scalarIT5_EEPKT3_S3_PKS5_S9_S3_SB_S6_S9_S3_SB_S9_S3_PS5_PS7_21rocsparse_index_base_SE_SE_SE_bbb: ; @_ZN9rocsparseL51csrgemm_numeric_fill_block_per_row_multipass_kernelILj512ELj16ELj2048ELj32EllfEEvT4_PKS1_S3_NS_24const_host_device_scalarIT5_EEPKT3_S3_PKS5_S9_S3_SB_S6_S9_S3_SB_S9_S3_PS5_PS7_21rocsparse_index_base_SE_SE_SE_bbb
; %bb.0:
	s_load_dword s3, s[0:1], 0xa0
	s_load_dwordx4 s[4:7], s[0:1], 0x8
	s_load_dwordx2 s[10:11], s[0:1], 0x18
	s_load_dwordx4 s[60:63], s[0:1], 0x90
	s_load_dwordx2 s[12:13], s[0:1], 0x50
	s_waitcnt lgkmcnt(0)
	s_bitcmp1_b32 s3, 0
	s_cselect_b64 s[8:9], -1, 0
	s_bitcmp1_b32 s3, 16
	s_cselect_b64 s[14:15], -1, 0
	s_xor_b64 s[16:17], s[8:9], -1
	s_or_b64 s[16:17], s[14:15], s[16:17]
	s_and_b64 vcc, exec, s[16:17]
	s_cbranch_vccnz .LBB98_2
; %bb.1:
	s_load_dword s10, s[10:11], 0x0
	s_waitcnt lgkmcnt(0)
	v_mov_b32_e32 v34, s10
	s_branch .LBB98_3
.LBB98_2:
	v_mov_b32_e32 v1, s10
	v_cndmask_b32_e64 v34, 0, v1, s[8:9]
.LBB98_3:
	s_load_dwordx2 s[10:11], s[0:1], 0x20
	s_bitcmp1_b32 s3, 8
	s_cselect_b64 s[42:43], -1, 0
	s_xor_b64 s[16:17], s[42:43], -1
	s_or_b64 s[14:15], s[14:15], s[16:17]
	s_mov_b32 s3, 0
	s_and_b64 vcc, exec, s[14:15]
	s_cbranch_vccnz .LBB98_5
; %bb.4:
	s_load_dword s12, s[12:13], 0x0
	s_waitcnt lgkmcnt(0)
	v_mov_b32_e32 v35, s12
	s_branch .LBB98_6
.LBB98_5:
	v_mov_b32_e32 v1, s12
	v_cndmask_b32_e64 v35, 0, v1, s[42:43]
.LBB98_6:
	s_load_dwordx2 s[4:5], s[4:5], 0x0
	v_cndmask_b32_e64 v1, 0, 1, s[8:9]
	s_mov_b64 s[68:69], 0
	s_waitcnt lgkmcnt(0)
	s_lshl_b64 s[4:5], s[4:5], 3
	s_add_u32 s4, s6, s4
	s_addc_u32 s5, s7, s5
	s_lshl_b64 s[2:3], s[2:3], 3
	s_add_u32 s2, s4, s2
	s_addc_u32 s3, s5, s3
	s_load_dwordx2 s[6:7], s[2:3], 0x0
	v_cmp_ne_u32_e64 s[2:3], 1, v1
	s_andn2_b64 vcc, exec, s[8:9]
	s_mov_b64 s[4:5], 0
	s_cbranch_vccz .LBB98_9
; %bb.7:
	s_and_b64 vcc, exec, s[2:3]
	s_cbranch_vccz .LBB98_10
.LBB98_8:
	s_load_dwordx2 s[70:71], s[0:1], 0x0
	s_waitcnt lgkmcnt(0)
	v_cmp_lt_i64_e64 s[2:3], s[70:71], 1
	s_and_b64 vcc, exec, s[2:3]
	s_cbranch_vccz .LBB98_11
	s_branch .LBB98_65
.LBB98_9:
	s_waitcnt lgkmcnt(0)
	s_lshl_b64 s[4:5], s[6:7], 3
	s_add_u32 s4, s10, s4
	s_addc_u32 s5, s11, s5
	s_load_dwordx2 s[4:5], s[4:5], 0x0
	s_waitcnt lgkmcnt(0)
	s_sub_u32 s4, s4, s60
	s_subb_u32 s5, s5, 0
	s_and_b64 vcc, exec, s[2:3]
	s_cbranch_vccnz .LBB98_8
.LBB98_10:
	s_waitcnt lgkmcnt(0)
	s_lshl_b64 s[2:3], s[6:7], 3
	s_add_u32 s2, s10, s2
	s_addc_u32 s3, s11, s3
	s_load_dwordx2 s[2:3], s[2:3], 0x8
	s_waitcnt lgkmcnt(0)
	s_sub_u32 s68, s2, s60
	s_subb_u32 s69, s3, 0
	s_load_dwordx2 s[70:71], s[0:1], 0x0
	s_waitcnt lgkmcnt(0)
	v_cmp_lt_i64_e64 s[2:3], s[70:71], 1
	s_and_b64 vcc, exec, s[2:3]
	s_cbranch_vccnz .LBB98_65
.LBB98_11:
	s_load_dwordx8 s[44:51], s[0:1], 0x58
	s_load_dwordx4 s[64:67], s[0:1], 0x80
	s_load_dwordx2 s[72:73], s[0:1], 0x48
	s_lshl_b64 s[6:7], s[6:7], 3
	v_and_b32_e32 v1, 15, v0
	s_waitcnt lgkmcnt(0)
	s_add_u32 s2, s50, s6
	s_addc_u32 s3, s51, s7
	s_load_dwordx2 s[10:11], s[2:3], 0x0
	v_lshrrev_b32_e32 v2, 4, v0
	v_mov_b32_e32 v3, 0
	v_lshl_add_u64 v[4:5], s[4:5], 0, v[2:3]
	v_mov_b32_e32 v2, v1
	s_waitcnt lgkmcnt(0)
	s_sub_u32 s40, s10, s62
	s_subb_u32 s41, s11, 0
	v_cmp_eq_u32_e64 s[4:5], 15, v1
	s_add_u32 s44, s44, s6
	v_mbcnt_lo_u32_b32 v1, -1, 0
	s_load_dwordx8 s[52:59], s[0:1], 0x28
	s_addc_u32 s45, s45, s7
	v_subrev_co_u32_e64 v6, s[6:7], s63, v0
	v_mbcnt_hi_u32_b32 v1, -1, v1
	s_nop 0
	v_subb_co_u32_e64 v7, s[6:7], 0, 0, s[6:7]
	v_sub_u32_e32 v1, 63, v1
	v_cmp_gt_i64_e32 vcc, s[68:69], v[4:5]
	v_lshrrev_b64 v[8:9], v1, -1
	v_lshrrev_b32_e32 v1, 3, v0
	s_movk_i32 s6, 0x1ff
	s_movk_i32 s12, 0x60
	;; [unrolled: 1-line block ×14, first 2 shown]
	v_cmp_eq_u32_e64 s[2:3], 0, v0
	s_mov_b32 s33, s61
	s_mov_b32 s61, s63
	v_and_b32_e32 v36, 60, v1
	v_cmp_eq_u32_e64 s[6:7], s6, v0
	s_and_b64 s[50:51], s[8:9], vcc
	v_cmp_gt_u32_e64 s[8:9], 32, v0
	v_cmp_gt_u32_e64 s[10:11], 64, v0
	;; [unrolled: 1-line block ×15, first 2 shown]
	v_or_b32_e32 v37, 0xfffffe00, v0
	v_lshlrev_b32_e32 v38, 2, v0
	v_mov_b64_e32 v[10:11], 0
	v_mov_b64_e32 v[12:13], 0x800
	;; [unrolled: 1-line block ×3, first 2 shown]
	s_movk_i32 s96, 0x5ff
	v_mov_b64_e32 v[42:43], s[70:71]
	v_mov_b32_e32 v39, 1
	s_mov_b64 s[62:63], 0x80
	s_mov_b64 s[74:75], 0x200
	;; [unrolled: 1-line block ×4, first 2 shown]
	s_branch .LBB98_13
.LBB98_12:                              ;   in Loop: Header=BB98_13 Depth=1
	s_or_b64 exec, exec, s[0:1]
	ds_read_b64 v[10:11], v3 offset:10240
	s_waitcnt lgkmcnt(0)
	s_barrier
	v_cmp_le_i64_e32 vcc, s[70:71], v[10:11]
	v_lshl_add_u64 v[12:13], v[10:11], 0, s[78:79]
	s_cbranch_vccnz .LBB98_65
.LBB98_13:                              ; =>This Loop Header: Depth=1
                                        ;     Child Loop BB98_14 Depth 2
                                        ;     Child Loop BB98_20 Depth 2
                                        ;       Child Loop BB98_28 Depth 3
                                        ;     Child Loop BB98_44 Depth 2
                                        ;     Child Loop BB98_56 Depth 2
                                        ;     Child Loop BB98_61 Depth 2
	s_mov_b64 s[0:1], 0
	v_mov_b32_e32 v14, v38
	v_mov_b32_e32 v15, v37
.LBB98_14:                              ;   Parent Loop BB98_13 Depth=1
                                        ; =>  This Inner Loop Header: Depth=2
	ds_write_b8 v15, v3 offset:8704
	ds_write_b32 v14, v3
	v_add_u32_e32 v15, 0x200, v15
	v_cmp_lt_u32_e32 vcc, s96, v15
	s_or_b64 s[0:1], vcc, s[0:1]
	v_add_u32_e32 v14, 0x800, v14
	s_andn2_b64 exec, exec, s[0:1]
	s_cbranch_execnz .LBB98_14
; %bb.15:                               ;   in Loop: Header=BB98_13 Depth=1
	s_or_b64 exec, exec, s[0:1]
	s_and_saveexec_b64 s[0:1], s[2:3]
; %bb.16:                               ;   in Loop: Header=BB98_13 Depth=1
	ds_write_b64 v3, v[42:43] offset:10240
; %bb.17:                               ;   in Loop: Header=BB98_13 Depth=1
	s_or_b64 exec, exec, s[0:1]
	v_mov_b64_e32 v[14:15], s[70:71]
	s_waitcnt lgkmcnt(0)
	s_barrier
	s_and_saveexec_b64 s[80:81], s[50:51]
	s_cbranch_execz .LBB98_40
; %bb.18:                               ;   in Loop: Header=BB98_13 Depth=1
	s_mov_b64 s[82:83], 0
	v_cmp_ne_u64_e64 s[40:41], 0, v[10:11]
	v_mov_b64_e32 v[14:15], s[70:71]
	v_mov_b64_e32 v[16:17], v[4:5]
	s_branch .LBB98_20
.LBB98_19:                              ;   in Loop: Header=BB98_20 Depth=2
	s_or_b64 exec, exec, s[0:1]
	v_lshl_add_u64 v[16:17], v[16:17], 0, 32
	v_cmp_le_i64_e32 vcc, s[68:69], v[16:17]
	s_or_b64 s[82:83], vcc, s[82:83]
	s_andn2_b64 exec, exec, s[82:83]
	s_cbranch_execz .LBB98_39
.LBB98_20:                              ;   Parent Loop BB98_13 Depth=1
                                        ; =>  This Loop Header: Depth=2
                                        ;       Child Loop BB98_28 Depth 3
	v_lshl_add_u64 v[18:19], v[16:17], 3, s[52:53]
	global_load_dwordx2 v[22:23], v[18:19], off
	v_lshl_add_u64 v[18:19], v[16:17], 2, s[54:55]
	global_load_dword v24, v[18:19], off
	s_and_b64 vcc, exec, s[40:41]
	v_lshl_add_u64 v[18:19], v[16:17], 3, s[66:67]
	s_cbranch_vccz .LBB98_22
; %bb.21:                               ;   in Loop: Header=BB98_20 Depth=2
	global_load_dwordx2 v[20:21], v[18:19], off
	s_mov_b64 s[0:1], 0
	s_branch .LBB98_23
.LBB98_22:                              ;   in Loop: Header=BB98_20 Depth=2
	s_mov_b64 s[0:1], -1
                                        ; implicit-def: $vgpr20_vgpr21
.LBB98_23:                              ;   in Loop: Header=BB98_20 Depth=2
	s_waitcnt vmcnt(1)
	v_subrev_co_u32_e32 v22, vcc, s60, v22
	s_nop 1
	v_subbrev_co_u32_e32 v23, vcc, 0, v23, vcc
	s_andn2_b64 vcc, exec, s[0:1]
	v_lshl_add_u64 v[22:23], v[22:23], 3, s[56:57]
	s_cbranch_vccnz .LBB98_25
; %bb.24:                               ;   in Loop: Header=BB98_20 Depth=2
	global_load_dwordx2 v[20:21], v[22:23], off
	s_waitcnt vmcnt(0)
	v_subrev_co_u32_e32 v20, vcc, s33, v20
	s_nop 1
	v_subbrev_co_u32_e32 v21, vcc, 0, v21, vcc
.LBB98_25:                              ;   in Loop: Header=BB98_20 Depth=2
	global_load_dwordx2 v[22:23], v[22:23], off offset:8
	s_waitcnt vmcnt(1)
	v_lshl_add_u64 v[20:21], v[20:21], 0, v[2:3]
	s_waitcnt vmcnt(0)
	v_subrev_co_u32_e32 v22, vcc, s33, v22
	s_nop 1
	v_subbrev_co_u32_e32 v23, vcc, 0, v23, vcc
	v_cmp_lt_i64_e32 vcc, v[20:21], v[22:23]
	s_and_saveexec_b64 s[84:85], vcc
	s_cbranch_execz .LBB98_37
; %bb.26:                               ;   in Loop: Header=BB98_20 Depth=2
	v_mul_f32_e32 v40, v34, v24
	v_lshl_add_u64 v[24:25], v[20:21], 3, s[58:59]
	v_lshl_add_u64 v[28:29], v[20:21], 2, s[72:73]
	s_mov_b64 s[88:89], 0
	v_mov_b64_e32 v[32:33], v[20:21]
                                        ; implicit-def: $sgpr86_sgpr87
                                        ; implicit-def: $sgpr90_sgpr91
	s_branch .LBB98_28
.LBB98_27:                              ;   in Loop: Header=BB98_28 Depth=3
	s_or_b64 exec, exec, s[94:95]
	s_and_b64 s[0:1], exec, s[92:93]
	s_or_b64 s[88:89], s[0:1], s[88:89]
	s_andn2_b64 s[0:1], s[86:87], exec
	s_and_b64 s[86:87], s[90:91], exec
	s_or_b64 s[86:87], s[0:1], s[86:87]
	s_andn2_b64 exec, exec, s[88:89]
	s_cbranch_execz .LBB98_34
.LBB98_28:                              ;   Parent Loop BB98_13 Depth=1
                                        ;     Parent Loop BB98_20 Depth=2
                                        ; =>    This Inner Loop Header: Depth=3
	global_load_dwordx2 v[30:31], v[24:25], off
	v_mov_b64_e32 v[26:27], v[32:33]
	s_waitcnt vmcnt(0)
	v_subrev_co_u32_e32 v30, vcc, s33, v30
	s_nop 1
	v_subbrev_co_u32_e32 v31, vcc, 0, v31, vcc
	v_cmp_lt_i64_e32 vcc, v[30:31], v[10:11]
	v_cmp_ge_i64_e64 s[0:1], v[30:31], v[12:13]
	s_or_b64 s[92:93], vcc, s[0:1]
	s_mov_b64 s[0:1], 0
	s_and_saveexec_b64 s[94:95], s[92:93]
	s_xor_b64 s[92:93], exec, s[94:95]
; %bb.29:                               ;   in Loop: Header=BB98_28 Depth=3
	v_cmp_lt_i64_e32 vcc, v[30:31], v[12:13]
	s_and_b64 s[0:1], vcc, exec
; %bb.30:                               ;   in Loop: Header=BB98_28 Depth=3
	s_andn2_saveexec_b64 s[92:93], s[92:93]
	s_cbranch_execz .LBB98_32
; %bb.31:                               ;   in Loop: Header=BB98_28 Depth=3
	global_load_dword v32, v[28:29], off
	v_sub_u32_e32 v33, v30, v10
	ds_write_b8 v33, v39 offset:8192
	v_lshlrev_b32_e32 v33, 2, v33
	s_or_b64 s[0:1], s[0:1], exec
	s_waitcnt vmcnt(0)
	v_mul_f32_e32 v32, v40, v32
	ds_add_f32 v33, v32
.LBB98_32:                              ;   in Loop: Header=BB98_28 Depth=3
	s_or_b64 exec, exec, s[92:93]
	s_mov_b64 s[92:93], -1
	s_or_b64 s[90:91], s[90:91], exec
                                        ; implicit-def: $vgpr32_vgpr33
	s_and_saveexec_b64 s[94:95], s[0:1]
	s_cbranch_execz .LBB98_27
; %bb.33:                               ;   in Loop: Header=BB98_28 Depth=3
	v_lshl_add_u64 v[32:33], v[26:27], 0, 16
	v_cmp_ge_i64_e32 vcc, v[32:33], v[22:23]
	v_lshl_add_u64 v[24:25], v[24:25], 0, s[62:63]
	v_lshl_add_u64 v[28:29], v[28:29], 0, 64
	s_andn2_b64 s[90:91], s[90:91], exec
	s_orn2_b64 s[92:93], vcc, exec
	s_branch .LBB98_27
.LBB98_34:                              ;   in Loop: Header=BB98_20 Depth=2
	s_or_b64 exec, exec, s[88:89]
	s_and_saveexec_b64 s[0:1], s[86:87]
	s_xor_b64 s[0:1], exec, s[0:1]
; %bb.35:                               ;   in Loop: Header=BB98_20 Depth=2
	v_cmp_lt_i64_e32 vcc, v[30:31], v[14:15]
	v_mov_b64_e32 v[20:21], v[26:27]
	s_nop 0
	v_cndmask_b32_e32 v15, v15, v31, vcc
	v_cndmask_b32_e32 v14, v14, v30, vcc
; %bb.36:                               ;   in Loop: Header=BB98_20 Depth=2
	s_or_b64 exec, exec, s[0:1]
.LBB98_37:                              ;   in Loop: Header=BB98_20 Depth=2
	s_or_b64 exec, exec, s[84:85]
	v_mov_b32_dpp v22, v20 row_shr:1 row_mask:0xf bank_mask:0xf
	v_mov_b32_dpp v23, v21 row_shr:1 row_mask:0xf bank_mask:0xf
	v_cmp_lt_i64_e32 vcc, v[22:23], v[20:21]
	s_nop 1
	v_cndmask_b32_e32 v21, v21, v23, vcc
	v_cndmask_b32_e32 v20, v20, v22, vcc
	s_nop 0
	v_mov_b32_dpp v23, v21 row_shr:2 row_mask:0xf bank_mask:0xf
	v_mov_b32_dpp v22, v20 row_shr:2 row_mask:0xf bank_mask:0xf
	v_cmp_lt_i64_e32 vcc, v[22:23], v[20:21]
	s_nop 1
	v_cndmask_b32_e32 v21, v21, v23, vcc
	v_cndmask_b32_e32 v20, v20, v22, vcc
	s_nop 0
	;; [unrolled: 7-line block ×3, first 2 shown]
	v_mov_b32_dpp v24, v21 row_shr:8 row_mask:0xf bank_mask:0xc
	v_mov_b32_dpp v22, v20 row_shr:8 row_mask:0xf bank_mask:0xc
	s_and_saveexec_b64 s[0:1], s[4:5]
	s_cbranch_execz .LBB98_19
; %bb.38:                               ;   in Loop: Header=BB98_20 Depth=2
	v_mov_b32_e32 v23, v24
	v_cmp_lt_i64_e32 vcc, v[22:23], v[20:21]
	s_nop 1
	v_cndmask_b32_e32 v21, v21, v24, vcc
	v_cndmask_b32_e32 v20, v20, v22, vcc
	global_store_dwordx2 v[18:19], v[20:21], off
	s_branch .LBB98_19
.LBB98_39:                              ;   in Loop: Header=BB98_13 Depth=1
	s_or_b64 exec, exec, s[82:83]
.LBB98_40:                              ;   in Loop: Header=BB98_13 Depth=1
	s_or_b64 exec, exec, s[80:81]
	s_andn2_b64 vcc, exec, s[42:43]
	s_cbranch_vccnz .LBB98_54
; %bb.41:                               ;   in Loop: Header=BB98_13 Depth=1
	s_load_dwordx4 s[84:87], s[44:45], 0x0
	s_waitcnt lgkmcnt(0)
	s_sub_u32 s80, s86, s61
	s_subb_u32 s81, s87, 0
	v_lshl_add_u64 v[16:17], s[84:85], 0, v[6:7]
	v_cmp_gt_i64_e32 vcc, s[80:81], v[16:17]
	s_and_saveexec_b64 s[40:41], vcc
	s_cbranch_execz .LBB98_53
; %bb.42:                               ;   in Loop: Header=BB98_13 Depth=1
	v_lshl_add_u64 v[18:19], v[16:17], 3, s[46:47]
	v_lshl_add_u64 v[20:21], v[16:17], 2, s[48:49]
	s_mov_b64 s[82:83], 0
                                        ; implicit-def: $sgpr84_sgpr85
                                        ; implicit-def: $sgpr86_sgpr87
	s_branch .LBB98_44
.LBB98_43:                              ;   in Loop: Header=BB98_44 Depth=2
	s_or_b64 exec, exec, s[90:91]
	s_and_b64 s[0:1], exec, s[88:89]
	s_or_b64 s[82:83], s[0:1], s[82:83]
	s_andn2_b64 s[0:1], s[84:85], exec
	s_and_b64 s[84:85], s[86:87], exec
	s_or_b64 s[84:85], s[0:1], s[84:85]
	s_andn2_b64 exec, exec, s[82:83]
	s_cbranch_execz .LBB98_50
.LBB98_44:                              ;   Parent Loop BB98_13 Depth=1
                                        ; =>  This Inner Loop Header: Depth=2
	global_load_dwordx2 v[22:23], v[18:19], off
	s_waitcnt vmcnt(0)
	v_subrev_co_u32_e32 v22, vcc, s61, v22
	s_nop 1
	v_subbrev_co_u32_e32 v23, vcc, 0, v23, vcc
	v_cmp_lt_i64_e32 vcc, v[22:23], v[10:11]
	v_cmp_ge_i64_e64 s[0:1], v[22:23], v[12:13]
	s_or_b64 s[88:89], vcc, s[0:1]
	s_mov_b64 s[0:1], 0
	s_and_saveexec_b64 s[90:91], s[88:89]
	s_xor_b64 s[88:89], exec, s[90:91]
; %bb.45:                               ;   in Loop: Header=BB98_44 Depth=2
	v_cmp_lt_i64_e32 vcc, v[22:23], v[12:13]
	s_and_b64 s[0:1], vcc, exec
; %bb.46:                               ;   in Loop: Header=BB98_44 Depth=2
	s_andn2_saveexec_b64 s[88:89], s[88:89]
	s_cbranch_execz .LBB98_48
; %bb.47:                               ;   in Loop: Header=BB98_44 Depth=2
	global_load_dword v24, v[20:21], off
	v_sub_u32_e32 v25, v22, v10
	ds_write_b8 v25, v39 offset:8192
	v_lshlrev_b32_e32 v25, 2, v25
	s_or_b64 s[0:1], s[0:1], exec
	s_waitcnt vmcnt(0)
	v_mul_f32_e32 v24, v35, v24
	ds_add_f32 v25, v24
.LBB98_48:                              ;   in Loop: Header=BB98_44 Depth=2
	s_or_b64 exec, exec, s[88:89]
	s_mov_b64 s[88:89], -1
	s_or_b64 s[86:87], s[86:87], exec
	s_and_saveexec_b64 s[90:91], s[0:1]
	s_cbranch_execz .LBB98_43
; %bb.49:                               ;   in Loop: Header=BB98_44 Depth=2
	v_lshl_add_u64 v[16:17], v[16:17], 0, s[74:75]
	v_cmp_le_i64_e32 vcc, s[80:81], v[16:17]
	v_lshl_add_u64 v[18:19], v[18:19], 0, s[76:77]
	v_lshl_add_u64 v[20:21], v[20:21], 0, s[78:79]
	s_andn2_b64 s[86:87], s[86:87], exec
	s_orn2_b64 s[88:89], vcc, exec
	s_branch .LBB98_43
.LBB98_50:                              ;   in Loop: Header=BB98_13 Depth=1
	s_or_b64 exec, exec, s[82:83]
	s_and_saveexec_b64 s[0:1], s[84:85]
	s_xor_b64 s[0:1], exec, s[0:1]
; %bb.51:                               ;   in Loop: Header=BB98_13 Depth=1
	v_cmp_lt_i64_e32 vcc, v[22:23], v[14:15]
	s_nop 1
	v_cndmask_b32_e32 v15, v15, v23, vcc
	v_cndmask_b32_e32 v14, v14, v22, vcc
; %bb.52:                               ;   in Loop: Header=BB98_13 Depth=1
	s_or_b64 exec, exec, s[0:1]
.LBB98_53:                              ;   in Loop: Header=BB98_13 Depth=1
	s_or_b64 exec, exec, s[40:41]
.LBB98_54:                              ;   in Loop: Header=BB98_13 Depth=1
	v_mov_b32_dpp v10, v14 row_shr:1 row_mask:0xf bank_mask:0xf
	v_mov_b32_dpp v11, v15 row_shr:1 row_mask:0xf bank_mask:0xf
	v_cmp_lt_i64_e32 vcc, v[10:11], v[14:15]
	s_nop 1
	v_cndmask_b32_e32 v11, v15, v11, vcc
	v_cndmask_b32_e32 v10, v14, v10, vcc
	s_nop 0
	v_mov_b32_dpp v13, v11 row_shr:2 row_mask:0xf bank_mask:0xf
	v_mov_b32_dpp v12, v10 row_shr:2 row_mask:0xf bank_mask:0xf
	v_cmp_lt_i64_e32 vcc, v[12:13], v[10:11]
	s_nop 1
	v_cndmask_b32_e32 v11, v11, v13, vcc
	v_cndmask_b32_e32 v10, v10, v12, vcc
	s_nop 0
	;; [unrolled: 7-line block ×3, first 2 shown]
	v_mov_b32_dpp v14, v11 row_shr:8 row_mask:0xf bank_mask:0xc
	v_mov_b32_dpp v12, v10 row_shr:8 row_mask:0xf bank_mask:0xc
	s_and_saveexec_b64 s[0:1], s[4:5]
	s_cbranch_execz .LBB98_59
; %bb.55:                               ;   in Loop: Header=BB98_13 Depth=1
	v_mov_b32_e32 v13, v14
	v_cmp_lt_i64_e32 vcc, v[12:13], v[10:11]
	s_mov_b64 s[80:81], exec
	s_mov_b64 s[40:41], -1
	v_cndmask_b32_e32 v11, v11, v14, vcc
	v_cndmask_b32_e32 v10, v10, v12, vcc
.LBB98_56:                              ;   Parent Loop BB98_13 Depth=1
                                        ; =>  This Inner Loop Header: Depth=2
	s_ff1_i32_b64 s84, s[80:81]
	v_readlane_b32 s85, v11, s84
	v_readlane_b32 s86, v10, s84
	s_nop 0
	v_mov_b32_e32 v13, s85
	v_mov_b32_e32 v12, s86
	v_cmp_lt_u64_e32 vcc, s[40:41], v[12:13]
	s_and_b64 s[82:83], vcc, exec
	s_cselect_b32 s41, s41, s85
	s_cselect_b32 s40, s40, s86
	s_lshl_b64 s[82:83], 1, s84
	s_andn2_b64 s[80:81], s[80:81], s[82:83]
	s_cmp_lg_u64 s[80:81], 0
	s_cbranch_scc1 .LBB98_56
; %bb.57:                               ;   in Loop: Header=BB98_13 Depth=1
	v_mbcnt_lo_u32_b32 v10, exec_lo, 0
	v_mbcnt_hi_u32_b32 v10, exec_hi, v10
	v_cmp_eq_u32_e32 vcc, 0, v10
	s_and_saveexec_b64 s[80:81], vcc
	s_xor_b64 s[80:81], exec, s[80:81]
; %bb.58:                               ;   in Loop: Header=BB98_13 Depth=1
	v_mov_b64_e32 v[10:11], s[40:41]
	ds_min_u64 v3, v[10:11] offset:10240
.LBB98_59:                              ;   in Loop: Header=BB98_13 Depth=1
	s_or_b64 exec, exec, s[0:1]
	s_mov_b64 s[0:1], 0
	v_mov_b32_e32 v12, v38
	v_mov_b32_e32 v13, v37
	s_waitcnt lgkmcnt(0)
	s_barrier
	s_branch .LBB98_61
.LBB98_60:                              ;   in Loop: Header=BB98_61 Depth=2
	s_or_b64 exec, exec, s[40:41]
	s_waitcnt lgkmcnt(0)
	s_barrier
	ds_read_b32 v10, v3 offset:60
	v_add_u32_e32 v13, 0x200, v13
	v_cmp_lt_u32_e32 vcc, s96, v13
	s_or_b64 s[0:1], vcc, s[0:1]
	v_add_u32_e32 v12, 0x800, v12
	s_waitcnt lgkmcnt(0)
	v_ashrrev_i32_e32 v11, 31, v10
	v_lshl_add_u64 v[0:1], v[0:1], 0, v[10:11]
	s_andn2_b64 exec, exec, s[0:1]
	s_cbranch_execz .LBB98_12
.LBB98_61:                              ;   Parent Loop BB98_13 Depth=1
                                        ; =>  This Inner Loop Header: Depth=2
	ds_read_u8 v11, v13 offset:8704
	ds_read_b32 v14, v12
	s_waitcnt lgkmcnt(0)
	s_barrier
	v_cmp_ne_u16_e32 vcc, 0, v11
	s_bcnt1_i32_b64 s40, vcc
	v_mov_b32_e32 v16, s40
	ds_write_b32 v36, v16
	s_waitcnt lgkmcnt(0)
	s_barrier
	ds_read_b128 v[16:19], v3
	v_and_b32_e32 v15, vcc_lo, v8
	v_and_b32_e32 v10, vcc_hi, v9
	v_bcnt_u32_b32 v15, v15, 0
	ds_read_b128 v[20:23], v3 offset:16
	ds_read_b128 v[24:27], v3 offset:32
	ds_read_b96 v[28:30], v3 offset:48
	v_bcnt_u32_b32 v10, v10, v15
	s_waitcnt lgkmcnt(3)
	v_cndmask_b32_e64 v15, v16, 0, s[8:9]
	v_add_u32_e32 v10, v15, v10
	v_cndmask_b32_e64 v15, v17, 0, s[10:11]
	v_cndmask_b32_e64 v16, v18, 0, s[12:13]
	v_add3_u32 v10, v10, v15, v16
	v_cndmask_b32_e64 v15, v19, 0, s[14:15]
	s_waitcnt lgkmcnt(2)
	v_cndmask_b32_e64 v16, v20, 0, s[16:17]
	v_add3_u32 v10, v10, v15, v16
	v_cndmask_b32_e64 v15, v21, 0, s[18:19]
	v_cndmask_b32_e64 v16, v22, 0, s[20:21]
	v_add3_u32 v10, v10, v15, v16
	v_cndmask_b32_e64 v15, v23, 0, s[22:23]
	s_waitcnt lgkmcnt(1)
	v_cndmask_b32_e64 v16, v24, 0, s[24:25]
	v_add3_u32 v10, v10, v15, v16
	;; [unrolled: 7-line block ×3, first 2 shown]
	v_cndmask_b32_e64 v15, v29, 0, s[36:37]
	v_cndmask_b32_e64 v16, v30, 0, s[38:39]
	v_and_b32_e32 v11, 1, v11
	v_add3_u32 v10, v10, v15, v16
	v_cmp_eq_u32_e32 vcc, 1, v11
	s_and_saveexec_b64 s[40:41], vcc
	s_cbranch_execz .LBB98_63
; %bb.62:                               ;   in Loop: Header=BB98_61 Depth=2
	v_lshl_add_u64 v[16:17], v[0:1], 2, s[64:65]
	v_ashrrev_i32_e32 v11, 31, v10
	v_lshl_add_u64 v[16:17], v[10:11], 2, v[16:17]
	global_store_dword v[16:17], v14, off offset:-4
.LBB98_63:                              ;   in Loop: Header=BB98_61 Depth=2
	s_or_b64 exec, exec, s[40:41]
	s_and_saveexec_b64 s[40:41], s[6:7]
	s_cbranch_execz .LBB98_60
; %bb.64:                               ;   in Loop: Header=BB98_61 Depth=2
	ds_write_b32 v3, v10 offset:60
	s_branch .LBB98_60
.LBB98_65:
	s_endpgm
	.section	.rodata,"a",@progbits
	.p2align	6, 0x0
	.amdhsa_kernel _ZN9rocsparseL51csrgemm_numeric_fill_block_per_row_multipass_kernelILj512ELj16ELj2048ELj32EllfEEvT4_PKS1_S3_NS_24const_host_device_scalarIT5_EEPKT3_S3_PKS5_S9_S3_SB_S6_S9_S3_SB_S9_S3_PS5_PS7_21rocsparse_index_base_SE_SE_SE_bbb
		.amdhsa_group_segment_fixed_size 10248
		.amdhsa_private_segment_fixed_size 0
		.amdhsa_kernarg_size 164
		.amdhsa_user_sgpr_count 2
		.amdhsa_user_sgpr_dispatch_ptr 0
		.amdhsa_user_sgpr_queue_ptr 0
		.amdhsa_user_sgpr_kernarg_segment_ptr 1
		.amdhsa_user_sgpr_dispatch_id 0
		.amdhsa_user_sgpr_kernarg_preload_length 0
		.amdhsa_user_sgpr_kernarg_preload_offset 0
		.amdhsa_user_sgpr_private_segment_size 0
		.amdhsa_uses_dynamic_stack 0
		.amdhsa_enable_private_segment 0
		.amdhsa_system_sgpr_workgroup_id_x 1
		.amdhsa_system_sgpr_workgroup_id_y 0
		.amdhsa_system_sgpr_workgroup_id_z 0
		.amdhsa_system_sgpr_workgroup_info 0
		.amdhsa_system_vgpr_workitem_id 0
		.amdhsa_next_free_vgpr 44
		.amdhsa_next_free_sgpr 97
		.amdhsa_accum_offset 44
		.amdhsa_reserve_vcc 1
		.amdhsa_float_round_mode_32 0
		.amdhsa_float_round_mode_16_64 0
		.amdhsa_float_denorm_mode_32 3
		.amdhsa_float_denorm_mode_16_64 3
		.amdhsa_dx10_clamp 1
		.amdhsa_ieee_mode 1
		.amdhsa_fp16_overflow 0
		.amdhsa_tg_split 0
		.amdhsa_exception_fp_ieee_invalid_op 0
		.amdhsa_exception_fp_denorm_src 0
		.amdhsa_exception_fp_ieee_div_zero 0
		.amdhsa_exception_fp_ieee_overflow 0
		.amdhsa_exception_fp_ieee_underflow 0
		.amdhsa_exception_fp_ieee_inexact 0
		.amdhsa_exception_int_div_zero 0
	.end_amdhsa_kernel
	.section	.text._ZN9rocsparseL51csrgemm_numeric_fill_block_per_row_multipass_kernelILj512ELj16ELj2048ELj32EllfEEvT4_PKS1_S3_NS_24const_host_device_scalarIT5_EEPKT3_S3_PKS5_S9_S3_SB_S6_S9_S3_SB_S9_S3_PS5_PS7_21rocsparse_index_base_SE_SE_SE_bbb,"axG",@progbits,_ZN9rocsparseL51csrgemm_numeric_fill_block_per_row_multipass_kernelILj512ELj16ELj2048ELj32EllfEEvT4_PKS1_S3_NS_24const_host_device_scalarIT5_EEPKT3_S3_PKS5_S9_S3_SB_S6_S9_S3_SB_S9_S3_PS5_PS7_21rocsparse_index_base_SE_SE_SE_bbb,comdat
.Lfunc_end98:
	.size	_ZN9rocsparseL51csrgemm_numeric_fill_block_per_row_multipass_kernelILj512ELj16ELj2048ELj32EllfEEvT4_PKS1_S3_NS_24const_host_device_scalarIT5_EEPKT3_S3_PKS5_S9_S3_SB_S6_S9_S3_SB_S9_S3_PS5_PS7_21rocsparse_index_base_SE_SE_SE_bbb, .Lfunc_end98-_ZN9rocsparseL51csrgemm_numeric_fill_block_per_row_multipass_kernelILj512ELj16ELj2048ELj32EllfEEvT4_PKS1_S3_NS_24const_host_device_scalarIT5_EEPKT3_S3_PKS5_S9_S3_SB_S6_S9_S3_SB_S9_S3_PS5_PS7_21rocsparse_index_base_SE_SE_SE_bbb
                                        ; -- End function
	.set _ZN9rocsparseL51csrgemm_numeric_fill_block_per_row_multipass_kernelILj512ELj16ELj2048ELj32EllfEEvT4_PKS1_S3_NS_24const_host_device_scalarIT5_EEPKT3_S3_PKS5_S9_S3_SB_S6_S9_S3_SB_S9_S3_PS5_PS7_21rocsparse_index_base_SE_SE_SE_bbb.num_vgpr, 44
	.set _ZN9rocsparseL51csrgemm_numeric_fill_block_per_row_multipass_kernelILj512ELj16ELj2048ELj32EllfEEvT4_PKS1_S3_NS_24const_host_device_scalarIT5_EEPKT3_S3_PKS5_S9_S3_SB_S6_S9_S3_SB_S9_S3_PS5_PS7_21rocsparse_index_base_SE_SE_SE_bbb.num_agpr, 0
	.set _ZN9rocsparseL51csrgemm_numeric_fill_block_per_row_multipass_kernelILj512ELj16ELj2048ELj32EllfEEvT4_PKS1_S3_NS_24const_host_device_scalarIT5_EEPKT3_S3_PKS5_S9_S3_SB_S6_S9_S3_SB_S9_S3_PS5_PS7_21rocsparse_index_base_SE_SE_SE_bbb.numbered_sgpr, 97
	.set _ZN9rocsparseL51csrgemm_numeric_fill_block_per_row_multipass_kernelILj512ELj16ELj2048ELj32EllfEEvT4_PKS1_S3_NS_24const_host_device_scalarIT5_EEPKT3_S3_PKS5_S9_S3_SB_S6_S9_S3_SB_S9_S3_PS5_PS7_21rocsparse_index_base_SE_SE_SE_bbb.num_named_barrier, 0
	.set _ZN9rocsparseL51csrgemm_numeric_fill_block_per_row_multipass_kernelILj512ELj16ELj2048ELj32EllfEEvT4_PKS1_S3_NS_24const_host_device_scalarIT5_EEPKT3_S3_PKS5_S9_S3_SB_S6_S9_S3_SB_S9_S3_PS5_PS7_21rocsparse_index_base_SE_SE_SE_bbb.private_seg_size, 0
	.set _ZN9rocsparseL51csrgemm_numeric_fill_block_per_row_multipass_kernelILj512ELj16ELj2048ELj32EllfEEvT4_PKS1_S3_NS_24const_host_device_scalarIT5_EEPKT3_S3_PKS5_S9_S3_SB_S6_S9_S3_SB_S9_S3_PS5_PS7_21rocsparse_index_base_SE_SE_SE_bbb.uses_vcc, 1
	.set _ZN9rocsparseL51csrgemm_numeric_fill_block_per_row_multipass_kernelILj512ELj16ELj2048ELj32EllfEEvT4_PKS1_S3_NS_24const_host_device_scalarIT5_EEPKT3_S3_PKS5_S9_S3_SB_S6_S9_S3_SB_S9_S3_PS5_PS7_21rocsparse_index_base_SE_SE_SE_bbb.uses_flat_scratch, 0
	.set _ZN9rocsparseL51csrgemm_numeric_fill_block_per_row_multipass_kernelILj512ELj16ELj2048ELj32EllfEEvT4_PKS1_S3_NS_24const_host_device_scalarIT5_EEPKT3_S3_PKS5_S9_S3_SB_S6_S9_S3_SB_S9_S3_PS5_PS7_21rocsparse_index_base_SE_SE_SE_bbb.has_dyn_sized_stack, 0
	.set _ZN9rocsparseL51csrgemm_numeric_fill_block_per_row_multipass_kernelILj512ELj16ELj2048ELj32EllfEEvT4_PKS1_S3_NS_24const_host_device_scalarIT5_EEPKT3_S3_PKS5_S9_S3_SB_S6_S9_S3_SB_S9_S3_PS5_PS7_21rocsparse_index_base_SE_SE_SE_bbb.has_recursion, 0
	.set _ZN9rocsparseL51csrgemm_numeric_fill_block_per_row_multipass_kernelILj512ELj16ELj2048ELj32EllfEEvT4_PKS1_S3_NS_24const_host_device_scalarIT5_EEPKT3_S3_PKS5_S9_S3_SB_S6_S9_S3_SB_S9_S3_PS5_PS7_21rocsparse_index_base_SE_SE_SE_bbb.has_indirect_call, 0
	.section	.AMDGPU.csdata,"",@progbits
; Kernel info:
; codeLenInByte = 2704
; TotalNumSgprs: 103
; NumVgprs: 44
; NumAgprs: 0
; TotalNumVgprs: 44
; ScratchSize: 0
; MemoryBound: 0
; FloatMode: 240
; IeeeMode: 1
; LDSByteSize: 10248 bytes/workgroup (compile time only)
; SGPRBlocks: 12
; VGPRBlocks: 5
; NumSGPRsForWavesPerEU: 103
; NumVGPRsForWavesPerEU: 44
; AccumOffset: 44
; Occupancy: 7
; WaveLimiterHint : 1
; COMPUTE_PGM_RSRC2:SCRATCH_EN: 0
; COMPUTE_PGM_RSRC2:USER_SGPR: 2
; COMPUTE_PGM_RSRC2:TRAP_HANDLER: 0
; COMPUTE_PGM_RSRC2:TGID_X_EN: 1
; COMPUTE_PGM_RSRC2:TGID_Y_EN: 0
; COMPUTE_PGM_RSRC2:TGID_Z_EN: 0
; COMPUTE_PGM_RSRC2:TIDIG_COMP_CNT: 0
; COMPUTE_PGM_RSRC3_GFX90A:ACCUM_OFFSET: 10
; COMPUTE_PGM_RSRC3_GFX90A:TG_SPLIT: 0
	.section	.text._ZN9rocsparseL51csrgemm_numeric_fill_block_per_row_multipass_kernelILj512ELj16ELj2048ELj64EllfEEvT4_PKS1_S3_NS_24const_host_device_scalarIT5_EEPKT3_S3_PKS5_S9_S3_SB_S6_S9_S3_SB_S9_S3_PS5_PS7_21rocsparse_index_base_SE_SE_SE_bbb,"axG",@progbits,_ZN9rocsparseL51csrgemm_numeric_fill_block_per_row_multipass_kernelILj512ELj16ELj2048ELj64EllfEEvT4_PKS1_S3_NS_24const_host_device_scalarIT5_EEPKT3_S3_PKS5_S9_S3_SB_S6_S9_S3_SB_S9_S3_PS5_PS7_21rocsparse_index_base_SE_SE_SE_bbb,comdat
	.globl	_ZN9rocsparseL51csrgemm_numeric_fill_block_per_row_multipass_kernelILj512ELj16ELj2048ELj64EllfEEvT4_PKS1_S3_NS_24const_host_device_scalarIT5_EEPKT3_S3_PKS5_S9_S3_SB_S6_S9_S3_SB_S9_S3_PS5_PS7_21rocsparse_index_base_SE_SE_SE_bbb ; -- Begin function _ZN9rocsparseL51csrgemm_numeric_fill_block_per_row_multipass_kernelILj512ELj16ELj2048ELj64EllfEEvT4_PKS1_S3_NS_24const_host_device_scalarIT5_EEPKT3_S3_PKS5_S9_S3_SB_S6_S9_S3_SB_S9_S3_PS5_PS7_21rocsparse_index_base_SE_SE_SE_bbb
	.p2align	8
	.type	_ZN9rocsparseL51csrgemm_numeric_fill_block_per_row_multipass_kernelILj512ELj16ELj2048ELj64EllfEEvT4_PKS1_S3_NS_24const_host_device_scalarIT5_EEPKT3_S3_PKS5_S9_S3_SB_S6_S9_S3_SB_S9_S3_PS5_PS7_21rocsparse_index_base_SE_SE_SE_bbb,@function
_ZN9rocsparseL51csrgemm_numeric_fill_block_per_row_multipass_kernelILj512ELj16ELj2048ELj64EllfEEvT4_PKS1_S3_NS_24const_host_device_scalarIT5_EEPKT3_S3_PKS5_S9_S3_SB_S6_S9_S3_SB_S9_S3_PS5_PS7_21rocsparse_index_base_SE_SE_SE_bbb: ; @_ZN9rocsparseL51csrgemm_numeric_fill_block_per_row_multipass_kernelILj512ELj16ELj2048ELj64EllfEEvT4_PKS1_S3_NS_24const_host_device_scalarIT5_EEPKT3_S3_PKS5_S9_S3_SB_S6_S9_S3_SB_S9_S3_PS5_PS7_21rocsparse_index_base_SE_SE_SE_bbb
; %bb.0:
	s_load_dword s3, s[0:1], 0xa0
	s_load_dwordx4 s[4:7], s[0:1], 0x8
	s_load_dwordx2 s[10:11], s[0:1], 0x18
	s_load_dwordx4 s[28:31], s[0:1], 0x90
	s_load_dwordx2 s[12:13], s[0:1], 0x50
	s_waitcnt lgkmcnt(0)
	s_bitcmp1_b32 s3, 0
	s_cselect_b64 s[8:9], -1, 0
	s_bitcmp1_b32 s3, 16
	s_cselect_b64 s[14:15], -1, 0
	s_xor_b64 s[16:17], s[8:9], -1
	s_or_b64 s[16:17], s[14:15], s[16:17]
	s_and_b64 vcc, exec, s[16:17]
	s_cbranch_vccnz .LBB99_2
; %bb.1:
	s_load_dword s10, s[10:11], 0x0
	s_waitcnt lgkmcnt(0)
	v_mov_b32_e32 v34, s10
	s_branch .LBB99_3
.LBB99_2:
	v_mov_b32_e32 v1, s10
	v_cndmask_b32_e64 v34, 0, v1, s[8:9]
.LBB99_3:
	s_load_dwordx2 s[10:11], s[0:1], 0x20
	s_bitcmp1_b32 s3, 8
	s_cselect_b64 s[24:25], -1, 0
	s_xor_b64 s[16:17], s[24:25], -1
	s_or_b64 s[14:15], s[14:15], s[16:17]
	s_mov_b32 s3, 0
	s_and_b64 vcc, exec, s[14:15]
	s_cbranch_vccnz .LBB99_5
; %bb.4:
	s_load_dword s12, s[12:13], 0x0
	s_waitcnt lgkmcnt(0)
	v_mov_b32_e32 v35, s12
	s_branch .LBB99_6
.LBB99_5:
	v_mov_b32_e32 v1, s12
	v_cndmask_b32_e64 v35, 0, v1, s[24:25]
.LBB99_6:
	s_load_dwordx2 s[4:5], s[4:5], 0x0
	v_cndmask_b32_e64 v1, 0, 1, s[8:9]
	s_mov_b64 s[26:27], 0
	s_waitcnt lgkmcnt(0)
	s_lshl_b64 s[4:5], s[4:5], 3
	s_add_u32 s4, s6, s4
	s_addc_u32 s5, s7, s5
	s_lshl_b64 s[2:3], s[2:3], 3
	s_add_u32 s2, s4, s2
	s_addc_u32 s3, s5, s3
	s_load_dwordx2 s[6:7], s[2:3], 0x0
	v_cmp_ne_u32_e64 s[2:3], 1, v1
	s_andn2_b64 vcc, exec, s[8:9]
	s_mov_b64 s[4:5], 0
	s_cbranch_vccz .LBB99_9
; %bb.7:
	s_and_b64 vcc, exec, s[2:3]
	s_cbranch_vccz .LBB99_10
.LBB99_8:
	s_load_dwordx2 s[34:35], s[0:1], 0x0
	s_waitcnt lgkmcnt(0)
	v_cmp_lt_i64_e64 s[2:3], s[34:35], 1
	s_and_b64 vcc, exec, s[2:3]
	s_cbranch_vccz .LBB99_11
	s_branch .LBB99_65
.LBB99_9:
	s_waitcnt lgkmcnt(0)
	s_lshl_b64 s[4:5], s[6:7], 3
	s_add_u32 s4, s10, s4
	s_addc_u32 s5, s11, s5
	s_load_dwordx2 s[4:5], s[4:5], 0x0
	s_waitcnt lgkmcnt(0)
	s_sub_u32 s4, s4, s28
	s_subb_u32 s5, s5, 0
	s_and_b64 vcc, exec, s[2:3]
	s_cbranch_vccnz .LBB99_8
.LBB99_10:
	s_waitcnt lgkmcnt(0)
	s_lshl_b64 s[2:3], s[6:7], 3
	s_add_u32 s2, s10, s2
	s_addc_u32 s3, s11, s3
	s_load_dwordx2 s[2:3], s[2:3], 0x8
	s_waitcnt lgkmcnt(0)
	s_sub_u32 s26, s2, s28
	s_subb_u32 s27, s3, 0
	s_load_dwordx2 s[34:35], s[0:1], 0x0
	s_waitcnt lgkmcnt(0)
	v_cmp_lt_i64_e64 s[2:3], s[34:35], 1
	s_and_b64 vcc, exec, s[2:3]
	s_cbranch_vccnz .LBB99_65
.LBB99_11:
	s_load_dwordx8 s[36:43], s[0:1], 0x58
	s_load_dwordx4 s[52:55], s[0:1], 0x80
	s_load_dwordx2 s[56:57], s[0:1], 0x48
	s_load_dwordx8 s[44:51], s[0:1], 0x28
	s_lshl_b64 s[0:1], s[6:7], 3
	s_waitcnt lgkmcnt(0)
	s_add_u32 s2, s42, s0
	s_addc_u32 s3, s43, s1
	s_load_dwordx2 s[6:7], s[2:3], 0x0
	v_mov_b32_e32 v3, 0
	v_lshrrev_b32_e32 v10, 4, v0
	v_mov_b32_e32 v11, v3
	v_mbcnt_lo_u32_b32 v1, -1, 0
	s_waitcnt lgkmcnt(0)
	s_sub_u32 s22, s6, s30
	s_subb_u32 s23, s7, 0
	s_add_u32 s36, s36, s0
	s_addc_u32 s37, s37, s1
	v_subrev_co_u32_e64 v6, s[0:1], s31, v0
	v_lshl_add_u64 v[4:5], s[4:5], 0, v[10:11]
	s_nop 0
	v_subb_co_u32_e64 v7, s[0:1], 0, 0, s[0:1]
	s_movk_i32 s0, 0x1ff
	s_nop 0
	v_cmp_eq_u32_e64 s[6:7], s0, v0
	s_movk_i32 s0, 0x80
	v_cmp_gt_u32_e64 s[10:11], s0, v0
	s_movk_i32 s0, 0xc0
	v_cmp_gt_u32_e64 s[12:13], s0, v0
	;; [unrolled: 2-line block ×3, first 2 shown]
	s_movk_i32 s0, 0x140
	v_mbcnt_hi_u32_b32 v1, -1, v1
	v_cmp_gt_u32_e64 s[16:17], s0, v0
	s_movk_i32 s0, 0x180
	v_and_b32_e32 v2, 15, v0
	v_cmp_gt_i64_e32 vcc, s[26:27], v[4:5]
	v_sub_u32_e32 v1, 63, v1
	v_cmp_gt_u32_e64 s[18:19], s0, v0
	s_movk_i32 s0, 0x1c0
	v_cmp_eq_u32_e64 s[2:3], 0, v0
	v_cmp_eq_u32_e64 s[4:5], 15, v2
	s_mov_b32 s33, s31
	v_lshrrev_b64 v[8:9], v1, -1
	v_and_b32_e32 v36, 28, v10
	s_and_b64 s[30:31], s[8:9], vcc
	v_cmp_gt_u32_e64 s[8:9], 64, v0
	v_cmp_gt_u32_e64 s[20:21], s0, v0
	v_or_b32_e32 v37, 0xfffffe00, v0
	v_lshlrev_b32_e32 v38, 2, v0
	v_mov_b64_e32 v[10:11], 0
	v_mov_b64_e32 v[12:13], 0x800
	;; [unrolled: 1-line block ×3, first 2 shown]
	s_movk_i32 s80, 0x5ff
	v_mov_b64_e32 v[42:43], s[34:35]
	v_mov_b32_e32 v39, 1
	s_mov_b64 s[42:43], 0x80
	s_mov_b64 s[58:59], 0x200
	;; [unrolled: 1-line block ×4, first 2 shown]
	s_branch .LBB99_13
.LBB99_12:                              ;   in Loop: Header=BB99_13 Depth=1
	s_or_b64 exec, exec, s[0:1]
	ds_read_b64 v[10:11], v3 offset:10240
	s_waitcnt lgkmcnt(0)
	s_barrier
	v_cmp_le_i64_e32 vcc, s[34:35], v[10:11]
	v_lshl_add_u64 v[12:13], v[10:11], 0, s[62:63]
	s_cbranch_vccnz .LBB99_65
.LBB99_13:                              ; =>This Loop Header: Depth=1
                                        ;     Child Loop BB99_14 Depth 2
                                        ;     Child Loop BB99_20 Depth 2
                                        ;       Child Loop BB99_28 Depth 3
                                        ;     Child Loop BB99_44 Depth 2
                                        ;     Child Loop BB99_56 Depth 2
	;; [unrolled: 1-line block ×3, first 2 shown]
	s_mov_b64 s[0:1], 0
	v_mov_b32_e32 v14, v38
	v_mov_b32_e32 v15, v37
.LBB99_14:                              ;   Parent Loop BB99_13 Depth=1
                                        ; =>  This Inner Loop Header: Depth=2
	ds_write_b8 v15, v3 offset:8704
	ds_write_b32 v14, v3
	v_add_u32_e32 v15, 0x200, v15
	v_cmp_lt_u32_e32 vcc, s80, v15
	s_or_b64 s[0:1], vcc, s[0:1]
	v_add_u32_e32 v14, 0x800, v14
	s_andn2_b64 exec, exec, s[0:1]
	s_cbranch_execnz .LBB99_14
; %bb.15:                               ;   in Loop: Header=BB99_13 Depth=1
	s_or_b64 exec, exec, s[0:1]
	s_and_saveexec_b64 s[0:1], s[2:3]
; %bb.16:                               ;   in Loop: Header=BB99_13 Depth=1
	ds_write_b64 v3, v[42:43] offset:10240
; %bb.17:                               ;   in Loop: Header=BB99_13 Depth=1
	s_or_b64 exec, exec, s[0:1]
	v_mov_b64_e32 v[14:15], s[34:35]
	s_waitcnt lgkmcnt(0)
	s_barrier
	s_and_saveexec_b64 s[64:65], s[30:31]
	s_cbranch_execz .LBB99_40
; %bb.18:                               ;   in Loop: Header=BB99_13 Depth=1
	s_mov_b64 s[66:67], 0
	v_cmp_ne_u64_e64 s[22:23], 0, v[10:11]
	v_mov_b64_e32 v[14:15], s[34:35]
	v_mov_b64_e32 v[16:17], v[4:5]
	s_branch .LBB99_20
.LBB99_19:                              ;   in Loop: Header=BB99_20 Depth=2
	s_or_b64 exec, exec, s[0:1]
	v_lshl_add_u64 v[16:17], v[16:17], 0, 32
	v_cmp_le_i64_e32 vcc, s[26:27], v[16:17]
	s_or_b64 s[66:67], vcc, s[66:67]
	s_andn2_b64 exec, exec, s[66:67]
	s_cbranch_execz .LBB99_39
.LBB99_20:                              ;   Parent Loop BB99_13 Depth=1
                                        ; =>  This Loop Header: Depth=2
                                        ;       Child Loop BB99_28 Depth 3
	v_lshl_add_u64 v[18:19], v[16:17], 3, s[44:45]
	global_load_dwordx2 v[22:23], v[18:19], off
	v_lshl_add_u64 v[18:19], v[16:17], 2, s[46:47]
	global_load_dword v24, v[18:19], off
	s_and_b64 vcc, exec, s[22:23]
	v_lshl_add_u64 v[18:19], v[16:17], 3, s[54:55]
	s_cbranch_vccz .LBB99_22
; %bb.21:                               ;   in Loop: Header=BB99_20 Depth=2
	global_load_dwordx2 v[20:21], v[18:19], off
	s_mov_b64 s[0:1], 0
	s_branch .LBB99_23
.LBB99_22:                              ;   in Loop: Header=BB99_20 Depth=2
	s_mov_b64 s[0:1], -1
                                        ; implicit-def: $vgpr20_vgpr21
.LBB99_23:                              ;   in Loop: Header=BB99_20 Depth=2
	s_waitcnt vmcnt(1)
	v_subrev_co_u32_e32 v22, vcc, s28, v22
	s_nop 1
	v_subbrev_co_u32_e32 v23, vcc, 0, v23, vcc
	s_andn2_b64 vcc, exec, s[0:1]
	v_lshl_add_u64 v[22:23], v[22:23], 3, s[48:49]
	s_cbranch_vccnz .LBB99_25
; %bb.24:                               ;   in Loop: Header=BB99_20 Depth=2
	global_load_dwordx2 v[20:21], v[22:23], off
	s_waitcnt vmcnt(0)
	v_subrev_co_u32_e32 v20, vcc, s29, v20
	s_nop 1
	v_subbrev_co_u32_e32 v21, vcc, 0, v21, vcc
.LBB99_25:                              ;   in Loop: Header=BB99_20 Depth=2
	global_load_dwordx2 v[22:23], v[22:23], off offset:8
	s_waitcnt vmcnt(1)
	v_lshl_add_u64 v[20:21], v[20:21], 0, v[2:3]
	s_waitcnt vmcnt(0)
	v_subrev_co_u32_e32 v22, vcc, s29, v22
	s_nop 1
	v_subbrev_co_u32_e32 v23, vcc, 0, v23, vcc
	v_cmp_lt_i64_e32 vcc, v[20:21], v[22:23]
	s_and_saveexec_b64 s[68:69], vcc
	s_cbranch_execz .LBB99_37
; %bb.26:                               ;   in Loop: Header=BB99_20 Depth=2
	v_mul_f32_e32 v40, v34, v24
	v_lshl_add_u64 v[24:25], v[20:21], 3, s[50:51]
	v_lshl_add_u64 v[28:29], v[20:21], 2, s[56:57]
	s_mov_b64 s[72:73], 0
	v_mov_b64_e32 v[32:33], v[20:21]
                                        ; implicit-def: $sgpr70_sgpr71
                                        ; implicit-def: $sgpr74_sgpr75
	s_branch .LBB99_28
.LBB99_27:                              ;   in Loop: Header=BB99_28 Depth=3
	s_or_b64 exec, exec, s[78:79]
	s_and_b64 s[0:1], exec, s[76:77]
	s_or_b64 s[72:73], s[0:1], s[72:73]
	s_andn2_b64 s[0:1], s[70:71], exec
	s_and_b64 s[70:71], s[74:75], exec
	s_or_b64 s[70:71], s[0:1], s[70:71]
	s_andn2_b64 exec, exec, s[72:73]
	s_cbranch_execz .LBB99_34
.LBB99_28:                              ;   Parent Loop BB99_13 Depth=1
                                        ;     Parent Loop BB99_20 Depth=2
                                        ; =>    This Inner Loop Header: Depth=3
	global_load_dwordx2 v[30:31], v[24:25], off
	v_mov_b64_e32 v[26:27], v[32:33]
	s_waitcnt vmcnt(0)
	v_subrev_co_u32_e32 v30, vcc, s29, v30
	s_nop 1
	v_subbrev_co_u32_e32 v31, vcc, 0, v31, vcc
	v_cmp_lt_i64_e32 vcc, v[30:31], v[10:11]
	v_cmp_ge_i64_e64 s[0:1], v[30:31], v[12:13]
	s_or_b64 s[76:77], vcc, s[0:1]
	s_mov_b64 s[0:1], 0
	s_and_saveexec_b64 s[78:79], s[76:77]
	s_xor_b64 s[76:77], exec, s[78:79]
; %bb.29:                               ;   in Loop: Header=BB99_28 Depth=3
	v_cmp_lt_i64_e32 vcc, v[30:31], v[12:13]
	s_and_b64 s[0:1], vcc, exec
; %bb.30:                               ;   in Loop: Header=BB99_28 Depth=3
	s_andn2_saveexec_b64 s[76:77], s[76:77]
	s_cbranch_execz .LBB99_32
; %bb.31:                               ;   in Loop: Header=BB99_28 Depth=3
	global_load_dword v32, v[28:29], off
	v_sub_u32_e32 v33, v30, v10
	ds_write_b8 v33, v39 offset:8192
	v_lshlrev_b32_e32 v33, 2, v33
	s_or_b64 s[0:1], s[0:1], exec
	s_waitcnt vmcnt(0)
	v_mul_f32_e32 v32, v40, v32
	ds_add_f32 v33, v32
.LBB99_32:                              ;   in Loop: Header=BB99_28 Depth=3
	s_or_b64 exec, exec, s[76:77]
	s_mov_b64 s[76:77], -1
	s_or_b64 s[74:75], s[74:75], exec
                                        ; implicit-def: $vgpr32_vgpr33
	s_and_saveexec_b64 s[78:79], s[0:1]
	s_cbranch_execz .LBB99_27
; %bb.33:                               ;   in Loop: Header=BB99_28 Depth=3
	v_lshl_add_u64 v[32:33], v[26:27], 0, 16
	v_cmp_ge_i64_e32 vcc, v[32:33], v[22:23]
	v_lshl_add_u64 v[24:25], v[24:25], 0, s[42:43]
	v_lshl_add_u64 v[28:29], v[28:29], 0, 64
	s_andn2_b64 s[74:75], s[74:75], exec
	s_orn2_b64 s[76:77], vcc, exec
	s_branch .LBB99_27
.LBB99_34:                              ;   in Loop: Header=BB99_20 Depth=2
	s_or_b64 exec, exec, s[72:73]
	s_and_saveexec_b64 s[0:1], s[70:71]
	s_xor_b64 s[0:1], exec, s[0:1]
; %bb.35:                               ;   in Loop: Header=BB99_20 Depth=2
	v_cmp_lt_i64_e32 vcc, v[30:31], v[14:15]
	v_mov_b64_e32 v[20:21], v[26:27]
	s_nop 0
	v_cndmask_b32_e32 v15, v15, v31, vcc
	v_cndmask_b32_e32 v14, v14, v30, vcc
; %bb.36:                               ;   in Loop: Header=BB99_20 Depth=2
	s_or_b64 exec, exec, s[0:1]
.LBB99_37:                              ;   in Loop: Header=BB99_20 Depth=2
	s_or_b64 exec, exec, s[68:69]
	v_mov_b32_dpp v22, v20 row_shr:1 row_mask:0xf bank_mask:0xf
	v_mov_b32_dpp v23, v21 row_shr:1 row_mask:0xf bank_mask:0xf
	v_cmp_lt_i64_e32 vcc, v[22:23], v[20:21]
	s_nop 1
	v_cndmask_b32_e32 v21, v21, v23, vcc
	v_cndmask_b32_e32 v20, v20, v22, vcc
	s_nop 0
	v_mov_b32_dpp v23, v21 row_shr:2 row_mask:0xf bank_mask:0xf
	v_mov_b32_dpp v22, v20 row_shr:2 row_mask:0xf bank_mask:0xf
	v_cmp_lt_i64_e32 vcc, v[22:23], v[20:21]
	s_nop 1
	v_cndmask_b32_e32 v21, v21, v23, vcc
	v_cndmask_b32_e32 v20, v20, v22, vcc
	s_nop 0
	;; [unrolled: 7-line block ×3, first 2 shown]
	v_mov_b32_dpp v24, v21 row_shr:8 row_mask:0xf bank_mask:0xc
	v_mov_b32_dpp v22, v20 row_shr:8 row_mask:0xf bank_mask:0xc
	s_and_saveexec_b64 s[0:1], s[4:5]
	s_cbranch_execz .LBB99_19
; %bb.38:                               ;   in Loop: Header=BB99_20 Depth=2
	v_mov_b32_e32 v23, v24
	v_cmp_lt_i64_e32 vcc, v[22:23], v[20:21]
	s_nop 1
	v_cndmask_b32_e32 v21, v21, v24, vcc
	v_cndmask_b32_e32 v20, v20, v22, vcc
	global_store_dwordx2 v[18:19], v[20:21], off
	s_branch .LBB99_19
.LBB99_39:                              ;   in Loop: Header=BB99_13 Depth=1
	s_or_b64 exec, exec, s[66:67]
.LBB99_40:                              ;   in Loop: Header=BB99_13 Depth=1
	s_or_b64 exec, exec, s[64:65]
	s_andn2_b64 vcc, exec, s[24:25]
	s_cbranch_vccnz .LBB99_54
; %bb.41:                               ;   in Loop: Header=BB99_13 Depth=1
	s_load_dwordx4 s[68:71], s[36:37], 0x0
	s_waitcnt lgkmcnt(0)
	s_sub_u32 s64, s70, s33
	s_subb_u32 s65, s71, 0
	v_lshl_add_u64 v[16:17], s[68:69], 0, v[6:7]
	v_cmp_gt_i64_e32 vcc, s[64:65], v[16:17]
	s_and_saveexec_b64 s[22:23], vcc
	s_cbranch_execz .LBB99_53
; %bb.42:                               ;   in Loop: Header=BB99_13 Depth=1
	v_lshl_add_u64 v[18:19], v[16:17], 3, s[38:39]
	v_lshl_add_u64 v[20:21], v[16:17], 2, s[40:41]
	s_mov_b64 s[66:67], 0
                                        ; implicit-def: $sgpr68_sgpr69
                                        ; implicit-def: $sgpr70_sgpr71
	s_branch .LBB99_44
.LBB99_43:                              ;   in Loop: Header=BB99_44 Depth=2
	s_or_b64 exec, exec, s[74:75]
	s_and_b64 s[0:1], exec, s[72:73]
	s_or_b64 s[66:67], s[0:1], s[66:67]
	s_andn2_b64 s[0:1], s[68:69], exec
	s_and_b64 s[68:69], s[70:71], exec
	s_or_b64 s[68:69], s[0:1], s[68:69]
	s_andn2_b64 exec, exec, s[66:67]
	s_cbranch_execz .LBB99_50
.LBB99_44:                              ;   Parent Loop BB99_13 Depth=1
                                        ; =>  This Inner Loop Header: Depth=2
	global_load_dwordx2 v[22:23], v[18:19], off
	s_waitcnt vmcnt(0)
	v_subrev_co_u32_e32 v22, vcc, s33, v22
	s_nop 1
	v_subbrev_co_u32_e32 v23, vcc, 0, v23, vcc
	v_cmp_lt_i64_e32 vcc, v[22:23], v[10:11]
	v_cmp_ge_i64_e64 s[0:1], v[22:23], v[12:13]
	s_or_b64 s[72:73], vcc, s[0:1]
	s_mov_b64 s[0:1], 0
	s_and_saveexec_b64 s[74:75], s[72:73]
	s_xor_b64 s[72:73], exec, s[74:75]
; %bb.45:                               ;   in Loop: Header=BB99_44 Depth=2
	v_cmp_lt_i64_e32 vcc, v[22:23], v[12:13]
	s_and_b64 s[0:1], vcc, exec
; %bb.46:                               ;   in Loop: Header=BB99_44 Depth=2
	s_andn2_saveexec_b64 s[72:73], s[72:73]
	s_cbranch_execz .LBB99_48
; %bb.47:                               ;   in Loop: Header=BB99_44 Depth=2
	global_load_dword v24, v[20:21], off
	v_sub_u32_e32 v25, v22, v10
	ds_write_b8 v25, v39 offset:8192
	v_lshlrev_b32_e32 v25, 2, v25
	s_or_b64 s[0:1], s[0:1], exec
	s_waitcnt vmcnt(0)
	v_mul_f32_e32 v24, v35, v24
	ds_add_f32 v25, v24
.LBB99_48:                              ;   in Loop: Header=BB99_44 Depth=2
	s_or_b64 exec, exec, s[72:73]
	s_mov_b64 s[72:73], -1
	s_or_b64 s[70:71], s[70:71], exec
	s_and_saveexec_b64 s[74:75], s[0:1]
	s_cbranch_execz .LBB99_43
; %bb.49:                               ;   in Loop: Header=BB99_44 Depth=2
	v_lshl_add_u64 v[16:17], v[16:17], 0, s[58:59]
	v_cmp_le_i64_e32 vcc, s[64:65], v[16:17]
	v_lshl_add_u64 v[18:19], v[18:19], 0, s[60:61]
	v_lshl_add_u64 v[20:21], v[20:21], 0, s[62:63]
	s_andn2_b64 s[70:71], s[70:71], exec
	s_orn2_b64 s[72:73], vcc, exec
	s_branch .LBB99_43
.LBB99_50:                              ;   in Loop: Header=BB99_13 Depth=1
	s_or_b64 exec, exec, s[66:67]
	s_and_saveexec_b64 s[0:1], s[68:69]
	s_xor_b64 s[0:1], exec, s[0:1]
; %bb.51:                               ;   in Loop: Header=BB99_13 Depth=1
	v_cmp_lt_i64_e32 vcc, v[22:23], v[14:15]
	s_nop 1
	v_cndmask_b32_e32 v15, v15, v23, vcc
	v_cndmask_b32_e32 v14, v14, v22, vcc
; %bb.52:                               ;   in Loop: Header=BB99_13 Depth=1
	s_or_b64 exec, exec, s[0:1]
.LBB99_53:                              ;   in Loop: Header=BB99_13 Depth=1
	s_or_b64 exec, exec, s[22:23]
.LBB99_54:                              ;   in Loop: Header=BB99_13 Depth=1
	v_mov_b32_dpp v10, v14 row_shr:1 row_mask:0xf bank_mask:0xf
	v_mov_b32_dpp v11, v15 row_shr:1 row_mask:0xf bank_mask:0xf
	v_cmp_lt_i64_e32 vcc, v[10:11], v[14:15]
	s_nop 1
	v_cndmask_b32_e32 v11, v15, v11, vcc
	v_cndmask_b32_e32 v10, v14, v10, vcc
	s_nop 0
	v_mov_b32_dpp v13, v11 row_shr:2 row_mask:0xf bank_mask:0xf
	v_mov_b32_dpp v12, v10 row_shr:2 row_mask:0xf bank_mask:0xf
	v_cmp_lt_i64_e32 vcc, v[12:13], v[10:11]
	s_nop 1
	v_cndmask_b32_e32 v11, v11, v13, vcc
	v_cndmask_b32_e32 v10, v10, v12, vcc
	s_nop 0
	;; [unrolled: 7-line block ×3, first 2 shown]
	v_mov_b32_dpp v14, v11 row_shr:8 row_mask:0xf bank_mask:0xc
	v_mov_b32_dpp v12, v10 row_shr:8 row_mask:0xf bank_mask:0xc
	s_and_saveexec_b64 s[0:1], s[4:5]
	s_cbranch_execz .LBB99_59
; %bb.55:                               ;   in Loop: Header=BB99_13 Depth=1
	v_mov_b32_e32 v13, v14
	v_cmp_lt_i64_e32 vcc, v[12:13], v[10:11]
	s_mov_b64 s[64:65], exec
	s_mov_b64 s[22:23], -1
	v_cndmask_b32_e32 v11, v11, v14, vcc
	v_cndmask_b32_e32 v10, v10, v12, vcc
.LBB99_56:                              ;   Parent Loop BB99_13 Depth=1
                                        ; =>  This Inner Loop Header: Depth=2
	s_ff1_i32_b64 s68, s[64:65]
	v_readlane_b32 s69, v11, s68
	v_readlane_b32 s70, v10, s68
	s_nop 0
	v_mov_b32_e32 v13, s69
	v_mov_b32_e32 v12, s70
	v_cmp_lt_u64_e32 vcc, s[22:23], v[12:13]
	s_and_b64 s[66:67], vcc, exec
	s_cselect_b32 s23, s23, s69
	s_cselect_b32 s22, s22, s70
	s_lshl_b64 s[66:67], 1, s68
	s_andn2_b64 s[64:65], s[64:65], s[66:67]
	s_cmp_lg_u64 s[64:65], 0
	s_cbranch_scc1 .LBB99_56
; %bb.57:                               ;   in Loop: Header=BB99_13 Depth=1
	v_mbcnt_lo_u32_b32 v10, exec_lo, 0
	v_mbcnt_hi_u32_b32 v10, exec_hi, v10
	v_cmp_eq_u32_e32 vcc, 0, v10
	s_and_saveexec_b64 s[64:65], vcc
	s_xor_b64 s[64:65], exec, s[64:65]
; %bb.58:                               ;   in Loop: Header=BB99_13 Depth=1
	v_mov_b64_e32 v[10:11], s[22:23]
	ds_min_u64 v3, v[10:11] offset:10240
.LBB99_59:                              ;   in Loop: Header=BB99_13 Depth=1
	s_or_b64 exec, exec, s[0:1]
	s_mov_b64 s[0:1], 0
	v_mov_b32_e32 v12, v38
	v_mov_b32_e32 v13, v37
	s_waitcnt lgkmcnt(0)
	s_barrier
	s_branch .LBB99_61
.LBB99_60:                              ;   in Loop: Header=BB99_61 Depth=2
	s_or_b64 exec, exec, s[22:23]
	s_waitcnt lgkmcnt(0)
	s_barrier
	ds_read_b32 v10, v3 offset:28
	v_add_u32_e32 v13, 0x200, v13
	v_cmp_lt_u32_e32 vcc, s80, v13
	s_or_b64 s[0:1], vcc, s[0:1]
	v_add_u32_e32 v12, 0x800, v12
	s_waitcnt lgkmcnt(0)
	v_ashrrev_i32_e32 v11, 31, v10
	v_lshl_add_u64 v[0:1], v[0:1], 0, v[10:11]
	s_andn2_b64 exec, exec, s[0:1]
	s_cbranch_execz .LBB99_12
.LBB99_61:                              ;   Parent Loop BB99_13 Depth=1
                                        ; =>  This Inner Loop Header: Depth=2
	ds_read_u8 v11, v13 offset:8704
	ds_read_b32 v14, v12
	s_waitcnt lgkmcnt(0)
	s_barrier
	v_cmp_ne_u16_e32 vcc, 0, v11
	s_bcnt1_i32_b64 s22, vcc
	v_mov_b32_e32 v15, s22
	ds_write_b32 v36, v15
	s_waitcnt lgkmcnt(0)
	s_barrier
	ds_read_b128 v[16:19], v3
	ds_read_b96 v[20:22], v3 offset:16
	v_and_b32_e32 v15, vcc_lo, v8
	v_and_b32_e32 v10, vcc_hi, v9
	v_bcnt_u32_b32 v15, v15, 0
	v_bcnt_u32_b32 v10, v10, v15
	s_waitcnt lgkmcnt(1)
	v_cndmask_b32_e64 v15, v16, 0, s[8:9]
	v_add_u32_e32 v10, v15, v10
	v_cndmask_b32_e64 v15, v17, 0, s[10:11]
	v_cndmask_b32_e64 v16, v18, 0, s[12:13]
	v_add3_u32 v10, v10, v15, v16
	v_cndmask_b32_e64 v15, v19, 0, s[14:15]
	s_waitcnt lgkmcnt(0)
	v_cndmask_b32_e64 v16, v20, 0, s[16:17]
	v_add3_u32 v10, v10, v15, v16
	v_cndmask_b32_e64 v15, v21, 0, s[18:19]
	v_cndmask_b32_e64 v16, v22, 0, s[20:21]
	v_and_b32_e32 v11, 1, v11
	v_add3_u32 v10, v10, v15, v16
	v_cmp_eq_u32_e32 vcc, 1, v11
	s_and_saveexec_b64 s[22:23], vcc
	s_cbranch_execz .LBB99_63
; %bb.62:                               ;   in Loop: Header=BB99_61 Depth=2
	v_lshl_add_u64 v[16:17], v[0:1], 2, s[52:53]
	v_ashrrev_i32_e32 v11, 31, v10
	v_lshl_add_u64 v[16:17], v[10:11], 2, v[16:17]
	global_store_dword v[16:17], v14, off offset:-4
.LBB99_63:                              ;   in Loop: Header=BB99_61 Depth=2
	s_or_b64 exec, exec, s[22:23]
	s_and_saveexec_b64 s[22:23], s[6:7]
	s_cbranch_execz .LBB99_60
; %bb.64:                               ;   in Loop: Header=BB99_61 Depth=2
	ds_write_b32 v3, v10 offset:28
	s_branch .LBB99_60
.LBB99_65:
	s_endpgm
	.section	.rodata,"a",@progbits
	.p2align	6, 0x0
	.amdhsa_kernel _ZN9rocsparseL51csrgemm_numeric_fill_block_per_row_multipass_kernelILj512ELj16ELj2048ELj64EllfEEvT4_PKS1_S3_NS_24const_host_device_scalarIT5_EEPKT3_S3_PKS5_S9_S3_SB_S6_S9_S3_SB_S9_S3_PS5_PS7_21rocsparse_index_base_SE_SE_SE_bbb
		.amdhsa_group_segment_fixed_size 10248
		.amdhsa_private_segment_fixed_size 0
		.amdhsa_kernarg_size 164
		.amdhsa_user_sgpr_count 2
		.amdhsa_user_sgpr_dispatch_ptr 0
		.amdhsa_user_sgpr_queue_ptr 0
		.amdhsa_user_sgpr_kernarg_segment_ptr 1
		.amdhsa_user_sgpr_dispatch_id 0
		.amdhsa_user_sgpr_kernarg_preload_length 0
		.amdhsa_user_sgpr_kernarg_preload_offset 0
		.amdhsa_user_sgpr_private_segment_size 0
		.amdhsa_uses_dynamic_stack 0
		.amdhsa_enable_private_segment 0
		.amdhsa_system_sgpr_workgroup_id_x 1
		.amdhsa_system_sgpr_workgroup_id_y 0
		.amdhsa_system_sgpr_workgroup_id_z 0
		.amdhsa_system_sgpr_workgroup_info 0
		.amdhsa_system_vgpr_workitem_id 0
		.amdhsa_next_free_vgpr 44
		.amdhsa_next_free_sgpr 81
		.amdhsa_accum_offset 44
		.amdhsa_reserve_vcc 1
		.amdhsa_float_round_mode_32 0
		.amdhsa_float_round_mode_16_64 0
		.amdhsa_float_denorm_mode_32 3
		.amdhsa_float_denorm_mode_16_64 3
		.amdhsa_dx10_clamp 1
		.amdhsa_ieee_mode 1
		.amdhsa_fp16_overflow 0
		.amdhsa_tg_split 0
		.amdhsa_exception_fp_ieee_invalid_op 0
		.amdhsa_exception_fp_denorm_src 0
		.amdhsa_exception_fp_ieee_div_zero 0
		.amdhsa_exception_fp_ieee_overflow 0
		.amdhsa_exception_fp_ieee_underflow 0
		.amdhsa_exception_fp_ieee_inexact 0
		.amdhsa_exception_int_div_zero 0
	.end_amdhsa_kernel
	.section	.text._ZN9rocsparseL51csrgemm_numeric_fill_block_per_row_multipass_kernelILj512ELj16ELj2048ELj64EllfEEvT4_PKS1_S3_NS_24const_host_device_scalarIT5_EEPKT3_S3_PKS5_S9_S3_SB_S6_S9_S3_SB_S9_S3_PS5_PS7_21rocsparse_index_base_SE_SE_SE_bbb,"axG",@progbits,_ZN9rocsparseL51csrgemm_numeric_fill_block_per_row_multipass_kernelILj512ELj16ELj2048ELj64EllfEEvT4_PKS1_S3_NS_24const_host_device_scalarIT5_EEPKT3_S3_PKS5_S9_S3_SB_S6_S9_S3_SB_S9_S3_PS5_PS7_21rocsparse_index_base_SE_SE_SE_bbb,comdat
.Lfunc_end99:
	.size	_ZN9rocsparseL51csrgemm_numeric_fill_block_per_row_multipass_kernelILj512ELj16ELj2048ELj64EllfEEvT4_PKS1_S3_NS_24const_host_device_scalarIT5_EEPKT3_S3_PKS5_S9_S3_SB_S6_S9_S3_SB_S9_S3_PS5_PS7_21rocsparse_index_base_SE_SE_SE_bbb, .Lfunc_end99-_ZN9rocsparseL51csrgemm_numeric_fill_block_per_row_multipass_kernelILj512ELj16ELj2048ELj64EllfEEvT4_PKS1_S3_NS_24const_host_device_scalarIT5_EEPKT3_S3_PKS5_S9_S3_SB_S6_S9_S3_SB_S9_S3_PS5_PS7_21rocsparse_index_base_SE_SE_SE_bbb
                                        ; -- End function
	.set _ZN9rocsparseL51csrgemm_numeric_fill_block_per_row_multipass_kernelILj512ELj16ELj2048ELj64EllfEEvT4_PKS1_S3_NS_24const_host_device_scalarIT5_EEPKT3_S3_PKS5_S9_S3_SB_S6_S9_S3_SB_S9_S3_PS5_PS7_21rocsparse_index_base_SE_SE_SE_bbb.num_vgpr, 44
	.set _ZN9rocsparseL51csrgemm_numeric_fill_block_per_row_multipass_kernelILj512ELj16ELj2048ELj64EllfEEvT4_PKS1_S3_NS_24const_host_device_scalarIT5_EEPKT3_S3_PKS5_S9_S3_SB_S6_S9_S3_SB_S9_S3_PS5_PS7_21rocsparse_index_base_SE_SE_SE_bbb.num_agpr, 0
	.set _ZN9rocsparseL51csrgemm_numeric_fill_block_per_row_multipass_kernelILj512ELj16ELj2048ELj64EllfEEvT4_PKS1_S3_NS_24const_host_device_scalarIT5_EEPKT3_S3_PKS5_S9_S3_SB_S6_S9_S3_SB_S9_S3_PS5_PS7_21rocsparse_index_base_SE_SE_SE_bbb.numbered_sgpr, 81
	.set _ZN9rocsparseL51csrgemm_numeric_fill_block_per_row_multipass_kernelILj512ELj16ELj2048ELj64EllfEEvT4_PKS1_S3_NS_24const_host_device_scalarIT5_EEPKT3_S3_PKS5_S9_S3_SB_S6_S9_S3_SB_S9_S3_PS5_PS7_21rocsparse_index_base_SE_SE_SE_bbb.num_named_barrier, 0
	.set _ZN9rocsparseL51csrgemm_numeric_fill_block_per_row_multipass_kernelILj512ELj16ELj2048ELj64EllfEEvT4_PKS1_S3_NS_24const_host_device_scalarIT5_EEPKT3_S3_PKS5_S9_S3_SB_S6_S9_S3_SB_S9_S3_PS5_PS7_21rocsparse_index_base_SE_SE_SE_bbb.private_seg_size, 0
	.set _ZN9rocsparseL51csrgemm_numeric_fill_block_per_row_multipass_kernelILj512ELj16ELj2048ELj64EllfEEvT4_PKS1_S3_NS_24const_host_device_scalarIT5_EEPKT3_S3_PKS5_S9_S3_SB_S6_S9_S3_SB_S9_S3_PS5_PS7_21rocsparse_index_base_SE_SE_SE_bbb.uses_vcc, 1
	.set _ZN9rocsparseL51csrgemm_numeric_fill_block_per_row_multipass_kernelILj512ELj16ELj2048ELj64EllfEEvT4_PKS1_S3_NS_24const_host_device_scalarIT5_EEPKT3_S3_PKS5_S9_S3_SB_S6_S9_S3_SB_S9_S3_PS5_PS7_21rocsparse_index_base_SE_SE_SE_bbb.uses_flat_scratch, 0
	.set _ZN9rocsparseL51csrgemm_numeric_fill_block_per_row_multipass_kernelILj512ELj16ELj2048ELj64EllfEEvT4_PKS1_S3_NS_24const_host_device_scalarIT5_EEPKT3_S3_PKS5_S9_S3_SB_S6_S9_S3_SB_S9_S3_PS5_PS7_21rocsparse_index_base_SE_SE_SE_bbb.has_dyn_sized_stack, 0
	.set _ZN9rocsparseL51csrgemm_numeric_fill_block_per_row_multipass_kernelILj512ELj16ELj2048ELj64EllfEEvT4_PKS1_S3_NS_24const_host_device_scalarIT5_EEPKT3_S3_PKS5_S9_S3_SB_S6_S9_S3_SB_S9_S3_PS5_PS7_21rocsparse_index_base_SE_SE_SE_bbb.has_recursion, 0
	.set _ZN9rocsparseL51csrgemm_numeric_fill_block_per_row_multipass_kernelILj512ELj16ELj2048ELj64EllfEEvT4_PKS1_S3_NS_24const_host_device_scalarIT5_EEPKT3_S3_PKS5_S9_S3_SB_S6_S9_S3_SB_S9_S3_PS5_PS7_21rocsparse_index_base_SE_SE_SE_bbb.has_indirect_call, 0
	.section	.AMDGPU.csdata,"",@progbits
; Kernel info:
; codeLenInByte = 2488
; TotalNumSgprs: 87
; NumVgprs: 44
; NumAgprs: 0
; TotalNumVgprs: 44
; ScratchSize: 0
; MemoryBound: 0
; FloatMode: 240
; IeeeMode: 1
; LDSByteSize: 10248 bytes/workgroup (compile time only)
; SGPRBlocks: 10
; VGPRBlocks: 5
; NumSGPRsForWavesPerEU: 87
; NumVGPRsForWavesPerEU: 44
; AccumOffset: 44
; Occupancy: 8
; WaveLimiterHint : 1
; COMPUTE_PGM_RSRC2:SCRATCH_EN: 0
; COMPUTE_PGM_RSRC2:USER_SGPR: 2
; COMPUTE_PGM_RSRC2:TRAP_HANDLER: 0
; COMPUTE_PGM_RSRC2:TGID_X_EN: 1
; COMPUTE_PGM_RSRC2:TGID_Y_EN: 0
; COMPUTE_PGM_RSRC2:TGID_Z_EN: 0
; COMPUTE_PGM_RSRC2:TIDIG_COMP_CNT: 0
; COMPUTE_PGM_RSRC3_GFX90A:ACCUM_OFFSET: 10
; COMPUTE_PGM_RSRC3_GFX90A:TG_SPLIT: 0
	.section	.text._ZN9rocsparseL38csrgemm_numeric_fill_wf_per_row_kernelILj256ELj8ELj16ELj137ElldEEvT4_S1_PKS1_S3_NS_24const_host_device_scalarIT5_EEPKT3_S3_PKS5_S9_S3_SB_S6_S9_S3_SB_S9_S3_PS5_21rocsparse_index_base_SD_SD_SD_bbb,"axG",@progbits,_ZN9rocsparseL38csrgemm_numeric_fill_wf_per_row_kernelILj256ELj8ELj16ELj137ElldEEvT4_S1_PKS1_S3_NS_24const_host_device_scalarIT5_EEPKT3_S3_PKS5_S9_S3_SB_S6_S9_S3_SB_S9_S3_PS5_21rocsparse_index_base_SD_SD_SD_bbb,comdat
	.globl	_ZN9rocsparseL38csrgemm_numeric_fill_wf_per_row_kernelILj256ELj8ELj16ELj137ElldEEvT4_S1_PKS1_S3_NS_24const_host_device_scalarIT5_EEPKT3_S3_PKS5_S9_S3_SB_S6_S9_S3_SB_S9_S3_PS5_21rocsparse_index_base_SD_SD_SD_bbb ; -- Begin function _ZN9rocsparseL38csrgemm_numeric_fill_wf_per_row_kernelILj256ELj8ELj16ELj137ElldEEvT4_S1_PKS1_S3_NS_24const_host_device_scalarIT5_EEPKT3_S3_PKS5_S9_S3_SB_S6_S9_S3_SB_S9_S3_PS5_21rocsparse_index_base_SD_SD_SD_bbb
	.p2align	8
	.type	_ZN9rocsparseL38csrgemm_numeric_fill_wf_per_row_kernelILj256ELj8ELj16ELj137ElldEEvT4_S1_PKS1_S3_NS_24const_host_device_scalarIT5_EEPKT3_S3_PKS5_S9_S3_SB_S6_S9_S3_SB_S9_S3_PS5_21rocsparse_index_base_SD_SD_SD_bbb,@function
_ZN9rocsparseL38csrgemm_numeric_fill_wf_per_row_kernelILj256ELj8ELj16ELj137ElldEEvT4_S1_PKS1_S3_NS_24const_host_device_scalarIT5_EEPKT3_S3_PKS5_S9_S3_SB_S6_S9_S3_SB_S9_S3_PS5_21rocsparse_index_base_SD_SD_SD_bbb: ; @_ZN9rocsparseL38csrgemm_numeric_fill_wf_per_row_kernelILj256ELj8ELj16ELj137ElldEEvT4_S1_PKS1_S3_NS_24const_host_device_scalarIT5_EEPKT3_S3_PKS5_S9_S3_SB_S6_S9_S3_SB_S9_S3_PS5_21rocsparse_index_base_SD_SD_SD_bbb
; %bb.0:
	s_load_dword s3, s[0:1], 0xa0
	s_load_dwordx4 s[16:19], s[0:1], 0x90
	s_load_dwordx2 s[4:5], s[0:1], 0x20
	s_load_dwordx2 s[12:13], s[0:1], 0x58
	s_waitcnt lgkmcnt(0)
	s_bitcmp1_b32 s3, 0
	s_cselect_b64 s[42:43], -1, 0
	s_bitcmp1_b32 s3, 16
	s_cselect_b64 s[14:15], -1, 0
	s_xor_b64 s[6:7], s[42:43], -1
	s_or_b64 s[6:7], s[14:15], s[6:7]
	s_and_b64 s[8:9], s[42:43], exec
	s_cselect_b32 s9, s5, 0
	s_cselect_b32 s8, s4, 0
	s_and_b64 vcc, exec, s[6:7]
	v_mov_b64_e32 v[8:9], s[8:9]
	s_cbranch_vccnz .LBB100_2
; %bb.1:
	v_mov_b64_e32 v[2:3], s[4:5]
	flat_load_dwordx2 v[8:9], v[2:3]
.LBB100_2:
	s_load_dwordx2 s[34:35], s[0:1], 0x88
	s_load_dwordx2 s[36:37], s[0:1], 0x78
	;; [unrolled: 1-line block ×3, first 2 shown]
	s_load_dwordx4 s[28:31], s[0:1], 0x10
	s_load_dwordx8 s[4:11], s[0:1], 0x28
	s_bitcmp1_b32 s3, 8
	s_cselect_b64 s[40:41], -1, 0
	s_xor_b64 s[20:21], s[40:41], -1
	s_or_b64 s[14:15], s[14:15], s[20:21]
	s_and_b64 s[20:21], s[40:41], exec
	s_cselect_b32 s21, s13, 0
	s_cselect_b32 s20, s12, 0
	s_and_b64 vcc, exec, s[14:15]
	v_mov_b64_e32 v[4:5], s[20:21]
	s_cbranch_vccnz .LBB100_4
; %bb.3:
	v_mov_b64_e32 v[2:3], s[12:13]
	flat_load_dwordx2 v[4:5], v[2:3]
.LBB100_4:
	s_load_dwordx4 s[20:23], s[0:1], 0x68
	s_load_dwordx4 s[24:27], s[0:1], 0x48
	;; [unrolled: 1-line block ×3, first 2 shown]
	v_and_b32_e32 v30, 7, v0
	v_lshrrev_b32_e32 v10, 3, v0
	v_lshlrev_b32_e32 v0, 3, v30
	v_or_b32_e32 v26, -8, v30
	v_lshl_or_b32 v27, v10, 7, v0
	v_mov_b32_e32 v2, 0
	s_mov_b64 s[0:1], 0
	s_waitcnt lgkmcnt(0)
	v_mov_b64_e32 v[0:1], s[14:15]
	v_mov_b32_e32 v3, v2
	v_mov_b32_e32 v6, v27
	;; [unrolled: 1-line block ×3, first 2 shown]
.LBB100_5:                              ; =>This Inner Loop Header: Depth=1
	v_add_co_u32_e32 v7, vcc, 8, v7
	s_xor_b64 s[44:45], vcc, -1
	s_and_b64 s[44:45], exec, s[44:45]
	ds_write2st64_b64 v6, v[2:3], v[0:1] offset1:8
	s_or_b64 s[0:1], s[44:45], s[0:1]
	v_add_u32_e32 v6, 64, v6
	s_andn2_b64 exec, exec, s[0:1]
	s_cbranch_execnz .LBB100_5
; %bb.6:
	s_or_b64 exec, exec, s[0:1]
	s_lshl_b32 s0, s2, 5
	s_and_b32 s0, s0, 0x1fffffe0
	v_or_b32_e32 v6, s0, v10
	v_mov_b32_e32 v7, 0
	v_cmp_gt_i64_e32 vcc, s[12:13], v[6:7]
	s_waitcnt lgkmcnt(0)
	s_and_saveexec_b64 s[0:1], vcc
	s_cbranch_execz .LBB100_50
; %bb.7:
	s_cmp_eq_u64 s[30:31], 0
	s_cbranch_scc1 .LBB100_9
; %bb.8:
	s_load_dwordx2 s[0:1], s[28:29], 0x0
	v_lshlrev_b32_e32 v0, 3, v6
	s_waitcnt lgkmcnt(0)
	s_lshl_b64 s[0:1], s[0:1], 3
	s_add_u32 s0, s30, s0
	s_addc_u32 s1, s31, s1
	global_load_dwordx2 v[6:7], v0, s[0:1]
.LBB100_9:
	v_lshlrev_b32_e32 v29, 7, v10
	s_andn2_b64 vcc, exec, s[42:43]
	v_or_b32_e32 v28, 0x1000, v29
	s_cbranch_vccnz .LBB100_29
; %bb.10:
	s_waitcnt vmcnt(0)
	v_lshl_add_u64 v[0:1], v[6:7], 3, s[4:5]
	global_load_dwordx4 v[0:3], v[0:1], off
	v_subrev_co_u32_e32 v12, vcc, s16, v30
	s_nop 1
	v_subb_co_u32_e64 v13, s[0:1], 0, 0, vcc
	s_waitcnt vmcnt(0)
	v_subrev_co_u32_e32 v10, vcc, s16, v2
	s_nop 1
	v_subbrev_co_u32_e32 v11, vcc, 0, v3, vcc
	v_lshl_add_u64 v[12:13], v[0:1], 0, v[12:13]
	v_cmp_lt_i64_e32 vcc, v[12:13], v[10:11]
	s_and_saveexec_b64 s[0:1], vcc
	s_cbranch_execz .LBB100_28
; %bb.11:
	s_mov_b64 s[2:3], 0
	s_branch .LBB100_13
.LBB100_12:                             ;   in Loop: Header=BB100_13 Depth=1
	s_or_b64 exec, exec, s[4:5]
	v_lshl_add_u64 v[12:13], v[12:13], 0, 8
	v_cmp_ge_i64_e32 vcc, v[12:13], v[10:11]
	s_or_b64 s[2:3], vcc, s[2:3]
	s_andn2_b64 exec, exec, s[2:3]
	s_cbranch_execz .LBB100_28
.LBB100_13:                             ; =>This Loop Header: Depth=1
                                        ;     Child Loop BB100_17 Depth 2
                                        ;       Child Loop BB100_20 Depth 3
	v_lshl_add_u64 v[0:1], v[12:13], 3, s[6:7]
	global_load_dwordx2 v[0:1], v[0:1], off
	s_waitcnt vmcnt(0)
	v_subrev_co_u32_e32 v0, vcc, s16, v0
	s_nop 1
	v_subbrev_co_u32_e32 v1, vcc, 0, v1, vcc
	v_lshl_add_u64 v[0:1], v[0:1], 3, s[10:11]
	global_load_dwordx4 v[0:3], v[0:1], off
	s_waitcnt vmcnt(0)
	v_cmp_lt_i64_e32 vcc, v[0:1], v[2:3]
	s_and_saveexec_b64 s[4:5], vcc
	s_cbranch_execz .LBB100_12
; %bb.14:                               ;   in Loop: Header=BB100_13 Depth=1
	v_lshl_add_u64 v[14:15], v[12:13], 3, s[8:9]
	global_load_dwordx2 v[14:15], v[14:15], off
	v_subrev_co_u32_e32 v2, vcc, s17, v2
	s_mov_b64 s[12:13], 0
	s_nop 0
	v_subbrev_co_u32_e32 v3, vcc, 0, v3, vcc
	v_subrev_co_u32_e32 v0, vcc, s17, v0
	s_waitcnt vmcnt(0)
	v_mul_f64 v[14:15], v[8:9], v[14:15]
	v_subbrev_co_u32_e32 v1, vcc, 0, v1, vcc
	s_branch .LBB100_17
.LBB100_15:                             ;   in Loop: Header=BB100_17 Depth=2
	s_or_b64 exec, exec, s[30:31]
.LBB100_16:                             ;   in Loop: Header=BB100_17 Depth=2
	s_or_b64 exec, exec, s[28:29]
	s_waitcnt vmcnt(0)
	v_mul_f64 v[16:17], v[14:15], v[16:17]
	v_lshl_add_u32 v18, v20, 3, v29
	ds_add_f64 v18, v[16:17]
	v_lshl_add_u64 v[0:1], v[0:1], 0, 1
	v_cmp_ge_i64_e32 vcc, v[0:1], v[2:3]
	s_or_b64 s[12:13], vcc, s[12:13]
	s_andn2_b64 exec, exec, s[12:13]
	s_cbranch_execz .LBB100_12
.LBB100_17:                             ;   Parent Loop BB100_13 Depth=1
                                        ; =>  This Loop Header: Depth=2
                                        ;       Child Loop BB100_20 Depth 3
	v_lshlrev_b64 v[16:17], 3, v[0:1]
	v_lshl_add_u64 v[18:19], s[24:25], 0, v[16:17]
	global_load_dwordx2 v[18:19], v[18:19], off
	v_lshl_add_u64 v[16:17], s[26:27], 0, v[16:17]
	global_load_dwordx2 v[16:17], v[16:17], off
	s_waitcnt vmcnt(1)
	v_subrev_co_u32_e32 v18, vcc, s17, v18
	v_lshl_add_u32 v20, v18, 3, v18
	v_and_b32_e32 v20, 15, v20
	v_lshl_add_u32 v31, v20, 3, v28
	ds_read_b64 v[24:25], v31
	v_subbrev_co_u32_e32 v19, vcc, 0, v19, vcc
	s_waitcnt lgkmcnt(0)
	v_cmp_ne_u64_e32 vcc, v[24:25], v[18:19]
	s_and_saveexec_b64 s[28:29], vcc
	s_cbranch_execz .LBB100_16
; %bb.18:                               ;   in Loop: Header=BB100_17 Depth=2
	s_mov_b64 s[30:31], 0
                                        ; implicit-def: $sgpr42_sgpr43
                                        ; implicit-def: $sgpr44_sgpr45
	s_branch .LBB100_20
.LBB100_19:                             ;   in Loop: Header=BB100_20 Depth=3
	s_or_b64 exec, exec, s[50:51]
	s_and_b64 s[46:47], exec, s[48:49]
	s_or_b64 s[30:31], s[46:47], s[30:31]
	s_andn2_b64 s[42:43], s[42:43], exec
	s_and_b64 s[46:47], s[44:45], exec
	s_or_b64 s[42:43], s[42:43], s[46:47]
	s_andn2_b64 exec, exec, s[30:31]
	s_cbranch_execz .LBB100_26
.LBB100_20:                             ;   Parent Loop BB100_13 Depth=1
                                        ;     Parent Loop BB100_17 Depth=2
                                        ; =>    This Inner Loop Header: Depth=3
	v_mov_b64_e32 v[22:23], v[20:21]
	v_cmp_ne_u64_e32 vcc, s[14:15], v[24:25]
	s_mov_b64 s[46:47], 0
                                        ; implicit-def: $vgpr20_vgpr21
	s_and_saveexec_b64 s[48:49], vcc
	s_xor_b64 s[48:49], exec, s[48:49]
; %bb.21:                               ;   in Loop: Header=BB100_20 Depth=3
	v_add_u32_e32 v20, 1, v22
	s_mov_b64 s[46:47], exec
	v_and_b32_e32 v20, 15, v20
                                        ; implicit-def: $vgpr31
; %bb.22:                               ;   in Loop: Header=BB100_20 Depth=3
	s_andn2_saveexec_b64 s[48:49], s[48:49]
	s_cbranch_execz .LBB100_24
; %bb.23:                               ;   in Loop: Header=BB100_20 Depth=3
	v_mov_b64_e32 v[20:21], s[14:15]
	ds_cmpst_rtn_b64 v[20:21], v31, v[20:21], v[18:19]
	s_andn2_b64 s[46:47], s[46:47], exec
	s_waitcnt lgkmcnt(0)
	v_cmp_ne_u64_e32 vcc, s[14:15], v[20:21]
	s_and_b64 s[50:51], vcc, exec
	s_or_b64 s[46:47], s[46:47], s[50:51]
	v_mov_b64_e32 v[20:21], v[22:23]
.LBB100_24:                             ;   in Loop: Header=BB100_20 Depth=3
	s_or_b64 exec, exec, s[48:49]
	s_mov_b64 s[48:49], -1
	s_or_b64 s[44:45], s[44:45], exec
                                        ; implicit-def: $vgpr31
                                        ; implicit-def: $vgpr24_vgpr25
	s_and_saveexec_b64 s[50:51], s[46:47]
	s_cbranch_execz .LBB100_19
; %bb.25:                               ;   in Loop: Header=BB100_20 Depth=3
	v_lshl_add_u32 v31, v20, 3, v28
	ds_read_b64 v[24:25], v31
	s_andn2_b64 s[44:45], s[44:45], exec
	s_waitcnt lgkmcnt(0)
	v_cmp_eq_u64_e32 vcc, v[24:25], v[18:19]
	s_orn2_b64 s[48:49], vcc, exec
	s_branch .LBB100_19
.LBB100_26:                             ;   in Loop: Header=BB100_17 Depth=2
	s_or_b64 exec, exec, s[30:31]
	s_and_saveexec_b64 s[30:31], s[42:43]
	s_xor_b64 s[30:31], exec, s[30:31]
	s_cbranch_execz .LBB100_15
; %bb.27:                               ;   in Loop: Header=BB100_17 Depth=2
	v_mov_b32_e32 v20, v22
	s_branch .LBB100_15
.LBB100_28:
	s_or_b64 exec, exec, s[0:1]
.LBB100_29:
	s_andn2_b64 vcc, exec, s[40:41]
	s_cbranch_vccnz .LBB100_46
; %bb.30:
	s_waitcnt vmcnt(0)
	v_lshl_add_u64 v[0:1], v[6:7], 3, s[38:39]
	global_load_dwordx4 v[8:11], v[0:1], off
	v_subrev_co_u32_e32 v2, vcc, s19, v30
	s_nop 1
	v_subb_co_u32_e64 v3, s[0:1], 0, 0, vcc
	s_waitcnt vmcnt(0)
	v_subrev_co_u32_e32 v0, vcc, s19, v10
	s_nop 1
	v_subbrev_co_u32_e32 v1, vcc, 0, v11, vcc
	v_lshl_add_u64 v[2:3], v[8:9], 0, v[2:3]
	v_cmp_lt_i64_e32 vcc, v[2:3], v[0:1]
	s_and_saveexec_b64 s[0:1], vcc
	s_cbranch_execz .LBB100_45
; %bb.31:
	s_mov_b32 s26, s19
	s_mov_b64 s[2:3], 0
	s_branch .LBB100_34
.LBB100_32:                             ;   in Loop: Header=BB100_34 Depth=1
	s_or_b64 exec, exec, s[6:7]
.LBB100_33:                             ;   in Loop: Header=BB100_34 Depth=1
	s_or_b64 exec, exec, s[4:5]
	s_waitcnt vmcnt(0)
	v_mul_f64 v[8:9], v[4:5], v[8:9]
	v_lshl_add_u32 v10, v12, 3, v29
	ds_add_f64 v10, v[8:9]
	v_lshl_add_u64 v[2:3], v[2:3], 0, 8
	v_cmp_ge_i64_e32 vcc, v[2:3], v[0:1]
	s_or_b64 s[2:3], vcc, s[2:3]
	s_andn2_b64 exec, exec, s[2:3]
	s_cbranch_execz .LBB100_45
.LBB100_34:                             ; =>This Loop Header: Depth=1
                                        ;     Child Loop BB100_37 Depth 2
	v_lshlrev_b64 v[8:9], 3, v[2:3]
	v_lshl_add_u64 v[10:11], s[20:21], 0, v[8:9]
	global_load_dwordx2 v[10:11], v[10:11], off
	v_lshl_add_u64 v[8:9], s[22:23], 0, v[8:9]
	global_load_dwordx2 v[8:9], v[8:9], off
	s_waitcnt vmcnt(1)
	v_subrev_co_u32_e32 v10, vcc, s26, v10
	v_lshl_add_u32 v12, v10, 3, v10
	v_and_b32_e32 v12, 15, v12
	v_lshl_add_u32 v18, v12, 3, v28
	ds_read_b64 v[16:17], v18
	v_subbrev_co_u32_e32 v11, vcc, 0, v11, vcc
	s_waitcnt lgkmcnt(0)
	v_cmp_ne_u64_e32 vcc, v[16:17], v[10:11]
	s_and_saveexec_b64 s[4:5], vcc
	s_cbranch_execz .LBB100_33
; %bb.35:                               ;   in Loop: Header=BB100_34 Depth=1
	s_mov_b64 s[6:7], 0
                                        ; implicit-def: $sgpr8_sgpr9
                                        ; implicit-def: $sgpr10_sgpr11
	s_branch .LBB100_37
.LBB100_36:                             ;   in Loop: Header=BB100_37 Depth=2
	s_or_b64 exec, exec, s[24:25]
	s_and_b64 s[12:13], exec, s[16:17]
	s_or_b64 s[6:7], s[12:13], s[6:7]
	s_andn2_b64 s[8:9], s[8:9], exec
	s_and_b64 s[12:13], s[10:11], exec
	s_or_b64 s[8:9], s[8:9], s[12:13]
	s_andn2_b64 exec, exec, s[6:7]
	s_cbranch_execz .LBB100_43
.LBB100_37:                             ;   Parent Loop BB100_34 Depth=1
                                        ; =>  This Inner Loop Header: Depth=2
	v_mov_b64_e32 v[14:15], v[12:13]
	v_cmp_ne_u64_e32 vcc, s[14:15], v[16:17]
	s_mov_b64 s[12:13], 0
                                        ; implicit-def: $vgpr12_vgpr13
	s_and_saveexec_b64 s[16:17], vcc
	s_xor_b64 s[16:17], exec, s[16:17]
; %bb.38:                               ;   in Loop: Header=BB100_37 Depth=2
	v_add_u32_e32 v12, 1, v14
	s_mov_b64 s[12:13], exec
	v_and_b32_e32 v12, 15, v12
                                        ; implicit-def: $vgpr18
; %bb.39:                               ;   in Loop: Header=BB100_37 Depth=2
	s_andn2_saveexec_b64 s[16:17], s[16:17]
	s_cbranch_execz .LBB100_41
; %bb.40:                               ;   in Loop: Header=BB100_37 Depth=2
	v_mov_b64_e32 v[12:13], s[14:15]
	ds_cmpst_rtn_b64 v[12:13], v18, v[12:13], v[10:11]
	s_andn2_b64 s[12:13], s[12:13], exec
	s_waitcnt lgkmcnt(0)
	v_cmp_ne_u64_e32 vcc, s[14:15], v[12:13]
	s_and_b64 s[24:25], vcc, exec
	s_or_b64 s[12:13], s[12:13], s[24:25]
	v_mov_b64_e32 v[12:13], v[14:15]
.LBB100_41:                             ;   in Loop: Header=BB100_37 Depth=2
	s_or_b64 exec, exec, s[16:17]
	s_mov_b64 s[16:17], -1
	s_or_b64 s[10:11], s[10:11], exec
                                        ; implicit-def: $vgpr18
                                        ; implicit-def: $vgpr16_vgpr17
	s_and_saveexec_b64 s[24:25], s[12:13]
	s_cbranch_execz .LBB100_36
; %bb.42:                               ;   in Loop: Header=BB100_37 Depth=2
	v_lshl_add_u32 v18, v12, 3, v28
	ds_read_b64 v[16:17], v18
	s_andn2_b64 s[10:11], s[10:11], exec
	s_waitcnt lgkmcnt(0)
	v_cmp_eq_u64_e32 vcc, v[16:17], v[10:11]
	s_orn2_b64 s[16:17], vcc, exec
	s_branch .LBB100_36
.LBB100_43:                             ;   in Loop: Header=BB100_34 Depth=1
	s_or_b64 exec, exec, s[6:7]
	s_and_saveexec_b64 s[6:7], s[8:9]
	s_xor_b64 s[6:7], exec, s[6:7]
	s_cbranch_execz .LBB100_32
; %bb.44:                               ;   in Loop: Header=BB100_34 Depth=1
	v_mov_b32_e32 v12, v14
	s_branch .LBB100_32
.LBB100_45:
	s_or_b64 exec, exec, s[0:1]
.LBB100_46:
	s_waitcnt vmcnt(0)
	v_lshl_add_u64 v[0:1], v[6:7], 3, s[36:37]
	s_waitcnt lgkmcnt(0)
	global_load_dwordx2 v[0:1], v[0:1], off
	s_mov_b64 s[0:1], 0
	v_mov_b32_e32 v3, 0
	s_waitcnt vmcnt(0)
	v_subrev_co_u32_e32 v0, vcc, s18, v0
	s_nop 1
	v_subbrev_co_u32_e32 v1, vcc, 0, v1, vcc
	v_lshl_add_u64 v[0:1], v[0:1], 3, s[34:35]
	s_branch .LBB100_48
.LBB100_47:                             ;   in Loop: Header=BB100_48 Depth=1
	s_or_b64 exec, exec, s[2:3]
	v_add_co_u32_e32 v26, vcc, 8, v26
	s_xor_b64 s[2:3], vcc, -1
	s_and_b64 s[2:3], exec, s[2:3]
	s_or_b64 s[0:1], s[2:3], s[0:1]
	v_add_u32_e32 v27, 64, v27
	s_andn2_b64 exec, exec, s[0:1]
	s_cbranch_execz .LBB100_50
.LBB100_48:                             ; =>This Inner Loop Header: Depth=1
	ds_read_b64 v[4:5], v27 offset:4096
	s_waitcnt lgkmcnt(0)
	v_cmp_gt_i64_e32 vcc, s[14:15], v[4:5]
	s_and_saveexec_b64 s[2:3], vcc
	s_cbranch_execz .LBB100_47
; %bb.49:                               ;   in Loop: Header=BB100_48 Depth=1
	ds_read_b128 v[6:9], v28
	ds_read_b128 v[10:13], v28 offset:16
	ds_read_b128 v[14:17], v28 offset:32
	;; [unrolled: 1-line block ×7, first 2 shown]
	ds_read_b64 v[42:43], v27
	s_waitcnt lgkmcnt(8)
	v_cmp_gt_i64_e32 vcc, v[4:5], v[6:7]
	s_nop 1
	v_cndmask_b32_e64 v2, 0, 1, vcc
	v_lshlrev_b32_e32 v2, 3, v2
	v_cmp_gt_i64_e32 vcc, v[4:5], v[8:9]
	v_lshl_add_u64 v[6:7], v[0:1], 0, v[2:3]
	s_nop 0
	v_cndmask_b32_e64 v2, 0, 1, vcc
	v_lshlrev_b32_e32 v2, 3, v2
	s_waitcnt lgkmcnt(7)
	v_cmp_gt_i64_e32 vcc, v[4:5], v[10:11]
	v_lshl_add_u64 v[6:7], v[6:7], 0, v[2:3]
	s_nop 0
	v_cndmask_b32_e64 v2, 0, 1, vcc
	v_lshlrev_b32_e32 v2, 3, v2
	v_cmp_gt_i64_e32 vcc, v[4:5], v[12:13]
	v_lshl_add_u64 v[6:7], v[6:7], 0, v[2:3]
	s_nop 0
	v_cndmask_b32_e64 v2, 0, 1, vcc
	v_lshlrev_b32_e32 v2, 3, v2
	s_waitcnt lgkmcnt(6)
	v_cmp_gt_i64_e32 vcc, v[4:5], v[14:15]
	v_lshl_add_u64 v[6:7], v[6:7], 0, v[2:3]
	s_nop 0
	v_cndmask_b32_e64 v2, 0, 1, vcc
	v_lshlrev_b32_e32 v2, 3, v2
	v_cmp_gt_i64_e32 vcc, v[4:5], v[16:17]
	v_lshl_add_u64 v[6:7], v[6:7], 0, v[2:3]
	s_nop 0
	v_cndmask_b32_e64 v2, 0, 1, vcc
	v_lshlrev_b32_e32 v2, 3, v2
	s_waitcnt lgkmcnt(5)
	v_cmp_gt_i64_e32 vcc, v[4:5], v[18:19]
	v_lshl_add_u64 v[6:7], v[6:7], 0, v[2:3]
	s_nop 0
	v_cndmask_b32_e64 v2, 0, 1, vcc
	v_lshlrev_b32_e32 v2, 3, v2
	v_cmp_gt_i64_e32 vcc, v[4:5], v[20:21]
	v_lshl_add_u64 v[6:7], v[6:7], 0, v[2:3]
	s_nop 0
	v_cndmask_b32_e64 v2, 0, 1, vcc
	v_lshlrev_b32_e32 v2, 3, v2
	s_waitcnt lgkmcnt(4)
	v_cmp_gt_i64_e32 vcc, v[4:5], v[22:23]
	v_lshl_add_u64 v[6:7], v[6:7], 0, v[2:3]
	s_nop 0
	v_cndmask_b32_e64 v2, 0, 1, vcc
	v_lshlrev_b32_e32 v2, 3, v2
	v_cmp_gt_i64_e32 vcc, v[4:5], v[24:25]
	v_lshl_add_u64 v[6:7], v[6:7], 0, v[2:3]
	s_nop 0
	v_cndmask_b32_e64 v2, 0, 1, vcc
	v_lshlrev_b32_e32 v2, 3, v2
	s_waitcnt lgkmcnt(3)
	v_cmp_gt_i64_e32 vcc, v[4:5], v[30:31]
	v_lshl_add_u64 v[6:7], v[6:7], 0, v[2:3]
	s_nop 0
	v_cndmask_b32_e64 v2, 0, 1, vcc
	v_lshlrev_b32_e32 v2, 3, v2
	v_cmp_gt_i64_e32 vcc, v[4:5], v[32:33]
	v_lshl_add_u64 v[6:7], v[6:7], 0, v[2:3]
	s_nop 0
	v_cndmask_b32_e64 v2, 0, 1, vcc
	v_lshlrev_b32_e32 v2, 3, v2
	s_waitcnt lgkmcnt(2)
	v_cmp_gt_i64_e32 vcc, v[4:5], v[34:35]
	v_lshl_add_u64 v[6:7], v[6:7], 0, v[2:3]
	s_nop 0
	v_cndmask_b32_e64 v2, 0, 1, vcc
	v_lshlrev_b32_e32 v2, 3, v2
	v_cmp_gt_i64_e32 vcc, v[4:5], v[36:37]
	v_lshl_add_u64 v[6:7], v[6:7], 0, v[2:3]
	s_nop 0
	v_cndmask_b32_e64 v2, 0, 1, vcc
	v_lshlrev_b32_e32 v2, 3, v2
	s_waitcnt lgkmcnt(1)
	v_cmp_gt_i64_e32 vcc, v[4:5], v[38:39]
	v_lshl_add_u64 v[6:7], v[6:7], 0, v[2:3]
	s_nop 0
	v_cndmask_b32_e64 v2, 0, 1, vcc
	v_lshlrev_b32_e32 v2, 3, v2
	v_cmp_gt_i64_e32 vcc, v[4:5], v[40:41]
	v_lshl_add_u64 v[6:7], v[6:7], 0, v[2:3]
	s_nop 0
	v_cndmask_b32_e64 v2, 0, 1, vcc
	v_lshlrev_b32_e32 v2, 3, v2
	v_lshl_add_u64 v[4:5], v[6:7], 0, v[2:3]
	s_waitcnt lgkmcnt(0)
	global_store_dwordx2 v[4:5], v[42:43], off
	s_branch .LBB100_47
.LBB100_50:
	s_endpgm
	.section	.rodata,"a",@progbits
	.p2align	6, 0x0
	.amdhsa_kernel _ZN9rocsparseL38csrgemm_numeric_fill_wf_per_row_kernelILj256ELj8ELj16ELj137ElldEEvT4_S1_PKS1_S3_NS_24const_host_device_scalarIT5_EEPKT3_S3_PKS5_S9_S3_SB_S6_S9_S3_SB_S9_S3_PS5_21rocsparse_index_base_SD_SD_SD_bbb
		.amdhsa_group_segment_fixed_size 8192
		.amdhsa_private_segment_fixed_size 0
		.amdhsa_kernarg_size 164
		.amdhsa_user_sgpr_count 2
		.amdhsa_user_sgpr_dispatch_ptr 0
		.amdhsa_user_sgpr_queue_ptr 0
		.amdhsa_user_sgpr_kernarg_segment_ptr 1
		.amdhsa_user_sgpr_dispatch_id 0
		.amdhsa_user_sgpr_kernarg_preload_length 0
		.amdhsa_user_sgpr_kernarg_preload_offset 0
		.amdhsa_user_sgpr_private_segment_size 0
		.amdhsa_uses_dynamic_stack 0
		.amdhsa_enable_private_segment 0
		.amdhsa_system_sgpr_workgroup_id_x 1
		.amdhsa_system_sgpr_workgroup_id_y 0
		.amdhsa_system_sgpr_workgroup_id_z 0
		.amdhsa_system_sgpr_workgroup_info 0
		.amdhsa_system_vgpr_workitem_id 0
		.amdhsa_next_free_vgpr 44
		.amdhsa_next_free_sgpr 52
		.amdhsa_accum_offset 44
		.amdhsa_reserve_vcc 1
		.amdhsa_float_round_mode_32 0
		.amdhsa_float_round_mode_16_64 0
		.amdhsa_float_denorm_mode_32 3
		.amdhsa_float_denorm_mode_16_64 3
		.amdhsa_dx10_clamp 1
		.amdhsa_ieee_mode 1
		.amdhsa_fp16_overflow 0
		.amdhsa_tg_split 0
		.amdhsa_exception_fp_ieee_invalid_op 0
		.amdhsa_exception_fp_denorm_src 0
		.amdhsa_exception_fp_ieee_div_zero 0
		.amdhsa_exception_fp_ieee_overflow 0
		.amdhsa_exception_fp_ieee_underflow 0
		.amdhsa_exception_fp_ieee_inexact 0
		.amdhsa_exception_int_div_zero 0
	.end_amdhsa_kernel
	.section	.text._ZN9rocsparseL38csrgemm_numeric_fill_wf_per_row_kernelILj256ELj8ELj16ELj137ElldEEvT4_S1_PKS1_S3_NS_24const_host_device_scalarIT5_EEPKT3_S3_PKS5_S9_S3_SB_S6_S9_S3_SB_S9_S3_PS5_21rocsparse_index_base_SD_SD_SD_bbb,"axG",@progbits,_ZN9rocsparseL38csrgemm_numeric_fill_wf_per_row_kernelILj256ELj8ELj16ELj137ElldEEvT4_S1_PKS1_S3_NS_24const_host_device_scalarIT5_EEPKT3_S3_PKS5_S9_S3_SB_S6_S9_S3_SB_S9_S3_PS5_21rocsparse_index_base_SD_SD_SD_bbb,comdat
.Lfunc_end100:
	.size	_ZN9rocsparseL38csrgemm_numeric_fill_wf_per_row_kernelILj256ELj8ELj16ELj137ElldEEvT4_S1_PKS1_S3_NS_24const_host_device_scalarIT5_EEPKT3_S3_PKS5_S9_S3_SB_S6_S9_S3_SB_S9_S3_PS5_21rocsparse_index_base_SD_SD_SD_bbb, .Lfunc_end100-_ZN9rocsparseL38csrgemm_numeric_fill_wf_per_row_kernelILj256ELj8ELj16ELj137ElldEEvT4_S1_PKS1_S3_NS_24const_host_device_scalarIT5_EEPKT3_S3_PKS5_S9_S3_SB_S6_S9_S3_SB_S9_S3_PS5_21rocsparse_index_base_SD_SD_SD_bbb
                                        ; -- End function
	.set _ZN9rocsparseL38csrgemm_numeric_fill_wf_per_row_kernelILj256ELj8ELj16ELj137ElldEEvT4_S1_PKS1_S3_NS_24const_host_device_scalarIT5_EEPKT3_S3_PKS5_S9_S3_SB_S6_S9_S3_SB_S9_S3_PS5_21rocsparse_index_base_SD_SD_SD_bbb.num_vgpr, 44
	.set _ZN9rocsparseL38csrgemm_numeric_fill_wf_per_row_kernelILj256ELj8ELj16ELj137ElldEEvT4_S1_PKS1_S3_NS_24const_host_device_scalarIT5_EEPKT3_S3_PKS5_S9_S3_SB_S6_S9_S3_SB_S9_S3_PS5_21rocsparse_index_base_SD_SD_SD_bbb.num_agpr, 0
	.set _ZN9rocsparseL38csrgemm_numeric_fill_wf_per_row_kernelILj256ELj8ELj16ELj137ElldEEvT4_S1_PKS1_S3_NS_24const_host_device_scalarIT5_EEPKT3_S3_PKS5_S9_S3_SB_S6_S9_S3_SB_S9_S3_PS5_21rocsparse_index_base_SD_SD_SD_bbb.numbered_sgpr, 52
	.set _ZN9rocsparseL38csrgemm_numeric_fill_wf_per_row_kernelILj256ELj8ELj16ELj137ElldEEvT4_S1_PKS1_S3_NS_24const_host_device_scalarIT5_EEPKT3_S3_PKS5_S9_S3_SB_S6_S9_S3_SB_S9_S3_PS5_21rocsparse_index_base_SD_SD_SD_bbb.num_named_barrier, 0
	.set _ZN9rocsparseL38csrgemm_numeric_fill_wf_per_row_kernelILj256ELj8ELj16ELj137ElldEEvT4_S1_PKS1_S3_NS_24const_host_device_scalarIT5_EEPKT3_S3_PKS5_S9_S3_SB_S6_S9_S3_SB_S9_S3_PS5_21rocsparse_index_base_SD_SD_SD_bbb.private_seg_size, 0
	.set _ZN9rocsparseL38csrgemm_numeric_fill_wf_per_row_kernelILj256ELj8ELj16ELj137ElldEEvT4_S1_PKS1_S3_NS_24const_host_device_scalarIT5_EEPKT3_S3_PKS5_S9_S3_SB_S6_S9_S3_SB_S9_S3_PS5_21rocsparse_index_base_SD_SD_SD_bbb.uses_vcc, 1
	.set _ZN9rocsparseL38csrgemm_numeric_fill_wf_per_row_kernelILj256ELj8ELj16ELj137ElldEEvT4_S1_PKS1_S3_NS_24const_host_device_scalarIT5_EEPKT3_S3_PKS5_S9_S3_SB_S6_S9_S3_SB_S9_S3_PS5_21rocsparse_index_base_SD_SD_SD_bbb.uses_flat_scratch, 0
	.set _ZN9rocsparseL38csrgemm_numeric_fill_wf_per_row_kernelILj256ELj8ELj16ELj137ElldEEvT4_S1_PKS1_S3_NS_24const_host_device_scalarIT5_EEPKT3_S3_PKS5_S9_S3_SB_S6_S9_S3_SB_S9_S3_PS5_21rocsparse_index_base_SD_SD_SD_bbb.has_dyn_sized_stack, 0
	.set _ZN9rocsparseL38csrgemm_numeric_fill_wf_per_row_kernelILj256ELj8ELj16ELj137ElldEEvT4_S1_PKS1_S3_NS_24const_host_device_scalarIT5_EEPKT3_S3_PKS5_S9_S3_SB_S6_S9_S3_SB_S9_S3_PS5_21rocsparse_index_base_SD_SD_SD_bbb.has_recursion, 0
	.set _ZN9rocsparseL38csrgemm_numeric_fill_wf_per_row_kernelILj256ELj8ELj16ELj137ElldEEvT4_S1_PKS1_S3_NS_24const_host_device_scalarIT5_EEPKT3_S3_PKS5_S9_S3_SB_S6_S9_S3_SB_S9_S3_PS5_21rocsparse_index_base_SD_SD_SD_bbb.has_indirect_call, 0
	.section	.AMDGPU.csdata,"",@progbits
; Kernel info:
; codeLenInByte = 2124
; TotalNumSgprs: 58
; NumVgprs: 44
; NumAgprs: 0
; TotalNumVgprs: 44
; ScratchSize: 0
; MemoryBound: 0
; FloatMode: 240
; IeeeMode: 1
; LDSByteSize: 8192 bytes/workgroup (compile time only)
; SGPRBlocks: 7
; VGPRBlocks: 5
; NumSGPRsForWavesPerEU: 58
; NumVGPRsForWavesPerEU: 44
; AccumOffset: 44
; Occupancy: 8
; WaveLimiterHint : 1
; COMPUTE_PGM_RSRC2:SCRATCH_EN: 0
; COMPUTE_PGM_RSRC2:USER_SGPR: 2
; COMPUTE_PGM_RSRC2:TRAP_HANDLER: 0
; COMPUTE_PGM_RSRC2:TGID_X_EN: 1
; COMPUTE_PGM_RSRC2:TGID_Y_EN: 0
; COMPUTE_PGM_RSRC2:TGID_Z_EN: 0
; COMPUTE_PGM_RSRC2:TIDIG_COMP_CNT: 0
; COMPUTE_PGM_RSRC3_GFX90A:ACCUM_OFFSET: 10
; COMPUTE_PGM_RSRC3_GFX90A:TG_SPLIT: 0
	.section	.text._ZN9rocsparseL38csrgemm_numeric_fill_wf_per_row_kernelILj256ELj16ELj32ELj137ElldEEvT4_S1_PKS1_S3_NS_24const_host_device_scalarIT5_EEPKT3_S3_PKS5_S9_S3_SB_S6_S9_S3_SB_S9_S3_PS5_21rocsparse_index_base_SD_SD_SD_bbb,"axG",@progbits,_ZN9rocsparseL38csrgemm_numeric_fill_wf_per_row_kernelILj256ELj16ELj32ELj137ElldEEvT4_S1_PKS1_S3_NS_24const_host_device_scalarIT5_EEPKT3_S3_PKS5_S9_S3_SB_S6_S9_S3_SB_S9_S3_PS5_21rocsparse_index_base_SD_SD_SD_bbb,comdat
	.globl	_ZN9rocsparseL38csrgemm_numeric_fill_wf_per_row_kernelILj256ELj16ELj32ELj137ElldEEvT4_S1_PKS1_S3_NS_24const_host_device_scalarIT5_EEPKT3_S3_PKS5_S9_S3_SB_S6_S9_S3_SB_S9_S3_PS5_21rocsparse_index_base_SD_SD_SD_bbb ; -- Begin function _ZN9rocsparseL38csrgemm_numeric_fill_wf_per_row_kernelILj256ELj16ELj32ELj137ElldEEvT4_S1_PKS1_S3_NS_24const_host_device_scalarIT5_EEPKT3_S3_PKS5_S9_S3_SB_S6_S9_S3_SB_S9_S3_PS5_21rocsparse_index_base_SD_SD_SD_bbb
	.p2align	8
	.type	_ZN9rocsparseL38csrgemm_numeric_fill_wf_per_row_kernelILj256ELj16ELj32ELj137ElldEEvT4_S1_PKS1_S3_NS_24const_host_device_scalarIT5_EEPKT3_S3_PKS5_S9_S3_SB_S6_S9_S3_SB_S9_S3_PS5_21rocsparse_index_base_SD_SD_SD_bbb,@function
_ZN9rocsparseL38csrgemm_numeric_fill_wf_per_row_kernelILj256ELj16ELj32ELj137ElldEEvT4_S1_PKS1_S3_NS_24const_host_device_scalarIT5_EEPKT3_S3_PKS5_S9_S3_SB_S6_S9_S3_SB_S9_S3_PS5_21rocsparse_index_base_SD_SD_SD_bbb: ; @_ZN9rocsparseL38csrgemm_numeric_fill_wf_per_row_kernelILj256ELj16ELj32ELj137ElldEEvT4_S1_PKS1_S3_NS_24const_host_device_scalarIT5_EEPKT3_S3_PKS5_S9_S3_SB_S6_S9_S3_SB_S9_S3_PS5_21rocsparse_index_base_SD_SD_SD_bbb
; %bb.0:
	s_load_dword s3, s[0:1], 0xa0
	s_load_dwordx4 s[16:19], s[0:1], 0x90
	s_load_dwordx2 s[4:5], s[0:1], 0x20
	s_load_dwordx2 s[12:13], s[0:1], 0x58
	s_waitcnt lgkmcnt(0)
	s_bitcmp1_b32 s3, 0
	s_cselect_b64 s[42:43], -1, 0
	s_bitcmp1_b32 s3, 16
	s_cselect_b64 s[14:15], -1, 0
	s_xor_b64 s[6:7], s[42:43], -1
	s_or_b64 s[6:7], s[14:15], s[6:7]
	s_and_b64 s[8:9], s[42:43], exec
	s_cselect_b32 s9, s5, 0
	s_cselect_b32 s8, s4, 0
	s_and_b64 vcc, exec, s[6:7]
	v_mov_b64_e32 v[8:9], s[8:9]
	s_cbranch_vccnz .LBB101_2
; %bb.1:
	v_mov_b64_e32 v[2:3], s[4:5]
	flat_load_dwordx2 v[8:9], v[2:3]
.LBB101_2:
	s_load_dwordx2 s[34:35], s[0:1], 0x88
	s_load_dwordx2 s[36:37], s[0:1], 0x78
	;; [unrolled: 1-line block ×3, first 2 shown]
	s_load_dwordx4 s[28:31], s[0:1], 0x10
	s_load_dwordx8 s[4:11], s[0:1], 0x28
	s_bitcmp1_b32 s3, 8
	s_cselect_b64 s[40:41], -1, 0
	s_xor_b64 s[20:21], s[40:41], -1
	s_or_b64 s[14:15], s[14:15], s[20:21]
	s_and_b64 s[20:21], s[40:41], exec
	s_cselect_b32 s21, s13, 0
	s_cselect_b32 s20, s12, 0
	s_and_b64 vcc, exec, s[14:15]
	v_mov_b64_e32 v[4:5], s[20:21]
	s_cbranch_vccnz .LBB101_4
; %bb.3:
	v_mov_b64_e32 v[2:3], s[12:13]
	flat_load_dwordx2 v[4:5], v[2:3]
.LBB101_4:
	s_load_dwordx4 s[20:23], s[0:1], 0x68
	s_load_dwordx4 s[24:27], s[0:1], 0x48
	;; [unrolled: 1-line block ×3, first 2 shown]
	v_and_b32_e32 v30, 15, v0
	v_lshrrev_b32_e32 v10, 4, v0
	v_lshlrev_b32_e32 v0, 3, v30
	v_or_b32_e32 v26, -16, v30
	v_lshl_or_b32 v27, v10, 8, v0
	v_mov_b32_e32 v2, 0
	s_mov_b64 s[0:1], 0
	s_waitcnt lgkmcnt(0)
	v_mov_b64_e32 v[0:1], s[14:15]
	v_mov_b32_e32 v3, v2
	v_mov_b32_e32 v6, v27
	;; [unrolled: 1-line block ×3, first 2 shown]
.LBB101_5:                              ; =>This Inner Loop Header: Depth=1
	v_add_co_u32_e32 v7, vcc, 16, v7
	s_xor_b64 s[44:45], vcc, -1
	s_and_b64 s[44:45], exec, s[44:45]
	ds_write2st64_b64 v6, v[2:3], v[0:1] offset1:8
	s_or_b64 s[0:1], s[44:45], s[0:1]
	v_add_u32_e32 v6, 0x80, v6
	s_andn2_b64 exec, exec, s[0:1]
	s_cbranch_execnz .LBB101_5
; %bb.6:
	s_or_b64 exec, exec, s[0:1]
	s_lshl_b32 s0, s2, 4
	s_and_b32 s0, s0, 0xffffff0
	v_or_b32_e32 v6, s0, v10
	v_mov_b32_e32 v7, 0
	v_cmp_gt_i64_e32 vcc, s[12:13], v[6:7]
	s_waitcnt lgkmcnt(0)
	s_and_saveexec_b64 s[0:1], vcc
	s_cbranch_execz .LBB101_50
; %bb.7:
	s_cmp_eq_u64 s[30:31], 0
	s_cbranch_scc1 .LBB101_9
; %bb.8:
	s_load_dwordx2 s[0:1], s[28:29], 0x0
	v_lshlrev_b32_e32 v0, 3, v6
	s_waitcnt lgkmcnt(0)
	s_lshl_b64 s[0:1], s[0:1], 3
	s_add_u32 s0, s30, s0
	s_addc_u32 s1, s31, s1
	global_load_dwordx2 v[6:7], v0, s[0:1]
.LBB101_9:
	v_lshlrev_b32_e32 v29, 8, v10
	s_andn2_b64 vcc, exec, s[42:43]
	v_or_b32_e32 v28, 0x1000, v29
	s_cbranch_vccnz .LBB101_29
; %bb.10:
	s_waitcnt vmcnt(0)
	v_lshl_add_u64 v[0:1], v[6:7], 3, s[4:5]
	global_load_dwordx4 v[0:3], v[0:1], off
	v_subrev_co_u32_e32 v12, vcc, s16, v30
	s_nop 1
	v_subb_co_u32_e64 v13, s[0:1], 0, 0, vcc
	s_waitcnt vmcnt(0)
	v_subrev_co_u32_e32 v10, vcc, s16, v2
	s_nop 1
	v_subbrev_co_u32_e32 v11, vcc, 0, v3, vcc
	v_lshl_add_u64 v[12:13], v[0:1], 0, v[12:13]
	v_cmp_lt_i64_e32 vcc, v[12:13], v[10:11]
	s_and_saveexec_b64 s[0:1], vcc
	s_cbranch_execz .LBB101_28
; %bb.11:
	s_mov_b64 s[2:3], 0
	s_branch .LBB101_13
.LBB101_12:                             ;   in Loop: Header=BB101_13 Depth=1
	s_or_b64 exec, exec, s[4:5]
	v_lshl_add_u64 v[12:13], v[12:13], 0, 16
	v_cmp_ge_i64_e32 vcc, v[12:13], v[10:11]
	s_or_b64 s[2:3], vcc, s[2:3]
	s_andn2_b64 exec, exec, s[2:3]
	s_cbranch_execz .LBB101_28
.LBB101_13:                             ; =>This Loop Header: Depth=1
                                        ;     Child Loop BB101_17 Depth 2
                                        ;       Child Loop BB101_20 Depth 3
	v_lshl_add_u64 v[0:1], v[12:13], 3, s[6:7]
	global_load_dwordx2 v[0:1], v[0:1], off
	s_waitcnt vmcnt(0)
	v_subrev_co_u32_e32 v0, vcc, s16, v0
	s_nop 1
	v_subbrev_co_u32_e32 v1, vcc, 0, v1, vcc
	v_lshl_add_u64 v[0:1], v[0:1], 3, s[10:11]
	global_load_dwordx4 v[0:3], v[0:1], off
	s_waitcnt vmcnt(0)
	v_cmp_lt_i64_e32 vcc, v[0:1], v[2:3]
	s_and_saveexec_b64 s[4:5], vcc
	s_cbranch_execz .LBB101_12
; %bb.14:                               ;   in Loop: Header=BB101_13 Depth=1
	v_lshl_add_u64 v[14:15], v[12:13], 3, s[8:9]
	global_load_dwordx2 v[14:15], v[14:15], off
	v_subrev_co_u32_e32 v2, vcc, s17, v2
	s_mov_b64 s[12:13], 0
	s_nop 0
	v_subbrev_co_u32_e32 v3, vcc, 0, v3, vcc
	v_subrev_co_u32_e32 v0, vcc, s17, v0
	s_waitcnt vmcnt(0)
	v_mul_f64 v[14:15], v[8:9], v[14:15]
	v_subbrev_co_u32_e32 v1, vcc, 0, v1, vcc
	s_branch .LBB101_17
.LBB101_15:                             ;   in Loop: Header=BB101_17 Depth=2
	s_or_b64 exec, exec, s[30:31]
.LBB101_16:                             ;   in Loop: Header=BB101_17 Depth=2
	s_or_b64 exec, exec, s[28:29]
	s_waitcnt vmcnt(0)
	v_mul_f64 v[16:17], v[14:15], v[16:17]
	v_lshl_add_u32 v18, v20, 3, v29
	ds_add_f64 v18, v[16:17]
	v_lshl_add_u64 v[0:1], v[0:1], 0, 1
	v_cmp_ge_i64_e32 vcc, v[0:1], v[2:3]
	s_or_b64 s[12:13], vcc, s[12:13]
	s_andn2_b64 exec, exec, s[12:13]
	s_cbranch_execz .LBB101_12
.LBB101_17:                             ;   Parent Loop BB101_13 Depth=1
                                        ; =>  This Loop Header: Depth=2
                                        ;       Child Loop BB101_20 Depth 3
	v_lshlrev_b64 v[16:17], 3, v[0:1]
	v_lshl_add_u64 v[18:19], s[24:25], 0, v[16:17]
	global_load_dwordx2 v[18:19], v[18:19], off
	v_lshl_add_u64 v[16:17], s[26:27], 0, v[16:17]
	global_load_dwordx2 v[16:17], v[16:17], off
	s_waitcnt vmcnt(1)
	v_subrev_co_u32_e32 v18, vcc, s17, v18
	v_lshl_add_u32 v20, v18, 3, v18
	v_and_b32_e32 v20, 31, v20
	v_lshl_add_u32 v31, v20, 3, v28
	ds_read_b64 v[24:25], v31
	v_subbrev_co_u32_e32 v19, vcc, 0, v19, vcc
	s_waitcnt lgkmcnt(0)
	v_cmp_ne_u64_e32 vcc, v[24:25], v[18:19]
	s_and_saveexec_b64 s[28:29], vcc
	s_cbranch_execz .LBB101_16
; %bb.18:                               ;   in Loop: Header=BB101_17 Depth=2
	s_mov_b64 s[30:31], 0
                                        ; implicit-def: $sgpr42_sgpr43
                                        ; implicit-def: $sgpr44_sgpr45
	s_branch .LBB101_20
.LBB101_19:                             ;   in Loop: Header=BB101_20 Depth=3
	s_or_b64 exec, exec, s[50:51]
	s_and_b64 s[46:47], exec, s[48:49]
	s_or_b64 s[30:31], s[46:47], s[30:31]
	s_andn2_b64 s[42:43], s[42:43], exec
	s_and_b64 s[46:47], s[44:45], exec
	s_or_b64 s[42:43], s[42:43], s[46:47]
	s_andn2_b64 exec, exec, s[30:31]
	s_cbranch_execz .LBB101_26
.LBB101_20:                             ;   Parent Loop BB101_13 Depth=1
                                        ;     Parent Loop BB101_17 Depth=2
                                        ; =>    This Inner Loop Header: Depth=3
	v_mov_b64_e32 v[22:23], v[20:21]
	v_cmp_ne_u64_e32 vcc, s[14:15], v[24:25]
	s_mov_b64 s[46:47], 0
                                        ; implicit-def: $vgpr20_vgpr21
	s_and_saveexec_b64 s[48:49], vcc
	s_xor_b64 s[48:49], exec, s[48:49]
; %bb.21:                               ;   in Loop: Header=BB101_20 Depth=3
	v_add_u32_e32 v20, 1, v22
	s_mov_b64 s[46:47], exec
	v_and_b32_e32 v20, 31, v20
                                        ; implicit-def: $vgpr31
; %bb.22:                               ;   in Loop: Header=BB101_20 Depth=3
	s_andn2_saveexec_b64 s[48:49], s[48:49]
	s_cbranch_execz .LBB101_24
; %bb.23:                               ;   in Loop: Header=BB101_20 Depth=3
	v_mov_b64_e32 v[20:21], s[14:15]
	ds_cmpst_rtn_b64 v[20:21], v31, v[20:21], v[18:19]
	s_andn2_b64 s[46:47], s[46:47], exec
	s_waitcnt lgkmcnt(0)
	v_cmp_ne_u64_e32 vcc, s[14:15], v[20:21]
	s_and_b64 s[50:51], vcc, exec
	s_or_b64 s[46:47], s[46:47], s[50:51]
	v_mov_b64_e32 v[20:21], v[22:23]
.LBB101_24:                             ;   in Loop: Header=BB101_20 Depth=3
	s_or_b64 exec, exec, s[48:49]
	s_mov_b64 s[48:49], -1
	s_or_b64 s[44:45], s[44:45], exec
                                        ; implicit-def: $vgpr31
                                        ; implicit-def: $vgpr24_vgpr25
	s_and_saveexec_b64 s[50:51], s[46:47]
	s_cbranch_execz .LBB101_19
; %bb.25:                               ;   in Loop: Header=BB101_20 Depth=3
	v_lshl_add_u32 v31, v20, 3, v28
	ds_read_b64 v[24:25], v31
	s_andn2_b64 s[44:45], s[44:45], exec
	s_waitcnt lgkmcnt(0)
	v_cmp_eq_u64_e32 vcc, v[24:25], v[18:19]
	s_orn2_b64 s[48:49], vcc, exec
	s_branch .LBB101_19
.LBB101_26:                             ;   in Loop: Header=BB101_17 Depth=2
	s_or_b64 exec, exec, s[30:31]
	s_and_saveexec_b64 s[30:31], s[42:43]
	s_xor_b64 s[30:31], exec, s[30:31]
	s_cbranch_execz .LBB101_15
; %bb.27:                               ;   in Loop: Header=BB101_17 Depth=2
	v_mov_b32_e32 v20, v22
	s_branch .LBB101_15
.LBB101_28:
	s_or_b64 exec, exec, s[0:1]
.LBB101_29:
	s_andn2_b64 vcc, exec, s[40:41]
	s_cbranch_vccnz .LBB101_46
; %bb.30:
	s_waitcnt vmcnt(0)
	v_lshl_add_u64 v[0:1], v[6:7], 3, s[38:39]
	global_load_dwordx4 v[8:11], v[0:1], off
	v_subrev_co_u32_e32 v2, vcc, s19, v30
	s_nop 1
	v_subb_co_u32_e64 v3, s[0:1], 0, 0, vcc
	s_waitcnt vmcnt(0)
	v_subrev_co_u32_e32 v0, vcc, s19, v10
	s_nop 1
	v_subbrev_co_u32_e32 v1, vcc, 0, v11, vcc
	v_lshl_add_u64 v[2:3], v[8:9], 0, v[2:3]
	v_cmp_lt_i64_e32 vcc, v[2:3], v[0:1]
	s_and_saveexec_b64 s[0:1], vcc
	s_cbranch_execz .LBB101_45
; %bb.31:
	s_mov_b32 s26, s19
	s_mov_b64 s[2:3], 0
	s_branch .LBB101_34
.LBB101_32:                             ;   in Loop: Header=BB101_34 Depth=1
	s_or_b64 exec, exec, s[6:7]
.LBB101_33:                             ;   in Loop: Header=BB101_34 Depth=1
	s_or_b64 exec, exec, s[4:5]
	s_waitcnt vmcnt(0)
	v_mul_f64 v[8:9], v[4:5], v[8:9]
	v_lshl_add_u32 v10, v12, 3, v29
	ds_add_f64 v10, v[8:9]
	v_lshl_add_u64 v[2:3], v[2:3], 0, 16
	v_cmp_ge_i64_e32 vcc, v[2:3], v[0:1]
	s_or_b64 s[2:3], vcc, s[2:3]
	s_andn2_b64 exec, exec, s[2:3]
	s_cbranch_execz .LBB101_45
.LBB101_34:                             ; =>This Loop Header: Depth=1
                                        ;     Child Loop BB101_37 Depth 2
	v_lshlrev_b64 v[8:9], 3, v[2:3]
	v_lshl_add_u64 v[10:11], s[20:21], 0, v[8:9]
	global_load_dwordx2 v[10:11], v[10:11], off
	v_lshl_add_u64 v[8:9], s[22:23], 0, v[8:9]
	global_load_dwordx2 v[8:9], v[8:9], off
	s_waitcnt vmcnt(1)
	v_subrev_co_u32_e32 v10, vcc, s26, v10
	v_lshl_add_u32 v12, v10, 3, v10
	v_and_b32_e32 v12, 31, v12
	v_lshl_add_u32 v18, v12, 3, v28
	ds_read_b64 v[16:17], v18
	v_subbrev_co_u32_e32 v11, vcc, 0, v11, vcc
	s_waitcnt lgkmcnt(0)
	v_cmp_ne_u64_e32 vcc, v[16:17], v[10:11]
	s_and_saveexec_b64 s[4:5], vcc
	s_cbranch_execz .LBB101_33
; %bb.35:                               ;   in Loop: Header=BB101_34 Depth=1
	s_mov_b64 s[6:7], 0
                                        ; implicit-def: $sgpr8_sgpr9
                                        ; implicit-def: $sgpr10_sgpr11
	s_branch .LBB101_37
.LBB101_36:                             ;   in Loop: Header=BB101_37 Depth=2
	s_or_b64 exec, exec, s[24:25]
	s_and_b64 s[12:13], exec, s[16:17]
	s_or_b64 s[6:7], s[12:13], s[6:7]
	s_andn2_b64 s[8:9], s[8:9], exec
	s_and_b64 s[12:13], s[10:11], exec
	s_or_b64 s[8:9], s[8:9], s[12:13]
	s_andn2_b64 exec, exec, s[6:7]
	s_cbranch_execz .LBB101_43
.LBB101_37:                             ;   Parent Loop BB101_34 Depth=1
                                        ; =>  This Inner Loop Header: Depth=2
	v_mov_b64_e32 v[14:15], v[12:13]
	v_cmp_ne_u64_e32 vcc, s[14:15], v[16:17]
	s_mov_b64 s[12:13], 0
                                        ; implicit-def: $vgpr12_vgpr13
	s_and_saveexec_b64 s[16:17], vcc
	s_xor_b64 s[16:17], exec, s[16:17]
; %bb.38:                               ;   in Loop: Header=BB101_37 Depth=2
	v_add_u32_e32 v12, 1, v14
	s_mov_b64 s[12:13], exec
	v_and_b32_e32 v12, 31, v12
                                        ; implicit-def: $vgpr18
; %bb.39:                               ;   in Loop: Header=BB101_37 Depth=2
	s_andn2_saveexec_b64 s[16:17], s[16:17]
	s_cbranch_execz .LBB101_41
; %bb.40:                               ;   in Loop: Header=BB101_37 Depth=2
	v_mov_b64_e32 v[12:13], s[14:15]
	ds_cmpst_rtn_b64 v[12:13], v18, v[12:13], v[10:11]
	s_andn2_b64 s[12:13], s[12:13], exec
	s_waitcnt lgkmcnt(0)
	v_cmp_ne_u64_e32 vcc, s[14:15], v[12:13]
	s_and_b64 s[24:25], vcc, exec
	s_or_b64 s[12:13], s[12:13], s[24:25]
	v_mov_b64_e32 v[12:13], v[14:15]
.LBB101_41:                             ;   in Loop: Header=BB101_37 Depth=2
	s_or_b64 exec, exec, s[16:17]
	s_mov_b64 s[16:17], -1
	s_or_b64 s[10:11], s[10:11], exec
                                        ; implicit-def: $vgpr18
                                        ; implicit-def: $vgpr16_vgpr17
	s_and_saveexec_b64 s[24:25], s[12:13]
	s_cbranch_execz .LBB101_36
; %bb.42:                               ;   in Loop: Header=BB101_37 Depth=2
	v_lshl_add_u32 v18, v12, 3, v28
	ds_read_b64 v[16:17], v18
	s_andn2_b64 s[10:11], s[10:11], exec
	s_waitcnt lgkmcnt(0)
	v_cmp_eq_u64_e32 vcc, v[16:17], v[10:11]
	s_orn2_b64 s[16:17], vcc, exec
	s_branch .LBB101_36
.LBB101_43:                             ;   in Loop: Header=BB101_34 Depth=1
	s_or_b64 exec, exec, s[6:7]
	s_and_saveexec_b64 s[6:7], s[8:9]
	s_xor_b64 s[6:7], exec, s[6:7]
	s_cbranch_execz .LBB101_32
; %bb.44:                               ;   in Loop: Header=BB101_34 Depth=1
	v_mov_b32_e32 v12, v14
	s_branch .LBB101_32
.LBB101_45:
	s_or_b64 exec, exec, s[0:1]
.LBB101_46:
	s_waitcnt vmcnt(0)
	v_lshl_add_u64 v[0:1], v[6:7], 3, s[36:37]
	s_waitcnt lgkmcnt(0)
	global_load_dwordx2 v[0:1], v[0:1], off
	s_mov_b64 s[16:17], 0
	v_mov_b32_e32 v3, 0
	s_waitcnt vmcnt(0)
	v_subrev_co_u32_e32 v0, vcc, s18, v0
	s_nop 1
	v_subbrev_co_u32_e32 v1, vcc, 0, v1, vcc
	v_lshl_add_u64 v[0:1], v[0:1], 3, s[34:35]
	s_branch .LBB101_48
.LBB101_47:                             ;   in Loop: Header=BB101_48 Depth=1
	s_or_b64 exec, exec, s[18:19]
	v_add_co_u32_e32 v26, vcc, 16, v26
	s_xor_b64 s[0:1], vcc, -1
	s_and_b64 s[0:1], exec, s[0:1]
	s_or_b64 s[16:17], s[0:1], s[16:17]
	v_add_u32_e32 v27, 0x80, v27
	s_andn2_b64 exec, exec, s[16:17]
	s_cbranch_execz .LBB101_50
.LBB101_48:                             ; =>This Inner Loop Header: Depth=1
	ds_read_b64 v[4:5], v27 offset:4096
	s_waitcnt lgkmcnt(0)
	v_cmp_gt_i64_e32 vcc, s[14:15], v[4:5]
	s_and_saveexec_b64 s[18:19], vcc
	s_cbranch_execz .LBB101_47
; %bb.49:                               ;   in Loop: Header=BB101_48 Depth=1
	ds_read_b128 v[6:9], v28
	ds_read_b128 v[10:13], v28 offset:16
	ds_read_b128 v[14:17], v28 offset:32
	;; [unrolled: 1-line block ×3, first 2 shown]
	s_waitcnt lgkmcnt(3)
	v_cmp_gt_i64_e64 s[12:13], v[4:5], v[6:7]
	v_cmp_gt_i64_e64 s[8:9], v[4:5], v[8:9]
	s_nop 0
	v_cndmask_b32_e64 v2, 0, 1, s[12:13]
	v_lshlrev_b32_e32 v2, 3, v2
	v_lshl_add_u64 v[6:7], v[0:1], 0, v[2:3]
	v_cndmask_b32_e64 v2, 0, 1, s[8:9]
	s_waitcnt lgkmcnt(2)
	v_cmp_gt_i64_e64 s[10:11], v[4:5], v[10:11]
	v_lshlrev_b32_e32 v2, 3, v2
	v_lshl_add_u64 v[6:7], v[6:7], 0, v[2:3]
	v_cndmask_b32_e64 v2, 0, 1, s[10:11]
	v_cmp_gt_i64_e64 s[4:5], v[4:5], v[12:13]
	v_lshlrev_b32_e32 v2, 3, v2
	v_lshl_add_u64 v[6:7], v[6:7], 0, v[2:3]
	v_cndmask_b32_e64 v2, 0, 1, s[4:5]
	s_waitcnt lgkmcnt(1)
	v_cmp_gt_i64_e64 s[6:7], v[4:5], v[14:15]
	v_lshlrev_b32_e32 v2, 3, v2
	v_lshl_add_u64 v[6:7], v[6:7], 0, v[2:3]
	v_cndmask_b32_e64 v2, 0, 1, s[6:7]
	v_cmp_gt_i64_e64 s[0:1], v[4:5], v[16:17]
	v_lshlrev_b32_e32 v2, 3, v2
	v_lshl_add_u64 v[6:7], v[6:7], 0, v[2:3]
	v_cndmask_b32_e64 v2, 0, 1, s[0:1]
	s_waitcnt lgkmcnt(0)
	v_cmp_gt_i64_e64 s[2:3], v[4:5], v[18:19]
	v_lshlrev_b32_e32 v2, 3, v2
	v_lshl_add_u64 v[6:7], v[6:7], 0, v[2:3]
	v_cndmask_b32_e64 v2, 0, 1, s[2:3]
	v_cmp_gt_i64_e32 vcc, v[4:5], v[20:21]
	v_lshlrev_b32_e32 v2, 3, v2
	v_lshl_add_u64 v[6:7], v[6:7], 0, v[2:3]
	v_cndmask_b32_e64 v2, 0, 1, vcc
	ds_read_b128 v[8:11], v28 offset:64
	ds_read_b128 v[12:15], v28 offset:80
	;; [unrolled: 1-line block ×12, first 2 shown]
	v_lshlrev_b32_e32 v2, 3, v2
	s_waitcnt lgkmcnt(11)
	v_cmp_gt_i64_e32 vcc, v[4:5], v[8:9]
	v_lshl_add_u64 v[6:7], v[6:7], 0, v[2:3]
	ds_read_b64 v[8:9], v27
	v_cndmask_b32_e64 v2, 0, 1, vcc
	v_lshlrev_b32_e32 v2, 3, v2
	v_cmp_gt_i64_e32 vcc, v[4:5], v[10:11]
	v_lshl_add_u64 v[6:7], v[6:7], 0, v[2:3]
	s_nop 0
	v_cndmask_b32_e64 v2, 0, 1, vcc
	v_lshlrev_b32_e32 v2, 3, v2
	s_waitcnt lgkmcnt(11)
	v_cmp_gt_i64_e32 vcc, v[4:5], v[12:13]
	v_lshl_add_u64 v[6:7], v[6:7], 0, v[2:3]
	s_nop 0
	v_cndmask_b32_e64 v2, 0, 1, vcc
	v_lshlrev_b32_e32 v2, 3, v2
	v_cmp_gt_i64_e32 vcc, v[4:5], v[14:15]
	v_lshl_add_u64 v[6:7], v[6:7], 0, v[2:3]
	s_nop 0
	v_cndmask_b32_e64 v2, 0, 1, vcc
	v_lshlrev_b32_e32 v2, 3, v2
	s_waitcnt lgkmcnt(10)
	v_cmp_gt_i64_e32 vcc, v[4:5], v[16:17]
	v_lshl_add_u64 v[6:7], v[6:7], 0, v[2:3]
	s_nop 0
	;; [unrolled: 11-line block ×11, first 2 shown]
	v_cndmask_b32_e64 v2, 0, 1, vcc
	v_lshlrev_b32_e32 v2, 3, v2
	v_cmp_gt_i64_e32 vcc, v[4:5], v[60:61]
	v_lshl_add_u64 v[6:7], v[6:7], 0, v[2:3]
	s_nop 0
	v_cndmask_b32_e64 v2, 0, 1, vcc
	v_lshlrev_b32_e32 v2, 3, v2
	v_lshl_add_u64 v[4:5], v[6:7], 0, v[2:3]
	s_waitcnt lgkmcnt(0)
	global_store_dwordx2 v[4:5], v[8:9], off
	s_branch .LBB101_47
.LBB101_50:
	s_endpgm
	.section	.rodata,"a",@progbits
	.p2align	6, 0x0
	.amdhsa_kernel _ZN9rocsparseL38csrgemm_numeric_fill_wf_per_row_kernelILj256ELj16ELj32ELj137ElldEEvT4_S1_PKS1_S3_NS_24const_host_device_scalarIT5_EEPKT3_S3_PKS5_S9_S3_SB_S6_S9_S3_SB_S9_S3_PS5_21rocsparse_index_base_SD_SD_SD_bbb
		.amdhsa_group_segment_fixed_size 8192
		.amdhsa_private_segment_fixed_size 0
		.amdhsa_kernarg_size 164
		.amdhsa_user_sgpr_count 2
		.amdhsa_user_sgpr_dispatch_ptr 0
		.amdhsa_user_sgpr_queue_ptr 0
		.amdhsa_user_sgpr_kernarg_segment_ptr 1
		.amdhsa_user_sgpr_dispatch_id 0
		.amdhsa_user_sgpr_kernarg_preload_length 0
		.amdhsa_user_sgpr_kernarg_preload_offset 0
		.amdhsa_user_sgpr_private_segment_size 0
		.amdhsa_uses_dynamic_stack 0
		.amdhsa_enable_private_segment 0
		.amdhsa_system_sgpr_workgroup_id_x 1
		.amdhsa_system_sgpr_workgroup_id_y 0
		.amdhsa_system_sgpr_workgroup_id_z 0
		.amdhsa_system_sgpr_workgroup_info 0
		.amdhsa_system_vgpr_workitem_id 0
		.amdhsa_next_free_vgpr 62
		.amdhsa_next_free_sgpr 52
		.amdhsa_accum_offset 64
		.amdhsa_reserve_vcc 1
		.amdhsa_float_round_mode_32 0
		.amdhsa_float_round_mode_16_64 0
		.amdhsa_float_denorm_mode_32 3
		.amdhsa_float_denorm_mode_16_64 3
		.amdhsa_dx10_clamp 1
		.amdhsa_ieee_mode 1
		.amdhsa_fp16_overflow 0
		.amdhsa_tg_split 0
		.amdhsa_exception_fp_ieee_invalid_op 0
		.amdhsa_exception_fp_denorm_src 0
		.amdhsa_exception_fp_ieee_div_zero 0
		.amdhsa_exception_fp_ieee_overflow 0
		.amdhsa_exception_fp_ieee_underflow 0
		.amdhsa_exception_fp_ieee_inexact 0
		.amdhsa_exception_int_div_zero 0
	.end_amdhsa_kernel
	.section	.text._ZN9rocsparseL38csrgemm_numeric_fill_wf_per_row_kernelILj256ELj16ELj32ELj137ElldEEvT4_S1_PKS1_S3_NS_24const_host_device_scalarIT5_EEPKT3_S3_PKS5_S9_S3_SB_S6_S9_S3_SB_S9_S3_PS5_21rocsparse_index_base_SD_SD_SD_bbb,"axG",@progbits,_ZN9rocsparseL38csrgemm_numeric_fill_wf_per_row_kernelILj256ELj16ELj32ELj137ElldEEvT4_S1_PKS1_S3_NS_24const_host_device_scalarIT5_EEPKT3_S3_PKS5_S9_S3_SB_S6_S9_S3_SB_S9_S3_PS5_21rocsparse_index_base_SD_SD_SD_bbb,comdat
.Lfunc_end101:
	.size	_ZN9rocsparseL38csrgemm_numeric_fill_wf_per_row_kernelILj256ELj16ELj32ELj137ElldEEvT4_S1_PKS1_S3_NS_24const_host_device_scalarIT5_EEPKT3_S3_PKS5_S9_S3_SB_S6_S9_S3_SB_S9_S3_PS5_21rocsparse_index_base_SD_SD_SD_bbb, .Lfunc_end101-_ZN9rocsparseL38csrgemm_numeric_fill_wf_per_row_kernelILj256ELj16ELj32ELj137ElldEEvT4_S1_PKS1_S3_NS_24const_host_device_scalarIT5_EEPKT3_S3_PKS5_S9_S3_SB_S6_S9_S3_SB_S9_S3_PS5_21rocsparse_index_base_SD_SD_SD_bbb
                                        ; -- End function
	.set _ZN9rocsparseL38csrgemm_numeric_fill_wf_per_row_kernelILj256ELj16ELj32ELj137ElldEEvT4_S1_PKS1_S3_NS_24const_host_device_scalarIT5_EEPKT3_S3_PKS5_S9_S3_SB_S6_S9_S3_SB_S9_S3_PS5_21rocsparse_index_base_SD_SD_SD_bbb.num_vgpr, 62
	.set _ZN9rocsparseL38csrgemm_numeric_fill_wf_per_row_kernelILj256ELj16ELj32ELj137ElldEEvT4_S1_PKS1_S3_NS_24const_host_device_scalarIT5_EEPKT3_S3_PKS5_S9_S3_SB_S6_S9_S3_SB_S9_S3_PS5_21rocsparse_index_base_SD_SD_SD_bbb.num_agpr, 0
	.set _ZN9rocsparseL38csrgemm_numeric_fill_wf_per_row_kernelILj256ELj16ELj32ELj137ElldEEvT4_S1_PKS1_S3_NS_24const_host_device_scalarIT5_EEPKT3_S3_PKS5_S9_S3_SB_S6_S9_S3_SB_S9_S3_PS5_21rocsparse_index_base_SD_SD_SD_bbb.numbered_sgpr, 52
	.set _ZN9rocsparseL38csrgemm_numeric_fill_wf_per_row_kernelILj256ELj16ELj32ELj137ElldEEvT4_S1_PKS1_S3_NS_24const_host_device_scalarIT5_EEPKT3_S3_PKS5_S9_S3_SB_S6_S9_S3_SB_S9_S3_PS5_21rocsparse_index_base_SD_SD_SD_bbb.num_named_barrier, 0
	.set _ZN9rocsparseL38csrgemm_numeric_fill_wf_per_row_kernelILj256ELj16ELj32ELj137ElldEEvT4_S1_PKS1_S3_NS_24const_host_device_scalarIT5_EEPKT3_S3_PKS5_S9_S3_SB_S6_S9_S3_SB_S9_S3_PS5_21rocsparse_index_base_SD_SD_SD_bbb.private_seg_size, 0
	.set _ZN9rocsparseL38csrgemm_numeric_fill_wf_per_row_kernelILj256ELj16ELj32ELj137ElldEEvT4_S1_PKS1_S3_NS_24const_host_device_scalarIT5_EEPKT3_S3_PKS5_S9_S3_SB_S6_S9_S3_SB_S9_S3_PS5_21rocsparse_index_base_SD_SD_SD_bbb.uses_vcc, 1
	.set _ZN9rocsparseL38csrgemm_numeric_fill_wf_per_row_kernelILj256ELj16ELj32ELj137ElldEEvT4_S1_PKS1_S3_NS_24const_host_device_scalarIT5_EEPKT3_S3_PKS5_S9_S3_SB_S6_S9_S3_SB_S9_S3_PS5_21rocsparse_index_base_SD_SD_SD_bbb.uses_flat_scratch, 0
	.set _ZN9rocsparseL38csrgemm_numeric_fill_wf_per_row_kernelILj256ELj16ELj32ELj137ElldEEvT4_S1_PKS1_S3_NS_24const_host_device_scalarIT5_EEPKT3_S3_PKS5_S9_S3_SB_S6_S9_S3_SB_S9_S3_PS5_21rocsparse_index_base_SD_SD_SD_bbb.has_dyn_sized_stack, 0
	.set _ZN9rocsparseL38csrgemm_numeric_fill_wf_per_row_kernelILj256ELj16ELj32ELj137ElldEEvT4_S1_PKS1_S3_NS_24const_host_device_scalarIT5_EEPKT3_S3_PKS5_S9_S3_SB_S6_S9_S3_SB_S9_S3_PS5_21rocsparse_index_base_SD_SD_SD_bbb.has_recursion, 0
	.set _ZN9rocsparseL38csrgemm_numeric_fill_wf_per_row_kernelILj256ELj16ELj32ELj137ElldEEvT4_S1_PKS1_S3_NS_24const_host_device_scalarIT5_EEPKT3_S3_PKS5_S9_S3_SB_S6_S9_S3_SB_S9_S3_PS5_21rocsparse_index_base_SD_SD_SD_bbb.has_indirect_call, 0
	.section	.AMDGPU.csdata,"",@progbits
; Kernel info:
; codeLenInByte = 2672
; TotalNumSgprs: 58
; NumVgprs: 62
; NumAgprs: 0
; TotalNumVgprs: 62
; ScratchSize: 0
; MemoryBound: 0
; FloatMode: 240
; IeeeMode: 1
; LDSByteSize: 8192 bytes/workgroup (compile time only)
; SGPRBlocks: 7
; VGPRBlocks: 7
; NumSGPRsForWavesPerEU: 58
; NumVGPRsForWavesPerEU: 62
; AccumOffset: 64
; Occupancy: 8
; WaveLimiterHint : 1
; COMPUTE_PGM_RSRC2:SCRATCH_EN: 0
; COMPUTE_PGM_RSRC2:USER_SGPR: 2
; COMPUTE_PGM_RSRC2:TRAP_HANDLER: 0
; COMPUTE_PGM_RSRC2:TGID_X_EN: 1
; COMPUTE_PGM_RSRC2:TGID_Y_EN: 0
; COMPUTE_PGM_RSRC2:TGID_Z_EN: 0
; COMPUTE_PGM_RSRC2:TIDIG_COMP_CNT: 0
; COMPUTE_PGM_RSRC3_GFX90A:ACCUM_OFFSET: 15
; COMPUTE_PGM_RSRC3_GFX90A:TG_SPLIT: 0
	.section	.text._ZN9rocsparseL41csrgemm_numeric_fill_block_per_row_kernelILj128ELj16ELj256ELj137ELj32ElldEEvT5_PKS1_S3_NS_24const_host_device_scalarIT6_EEPKT4_S3_PKS5_S9_S3_SB_S6_S9_S3_SB_S9_S3_PS5_21rocsparse_index_base_SD_SD_SD_bbb,"axG",@progbits,_ZN9rocsparseL41csrgemm_numeric_fill_block_per_row_kernelILj128ELj16ELj256ELj137ELj32ElldEEvT5_PKS1_S3_NS_24const_host_device_scalarIT6_EEPKT4_S3_PKS5_S9_S3_SB_S6_S9_S3_SB_S9_S3_PS5_21rocsparse_index_base_SD_SD_SD_bbb,comdat
	.globl	_ZN9rocsparseL41csrgemm_numeric_fill_block_per_row_kernelILj128ELj16ELj256ELj137ELj32ElldEEvT5_PKS1_S3_NS_24const_host_device_scalarIT6_EEPKT4_S3_PKS5_S9_S3_SB_S6_S9_S3_SB_S9_S3_PS5_21rocsparse_index_base_SD_SD_SD_bbb ; -- Begin function _ZN9rocsparseL41csrgemm_numeric_fill_block_per_row_kernelILj128ELj16ELj256ELj137ELj32ElldEEvT5_PKS1_S3_NS_24const_host_device_scalarIT6_EEPKT4_S3_PKS5_S9_S3_SB_S6_S9_S3_SB_S9_S3_PS5_21rocsparse_index_base_SD_SD_SD_bbb
	.p2align	8
	.type	_ZN9rocsparseL41csrgemm_numeric_fill_block_per_row_kernelILj128ELj16ELj256ELj137ELj32ElldEEvT5_PKS1_S3_NS_24const_host_device_scalarIT6_EEPKT4_S3_PKS5_S9_S3_SB_S6_S9_S3_SB_S9_S3_PS5_21rocsparse_index_base_SD_SD_SD_bbb,@function
_ZN9rocsparseL41csrgemm_numeric_fill_block_per_row_kernelILj128ELj16ELj256ELj137ELj32ElldEEvT5_PKS1_S3_NS_24const_host_device_scalarIT6_EEPKT4_S3_PKS5_S9_S3_SB_S6_S9_S3_SB_S9_S3_PS5_21rocsparse_index_base_SD_SD_SD_bbb: ; @_ZN9rocsparseL41csrgemm_numeric_fill_block_per_row_kernelILj128ELj16ELj256ELj137ELj32ElldEEvT5_PKS1_S3_NS_24const_host_device_scalarIT6_EEPKT4_S3_PKS5_S9_S3_SB_S6_S9_S3_SB_S9_S3_PS5_21rocsparse_index_base_SD_SD_SD_bbb
; %bb.0:
	s_load_dword s3, s[0:1], 0x98
	s_load_dwordx2 s[6:7], s[0:1], 0x18
	s_load_dwordx2 s[4:5], s[0:1], 0x50
	s_waitcnt lgkmcnt(0)
	s_bitcmp1_b32 s3, 0
	s_cselect_b64 s[40:41], -1, 0
	s_bitcmp1_b32 s3, 16
	s_cselect_b64 s[8:9], -1, 0
	s_xor_b64 s[10:11], s[40:41], -1
	s_or_b64 s[10:11], s[8:9], s[10:11]
	s_and_b64 s[12:13], s[40:41], exec
	s_cselect_b32 s13, s7, 0
	s_cselect_b32 s12, s6, 0
	s_and_b64 vcc, exec, s[10:11]
	v_mov_b64_e32 v[4:5], s[12:13]
	s_cbranch_vccnz .LBB102_2
; %bb.1:
	v_mov_b64_e32 v[2:3], s[6:7]
	flat_load_dwordx2 v[4:5], v[2:3]
.LBB102_2:
	s_bitcmp1_b32 s3, 8
	s_cselect_b64 s[6:7], -1, 0
	s_load_dwordx4 s[16:19], s[0:1], 0x88
	s_xor_b64 s[10:11], s[6:7], -1
	s_or_b64 s[8:9], s[8:9], s[10:11]
	s_and_b64 s[10:11], s[6:7], exec
	s_cselect_b32 s11, s5, 0
	s_cselect_b32 s10, s4, 0
	s_and_b64 vcc, exec, s[8:9]
	v_mov_b64_e32 v[2:3], s[10:11]
	s_cbranch_vccnz .LBB102_4
; %bb.3:
	v_mov_b64_e32 v[2:3], s[4:5]
	flat_load_dwordx2 v[2:3], v[2:3]
.LBB102_4:
	s_load_dwordx2 s[34:35], s[0:1], 0x80
	s_load_dwordx2 s[36:37], s[0:1], 0x70
	;; [unrolled: 1-line block ×3, first 2 shown]
	s_load_dwordx4 s[20:23], s[0:1], 0x0
	s_load_dwordx2 s[42:43], s[0:1], 0x10
	s_load_dwordx8 s[8:15], s[0:1], 0x20
	s_movk_i32 s3, 0x100
	v_cmp_gt_u32_e64 s[4:5], s3, v0
	v_lshl_add_u32 v1, v0, 3, 0
	s_and_saveexec_b64 s[24:25], s[4:5]
	s_cbranch_execz .LBB102_7
; %bb.5:
	v_mov_b32_e32 v6, 0
	v_or_b32_e32 v10, 0xffffff80, v0
	v_lshl_add_u32 v11, v0, 3, 0
	s_mov_b64 s[26:27], 0
	s_waitcnt lgkmcnt(0)
	v_mov_b64_e32 v[8:9], s[20:21]
	v_mov_b32_e32 v7, v6
.LBB102_6:                              ; =>This Inner Loop Header: Depth=1
	v_add_co_u32_e32 v10, vcc, 0x80, v10
	s_xor_b64 s[28:29], vcc, -1
	s_and_b64 s[28:29], exec, s[28:29]
	ds_write2st64_b64 v11, v[8:9], v[6:7] offset1:4
	s_or_b64 s[26:27], s[28:29], s[26:27]
	v_add_u32_e32 v11, 0x400, v11
	s_andn2_b64 exec, exec, s[26:27]
	s_cbranch_execnz .LBB102_6
.LBB102_7:
	s_or_b64 exec, exec, s[24:25]
	s_load_dwordx4 s[24:27], s[0:1], 0x60
	s_load_dwordx4 s[28:31], s[0:1], 0x40
	s_waitcnt lgkmcnt(0)
	s_barrier
	s_load_dwordx2 s[0:1], s[22:23], 0x0
	s_mov_b32 s3, 0
	s_waitcnt lgkmcnt(0)
	s_lshl_b64 s[0:1], s[0:1], 3
	s_add_u32 s22, s42, s0
	s_addc_u32 s23, s43, s1
	s_lshl_b64 s[0:1], s[2:3], 3
	s_add_u32 s0, s22, s0
	s_addc_u32 s1, s23, s1
	s_load_dwordx2 s[22:23], s[0:1], 0x0
	s_and_b64 vcc, exec, s[40:41]
	s_cbranch_vccz .LBB102_27
; %bb.8:
	s_waitcnt lgkmcnt(0)
	s_lshl_b64 s[0:1], s[22:23], 3
	s_add_u32 s0, s8, s0
	s_addc_u32 s1, s9, s1
	s_load_dwordx4 s[40:43], s[0:1], 0x0
	v_lshrrev_b32_e32 v6, 4, v0
	v_subrev_co_u32_e32 v6, vcc, s16, v6
	s_waitcnt lgkmcnt(0)
	s_sub_u32 s0, s42, s16
	v_subb_co_u32_e64 v7, s[2:3], 0, 0, vcc
	s_subb_u32 s1, s43, 0
	v_lshl_add_u64 v[6:7], s[40:41], 0, v[6:7]
	v_cmp_gt_i64_e32 vcc, s[0:1], v[6:7]
	s_and_saveexec_b64 s[2:3], vcc
	s_cbranch_execz .LBB102_26
; %bb.9:
	v_and_b32_e32 v8, 15, v0
	v_subrev_co_u32_e32 v8, vcc, s17, v8
	s_mov_b32 s33, s17
	s_nop 0
	v_subb_co_u32_e64 v9, s[8:9], 0, 0, vcc
	s_mov_b64 s[8:9], 0
	s_movk_i32 s17, 0x89
	s_branch .LBB102_11
.LBB102_10:                             ;   in Loop: Header=BB102_11 Depth=1
	s_or_b64 exec, exec, s[40:41]
	v_lshl_add_u64 v[6:7], v[6:7], 0, 8
	v_cmp_le_i64_e32 vcc, s[0:1], v[6:7]
	s_or_b64 s[8:9], vcc, s[8:9]
	s_andn2_b64 exec, exec, s[8:9]
	s_cbranch_execz .LBB102_26
.LBB102_11:                             ; =>This Loop Header: Depth=1
                                        ;     Child Loop BB102_15 Depth 2
                                        ;       Child Loop BB102_18 Depth 3
	v_lshl_add_u64 v[10:11], v[6:7], 3, s[10:11]
	global_load_dwordx2 v[10:11], v[10:11], off
	s_waitcnt vmcnt(0)
	v_subrev_co_u32_e32 v10, vcc, s16, v10
	s_nop 1
	v_subbrev_co_u32_e32 v11, vcc, 0, v11, vcc
	v_lshl_add_u64 v[10:11], v[10:11], 3, s[14:15]
	global_load_dwordx4 v[12:15], v[10:11], off
	s_waitcnt vmcnt(0)
	v_subrev_co_u32_e32 v10, vcc, s33, v14
	s_nop 1
	v_subbrev_co_u32_e32 v11, vcc, 0, v15, vcc
	v_lshl_add_u64 v[12:13], v[12:13], 0, v[8:9]
	v_cmp_lt_i64_e32 vcc, v[12:13], v[10:11]
	s_and_saveexec_b64 s[40:41], vcc
	s_cbranch_execz .LBB102_10
; %bb.12:                               ;   in Loop: Header=BB102_11 Depth=1
	v_lshl_add_u64 v[14:15], v[6:7], 3, s[12:13]
	global_load_dwordx2 v[14:15], v[14:15], off
	s_mov_b64 s[42:43], 0
	s_waitcnt vmcnt(0)
	v_mul_f64 v[14:15], v[4:5], v[14:15]
	s_branch .LBB102_15
.LBB102_13:                             ;   in Loop: Header=BB102_15 Depth=2
	s_or_b64 exec, exec, s[46:47]
.LBB102_14:                             ;   in Loop: Header=BB102_15 Depth=2
	s_or_b64 exec, exec, s[44:45]
	s_waitcnt vmcnt(0)
	v_mul_f64 v[16:17], v[14:15], v[16:17]
	v_lshl_add_u32 v18, v20, 3, 0
	ds_add_f64 v18, v[16:17] offset:2048
	v_lshl_add_u64 v[12:13], v[12:13], 0, 16
	v_cmp_ge_i64_e32 vcc, v[12:13], v[10:11]
	s_or_b64 s[42:43], vcc, s[42:43]
	s_andn2_b64 exec, exec, s[42:43]
	s_cbranch_execz .LBB102_10
.LBB102_15:                             ;   Parent Loop BB102_11 Depth=1
                                        ; =>  This Loop Header: Depth=2
                                        ;       Child Loop BB102_18 Depth 3
	v_lshlrev_b64 v[16:17], 3, v[12:13]
	v_lshl_add_u64 v[18:19], s[28:29], 0, v[16:17]
	global_load_dwordx2 v[18:19], v[18:19], off
	v_lshl_add_u64 v[16:17], s[30:31], 0, v[16:17]
	global_load_dwordx2 v[16:17], v[16:17], off
	s_waitcnt vmcnt(1)
	v_subrev_co_u32_e32 v18, vcc, s33, v18
	v_mul_lo_u32 v20, v18, s17
	v_and_b32_e32 v20, 0xff, v20
	v_lshl_add_u32 v26, v20, 3, 0
	ds_read_b64 v[24:25], v26
	v_subbrev_co_u32_e32 v19, vcc, 0, v19, vcc
	s_waitcnt lgkmcnt(0)
	v_cmp_ne_u64_e32 vcc, v[24:25], v[18:19]
	s_and_saveexec_b64 s[44:45], vcc
	s_cbranch_execz .LBB102_14
; %bb.16:                               ;   in Loop: Header=BB102_15 Depth=2
	s_mov_b64 s[46:47], 0
                                        ; implicit-def: $sgpr48_sgpr49
                                        ; implicit-def: $sgpr50_sgpr51
	s_branch .LBB102_18
.LBB102_17:                             ;   in Loop: Header=BB102_18 Depth=3
	s_or_b64 exec, exec, s[56:57]
	s_and_b64 s[52:53], exec, s[54:55]
	s_or_b64 s[46:47], s[52:53], s[46:47]
	s_andn2_b64 s[48:49], s[48:49], exec
	s_and_b64 s[52:53], s[50:51], exec
	s_or_b64 s[48:49], s[48:49], s[52:53]
	s_andn2_b64 exec, exec, s[46:47]
	s_cbranch_execz .LBB102_24
.LBB102_18:                             ;   Parent Loop BB102_11 Depth=1
                                        ;     Parent Loop BB102_15 Depth=2
                                        ; =>    This Inner Loop Header: Depth=3
	v_mov_b64_e32 v[22:23], v[20:21]
	v_cmp_ne_u64_e32 vcc, s[20:21], v[24:25]
	s_mov_b64 s[52:53], 0
                                        ; implicit-def: $vgpr20_vgpr21
	s_and_saveexec_b64 s[54:55], vcc
	s_xor_b64 s[54:55], exec, s[54:55]
; %bb.19:                               ;   in Loop: Header=BB102_18 Depth=3
	v_add_u32_e32 v20, 1, v22
	s_mov_b64 s[52:53], exec
	v_and_b32_e32 v20, 0xff, v20
                                        ; implicit-def: $vgpr26
; %bb.20:                               ;   in Loop: Header=BB102_18 Depth=3
	s_andn2_saveexec_b64 s[54:55], s[54:55]
	s_cbranch_execz .LBB102_22
; %bb.21:                               ;   in Loop: Header=BB102_18 Depth=3
	v_mov_b64_e32 v[20:21], s[20:21]
	ds_cmpst_rtn_b64 v[20:21], v26, v[20:21], v[18:19]
	s_andn2_b64 s[52:53], s[52:53], exec
	s_waitcnt lgkmcnt(0)
	v_cmp_ne_u64_e32 vcc, s[20:21], v[20:21]
	s_and_b64 s[56:57], vcc, exec
	s_or_b64 s[52:53], s[52:53], s[56:57]
	v_mov_b64_e32 v[20:21], v[22:23]
.LBB102_22:                             ;   in Loop: Header=BB102_18 Depth=3
	s_or_b64 exec, exec, s[54:55]
	s_mov_b64 s[54:55], -1
	s_or_b64 s[50:51], s[50:51], exec
                                        ; implicit-def: $vgpr26
                                        ; implicit-def: $vgpr24_vgpr25
	s_and_saveexec_b64 s[56:57], s[52:53]
	s_cbranch_execz .LBB102_17
; %bb.23:                               ;   in Loop: Header=BB102_18 Depth=3
	v_lshl_add_u32 v26, v20, 3, 0
	ds_read_b64 v[24:25], v26
	s_andn2_b64 s[50:51], s[50:51], exec
	s_waitcnt lgkmcnt(0)
	v_cmp_eq_u64_e32 vcc, v[24:25], v[18:19]
	s_orn2_b64 s[54:55], vcc, exec
	s_branch .LBB102_17
.LBB102_24:                             ;   in Loop: Header=BB102_15 Depth=2
	s_or_b64 exec, exec, s[46:47]
	s_and_saveexec_b64 s[46:47], s[48:49]
	s_xor_b64 s[46:47], exec, s[46:47]
	s_cbranch_execz .LBB102_13
; %bb.25:                               ;   in Loop: Header=BB102_15 Depth=2
	v_mov_b32_e32 v20, v22
	s_branch .LBB102_13
.LBB102_26:
	s_or_b64 exec, exec, s[2:3]
.LBB102_27:
	s_andn2_b64 vcc, exec, s[6:7]
	s_cbranch_vccnz .LBB102_44
; %bb.28:
	s_waitcnt lgkmcnt(0)
	s_lshl_b64 s[0:1], s[22:23], 3
	s_add_u32 s0, s38, s0
	s_addc_u32 s1, s39, s1
	s_load_dwordx4 s[8:11], s[0:1], 0x0
	s_waitcnt vmcnt(0)
	v_subrev_co_u32_e32 v4, vcc, s19, v0
	s_waitcnt lgkmcnt(0)
	s_sub_u32 s0, s10, s19
	v_subb_co_u32_e64 v5, s[2:3], 0, 0, vcc
	s_subb_u32 s1, s11, 0
	v_lshl_add_u64 v[4:5], s[8:9], 0, v[4:5]
	v_cmp_gt_i64_e32 vcc, s[0:1], v[4:5]
	s_and_saveexec_b64 s[2:3], vcc
	s_cbranch_execz .LBB102_43
; %bb.29:
	s_mov_b32 s33, s19
	s_mov_b64 s[6:7], 0
	s_movk_i32 s19, 0x89
	s_mov_b64 s[8:9], 0x80
	s_branch .LBB102_32
.LBB102_30:                             ;   in Loop: Header=BB102_32 Depth=1
	s_or_b64 exec, exec, s[12:13]
.LBB102_31:                             ;   in Loop: Header=BB102_32 Depth=1
	s_or_b64 exec, exec, s[10:11]
	s_waitcnt vmcnt(0)
	v_mul_f64 v[6:7], v[2:3], v[6:7]
	v_lshl_add_u32 v8, v10, 3, 0
	ds_add_f64 v8, v[6:7] offset:2048
	v_lshl_add_u64 v[4:5], v[4:5], 0, s[8:9]
	v_cmp_le_i64_e32 vcc, s[0:1], v[4:5]
	s_or_b64 s[6:7], vcc, s[6:7]
	s_andn2_b64 exec, exec, s[6:7]
	s_cbranch_execz .LBB102_43
.LBB102_32:                             ; =>This Loop Header: Depth=1
                                        ;     Child Loop BB102_35 Depth 2
	v_lshlrev_b64 v[6:7], 3, v[4:5]
	v_lshl_add_u64 v[8:9], s[24:25], 0, v[6:7]
	global_load_dwordx2 v[8:9], v[8:9], off
	v_lshl_add_u64 v[6:7], s[26:27], 0, v[6:7]
	global_load_dwordx2 v[6:7], v[6:7], off
	s_waitcnt vmcnt(1)
	v_subrev_co_u32_e32 v8, vcc, s33, v8
	v_mul_lo_u32 v10, v8, s19
	v_and_b32_e32 v10, 0xff, v10
	v_lshl_add_u32 v16, v10, 3, 0
	ds_read_b64 v[14:15], v16
	v_subbrev_co_u32_e32 v9, vcc, 0, v9, vcc
	s_waitcnt lgkmcnt(0)
	v_cmp_ne_u64_e32 vcc, v[14:15], v[8:9]
	s_and_saveexec_b64 s[10:11], vcc
	s_cbranch_execz .LBB102_31
; %bb.33:                               ;   in Loop: Header=BB102_32 Depth=1
	s_mov_b64 s[12:13], 0
                                        ; implicit-def: $sgpr14_sgpr15
                                        ; implicit-def: $sgpr16_sgpr17
	s_branch .LBB102_35
.LBB102_34:                             ;   in Loop: Header=BB102_35 Depth=2
	s_or_b64 exec, exec, s[38:39]
	s_and_b64 s[28:29], exec, s[30:31]
	s_or_b64 s[12:13], s[28:29], s[12:13]
	s_andn2_b64 s[14:15], s[14:15], exec
	s_and_b64 s[28:29], s[16:17], exec
	s_or_b64 s[14:15], s[14:15], s[28:29]
	s_andn2_b64 exec, exec, s[12:13]
	s_cbranch_execz .LBB102_41
.LBB102_35:                             ;   Parent Loop BB102_32 Depth=1
                                        ; =>  This Inner Loop Header: Depth=2
	v_mov_b64_e32 v[12:13], v[10:11]
	v_cmp_ne_u64_e32 vcc, s[20:21], v[14:15]
	s_mov_b64 s[28:29], 0
                                        ; implicit-def: $vgpr10_vgpr11
	s_and_saveexec_b64 s[30:31], vcc
	s_xor_b64 s[30:31], exec, s[30:31]
; %bb.36:                               ;   in Loop: Header=BB102_35 Depth=2
	v_add_u32_e32 v10, 1, v12
	s_mov_b64 s[28:29], exec
	v_and_b32_e32 v10, 0xff, v10
                                        ; implicit-def: $vgpr16
; %bb.37:                               ;   in Loop: Header=BB102_35 Depth=2
	s_andn2_saveexec_b64 s[30:31], s[30:31]
	s_cbranch_execz .LBB102_39
; %bb.38:                               ;   in Loop: Header=BB102_35 Depth=2
	v_mov_b64_e32 v[10:11], s[20:21]
	ds_cmpst_rtn_b64 v[10:11], v16, v[10:11], v[8:9]
	s_andn2_b64 s[28:29], s[28:29], exec
	s_waitcnt lgkmcnt(0)
	v_cmp_ne_u64_e32 vcc, s[20:21], v[10:11]
	s_and_b64 s[38:39], vcc, exec
	s_or_b64 s[28:29], s[28:29], s[38:39]
	v_mov_b64_e32 v[10:11], v[12:13]
.LBB102_39:                             ;   in Loop: Header=BB102_35 Depth=2
	s_or_b64 exec, exec, s[30:31]
	s_mov_b64 s[30:31], -1
	s_or_b64 s[16:17], s[16:17], exec
                                        ; implicit-def: $vgpr16
                                        ; implicit-def: $vgpr14_vgpr15
	s_and_saveexec_b64 s[38:39], s[28:29]
	s_cbranch_execz .LBB102_34
; %bb.40:                               ;   in Loop: Header=BB102_35 Depth=2
	v_lshl_add_u32 v16, v10, 3, 0
	ds_read_b64 v[14:15], v16
	s_andn2_b64 s[16:17], s[16:17], exec
	s_waitcnt lgkmcnt(0)
	v_cmp_eq_u64_e32 vcc, v[14:15], v[8:9]
	s_orn2_b64 s[30:31], vcc, exec
	s_branch .LBB102_34
.LBB102_41:                             ;   in Loop: Header=BB102_32 Depth=1
	s_or_b64 exec, exec, s[12:13]
	s_and_saveexec_b64 s[12:13], s[14:15]
	s_xor_b64 s[12:13], exec, s[12:13]
	s_cbranch_execz .LBB102_30
; %bb.42:                               ;   in Loop: Header=BB102_32 Depth=1
	v_mov_b32_e32 v10, v12
	s_branch .LBB102_30
.LBB102_43:
	s_or_b64 exec, exec, s[2:3]
.LBB102_44:
	s_waitcnt lgkmcnt(0)
	s_barrier
	s_and_saveexec_b64 s[8:9], s[4:5]
	s_cbranch_execz .LBB102_57
; %bb.45:
	s_waitcnt vmcnt(0)
	v_mbcnt_lo_u32_b32 v2, -1, 0
	v_mbcnt_hi_u32_b32 v2, -1, v2
	v_sub_u32_e32 v2, 63, v2
	v_lshrrev_b64 v[8:9], v2, -1
	v_lshrrev_b32_e32 v2, 2, v0
	v_and_b32_e32 v2, 24, v2
	s_movk_i32 s0, 0x7f
	s_movk_i32 s6, 0x5f
	v_mov_b32_e32 v7, 0
	v_add_u32_e32 v14, 0, v2
	v_cmp_eq_u32_e64 s[0:1], s0, v0
	v_cmp_lt_u32_e64 s[2:3], 31, v0
	v_cmp_lt_u32_e64 s[4:5], 63, v0
	;; [unrolled: 1-line block ×3, first 2 shown]
	v_or_b32_e32 v15, 0xffffff80, v0
	s_mov_b64 s[10:11], 0
	v_mov_b64_e32 v[10:11], 0
	s_branch .LBB102_47
.LBB102_46:                             ;   in Loop: Header=BB102_47 Depth=1
	s_or_b64 exec, exec, s[12:13]
	s_waitcnt lgkmcnt(0)
	s_barrier
	ds_read_b64 v[2:3], v7 offset:4120
	v_add_co_u32_e32 v15, vcc, 0x80, v15
	s_xor_b64 s[12:13], vcc, -1
	s_and_b64 s[12:13], exec, s[12:13]
	s_waitcnt lgkmcnt(0)
	v_lshl_add_u64 v[10:11], v[2:3], 0, v[10:11]
	s_or_b64 s[10:11], s[12:13], s[10:11]
	v_add_u32_e32 v1, 0x400, v1
	s_andn2_b64 exec, exec, s[10:11]
	s_cbranch_execz .LBB102_57
.LBB102_47:                             ; =>This Inner Loop Header: Depth=1
	ds_read2st64_b64 v[2:5], v1 offset1:4
	s_waitcnt lgkmcnt(0)
	s_barrier
	v_cmp_gt_i64_e32 vcc, s[20:21], v[2:3]
	s_bcnt1_i32_b64 s12, vcc
	s_nop 0
	v_and_b32_e32 v13, vcc_lo, v8
	v_and_b32_e32 v12, vcc_hi, v9
	v_bcnt_u32_b32 v13, v13, 0
	v_mov_b32_e32 v6, s12
	v_bcnt_u32_b32 v12, v12, v13
	ds_write_b64 v14, v[6:7] offset:4096
	s_waitcnt lgkmcnt(0)
	s_barrier
	s_and_saveexec_b64 s[12:13], s[2:3]
	s_cbranch_execnz .LBB102_52
; %bb.48:                               ;   in Loop: Header=BB102_47 Depth=1
	s_or_b64 exec, exec, s[12:13]
	s_and_saveexec_b64 s[12:13], s[4:5]
	s_cbranch_execnz .LBB102_53
.LBB102_49:                             ;   in Loop: Header=BB102_47 Depth=1
	s_or_b64 exec, exec, s[12:13]
	s_and_saveexec_b64 s[12:13], s[6:7]
	s_cbranch_execnz .LBB102_54
.LBB102_50:                             ;   in Loop: Header=BB102_47 Depth=1
	s_or_b64 exec, exec, s[12:13]
	v_ashrrev_i32_e32 v13, 31, v12
	s_and_saveexec_b64 s[12:13], vcc
	s_cbranch_execnz .LBB102_55
.LBB102_51:                             ;   in Loop: Header=BB102_47 Depth=1
	s_or_b64 exec, exec, s[12:13]
	s_and_saveexec_b64 s[12:13], s[0:1]
	s_cbranch_execz .LBB102_46
	s_branch .LBB102_56
.LBB102_52:                             ;   in Loop: Header=BB102_47 Depth=1
	ds_read_b32 v6, v7 offset:4096
	s_waitcnt lgkmcnt(0)
	v_add_u32_e32 v12, v6, v12
	s_or_b64 exec, exec, s[12:13]
	s_and_saveexec_b64 s[12:13], s[4:5]
	s_cbranch_execz .LBB102_49
.LBB102_53:                             ;   in Loop: Header=BB102_47 Depth=1
	ds_read_b32 v6, v7 offset:4104
	s_waitcnt lgkmcnt(0)
	v_add_u32_e32 v12, v12, v6
	s_or_b64 exec, exec, s[12:13]
	s_and_saveexec_b64 s[12:13], s[6:7]
	s_cbranch_execz .LBB102_50
.LBB102_54:                             ;   in Loop: Header=BB102_47 Depth=1
	ds_read_b32 v6, v7 offset:4112
	s_waitcnt lgkmcnt(0)
	v_add_u32_e32 v12, v12, v6
	s_or_b64 exec, exec, s[12:13]
	v_ashrrev_i32_e32 v13, 31, v12
	s_and_saveexec_b64 s[12:13], vcc
	s_cbranch_execz .LBB102_51
.LBB102_55:                             ;   in Loop: Header=BB102_47 Depth=1
	v_add3_u32 v6, v10, -1, v12
	v_lshl_add_u32 v6, v6, 3, 0
	v_add_u32_e32 v16, v10, v12
	v_lshl_add_u32 v16, v16, 3, 0
	ds_write_b64 v6, v[2:3]
	ds_write_b64 v16, v[4:5] offset:2040
	s_or_b64 exec, exec, s[12:13]
	s_and_saveexec_b64 s[12:13], s[0:1]
	s_cbranch_execz .LBB102_46
.LBB102_56:                             ;   in Loop: Header=BB102_47 Depth=1
	ds_write_b64 v7, v[12:13] offset:4120
	s_branch .LBB102_46
.LBB102_57:
	s_or_b64 exec, exec, s[8:9]
	s_lshl_b64 s[0:1], s[22:23], 3
	s_add_u32 s4, s36, s0
	s_addc_u32 s5, s37, s1
	s_load_dwordx4 s[0:3], s[4:5], 0x0
	v_mov_b32_e32 v1, 0
	s_waitcnt lgkmcnt(0)
	s_sub_u32 s4, s2, s0
	s_subb_u32 s5, s3, s1
	v_cmp_gt_i64_e32 vcc, s[4:5], v[0:1]
	s_and_saveexec_b64 s[6:7], vcc
	s_cbranch_execz .LBB102_67
; %bb.58:
	s_sub_u32 s8, s0, s18
	s_subb_u32 s9, s1, 0
	s_and_b32 s6, s4, 7
	s_sub_u32 s0, s0, s2
	s_mov_b32 s7, 0
	s_subb_u32 s1, s1, s3
	s_and_b32 s10, s4, -8
	s_cmp_lg_u64 s[6:7], 0
	v_cmp_lt_u64_e64 s[0:1], s[0:1], -7
	s_cselect_b64 s[2:3], -1, 0
	s_mov_b32 s11, s5
	s_waitcnt vmcnt(0)
	v_cndmask_b32_e64 v2, 0, 1, s[0:1]
	v_cmp_ne_u32_e64 s[0:1], 1, v2
	v_cndmask_b32_e64 v2, 0, 1, s[2:3]
	s_mov_b64 s[12:13], 0
	v_cmp_ne_u32_e64 s[2:3], 1, v2
	s_mov_b64 s[14:15], 0x80
	s_branch .LBB102_60
.LBB102_59:                             ;   in Loop: Header=BB102_60 Depth=1
	v_lshl_add_u64 v[0:1], v[0:1], 0, s[14:15]
	v_cmp_le_i64_e32 vcc, s[4:5], v[0:1]
	s_waitcnt lgkmcnt(0)
	v_lshl_add_u64 v[2:3], v[6:7], 3, s[34:35]
	s_or_b64 s[12:13], vcc, s[12:13]
	global_store_dwordx2 v[2:3], v[4:5], off
	s_andn2_b64 exec, exec, s[12:13]
	s_cbranch_execz .LBB102_67
.LBB102_60:                             ; =>This Loop Header: Depth=1
                                        ;     Child Loop BB102_62 Depth 2
                                        ;     Child Loop BB102_66 Depth 2
	v_lshl_add_u32 v2, v0, 3, 0
	ds_read2st64_b64 v[2:5], v2 offset1:4
	s_and_b64 vcc, exec, s[0:1]
	v_mov_b64_e32 v[6:7], s[8:9]
	s_mov_b64 s[16:17], 0
	s_cbranch_vccnz .LBB102_64
; %bb.61:                               ;   in Loop: Header=BB102_60 Depth=1
	s_mov_b32 s18, 0
	v_mov_b64_e32 v[6:7], s[8:9]
.LBB102_62:                             ;   Parent Loop BB102_60 Depth=1
                                        ; =>  This Inner Loop Header: Depth=2
	v_mov_b32_e32 v20, s18
	ds_read2_b64 v[8:11], v20 offset1:1
	ds_read2_b64 v[12:15], v20 offset0:2 offset1:3
	ds_read2_b64 v[16:19], v20 offset0:4 offset1:5
	;; [unrolled: 1-line block ×3, first 2 shown]
	v_mov_b32_e32 v25, s7
	s_waitcnt lgkmcnt(3)
	v_cmp_gt_i64_e32 vcc, v[2:3], v[8:9]
	v_mov_b32_e32 v27, s7
	v_mov_b32_e32 v29, s7
	v_cndmask_b32_e64 v24, 0, 1, vcc
	v_cmp_gt_i64_e32 vcc, v[2:3], v[10:11]
	v_lshl_add_u64 v[6:7], v[6:7], 0, v[24:25]
	v_mov_b32_e32 v31, s7
	v_cndmask_b32_e64 v26, 0, 1, vcc
	s_waitcnt lgkmcnt(2)
	v_cmp_gt_i64_e32 vcc, v[2:3], v[12:13]
	v_lshl_add_u64 v[6:7], v[6:7], 0, v[26:27]
	v_mov_b32_e32 v33, s7
	v_cndmask_b32_e64 v28, 0, 1, vcc
	v_cmp_gt_i64_e32 vcc, v[2:3], v[14:15]
	v_lshl_add_u64 v[6:7], v[6:7], 0, v[28:29]
	v_mov_b32_e32 v35, s7
	v_cndmask_b32_e64 v30, 0, 1, vcc
	s_waitcnt lgkmcnt(1)
	v_cmp_gt_i64_e32 vcc, v[2:3], v[16:17]
	v_lshl_add_u64 v[6:7], v[6:7], 0, v[30:31]
	v_mov_b32_e32 v37, s7
	v_cndmask_b32_e64 v32, 0, 1, vcc
	v_cmp_gt_i64_e32 vcc, v[2:3], v[18:19]
	v_lshl_add_u64 v[6:7], v[6:7], 0, v[32:33]
	s_add_u32 s16, s16, 8
	v_cndmask_b32_e64 v34, 0, 1, vcc
	s_waitcnt lgkmcnt(0)
	v_cmp_gt_i64_e32 vcc, v[2:3], v[20:21]
	v_lshl_add_u64 v[6:7], v[6:7], 0, v[34:35]
	v_mov_b32_e32 v39, s7
	v_cndmask_b32_e64 v36, 0, 1, vcc
	v_cmp_gt_i64_e32 vcc, v[2:3], v[22:23]
	s_addc_u32 s17, s17, 0
	s_add_i32 s18, s18, 64
	v_cndmask_b32_e64 v38, 0, 1, vcc
	v_lshl_add_u64 v[6:7], v[6:7], 0, v[36:37]
	s_cmp_eq_u64 s[10:11], s[16:17]
	v_lshl_add_u64 v[6:7], v[6:7], 0, v[38:39]
	s_cbranch_scc0 .LBB102_62
; %bb.63:                               ;   in Loop: Header=BB102_60 Depth=1
	s_mov_b64 s[16:17], s[10:11]
.LBB102_64:                             ;   in Loop: Header=BB102_60 Depth=1
	s_and_b64 vcc, exec, s[2:3]
	s_cbranch_vccnz .LBB102_59
; %bb.65:                               ;   in Loop: Header=BB102_60 Depth=1
	s_lshl_b32 s16, s16, 3
	s_add_i32 s18, s16, 0
	s_mov_b64 s[16:17], s[6:7]
.LBB102_66:                             ;   Parent Loop BB102_60 Depth=1
                                        ; =>  This Inner Loop Header: Depth=2
	v_mov_b32_e32 v8, s18
	ds_read_b64 v[10:11], v8
	s_add_i32 s18, s18, 8
	s_add_u32 s16, s16, -1
	v_mov_b32_e32 v9, s7
	s_addc_u32 s17, s17, -1
	s_waitcnt lgkmcnt(0)
	v_cmp_gt_i64_e32 vcc, v[2:3], v[10:11]
	s_cmp_lg_u64 s[16:17], 0
	s_nop 0
	v_cndmask_b32_e64 v8, 0, 1, vcc
	v_lshl_add_u64 v[6:7], v[6:7], 0, v[8:9]
	s_cbranch_scc1 .LBB102_66
	s_branch .LBB102_59
.LBB102_67:
	s_endpgm
	.section	.rodata,"a",@progbits
	.p2align	6, 0x0
	.amdhsa_kernel _ZN9rocsparseL41csrgemm_numeric_fill_block_per_row_kernelILj128ELj16ELj256ELj137ELj32ElldEEvT5_PKS1_S3_NS_24const_host_device_scalarIT6_EEPKT4_S3_PKS5_S9_S3_SB_S6_S9_S3_SB_S9_S3_PS5_21rocsparse_index_base_SD_SD_SD_bbb
		.amdhsa_group_segment_fixed_size 0
		.amdhsa_private_segment_fixed_size 0
		.amdhsa_kernarg_size 156
		.amdhsa_user_sgpr_count 2
		.amdhsa_user_sgpr_dispatch_ptr 0
		.amdhsa_user_sgpr_queue_ptr 0
		.amdhsa_user_sgpr_kernarg_segment_ptr 1
		.amdhsa_user_sgpr_dispatch_id 0
		.amdhsa_user_sgpr_kernarg_preload_length 0
		.amdhsa_user_sgpr_kernarg_preload_offset 0
		.amdhsa_user_sgpr_private_segment_size 0
		.amdhsa_uses_dynamic_stack 0
		.amdhsa_enable_private_segment 0
		.amdhsa_system_sgpr_workgroup_id_x 1
		.amdhsa_system_sgpr_workgroup_id_y 0
		.amdhsa_system_sgpr_workgroup_id_z 0
		.amdhsa_system_sgpr_workgroup_info 0
		.amdhsa_system_vgpr_workitem_id 0
		.amdhsa_next_free_vgpr 40
		.amdhsa_next_free_sgpr 58
		.amdhsa_accum_offset 40
		.amdhsa_reserve_vcc 1
		.amdhsa_float_round_mode_32 0
		.amdhsa_float_round_mode_16_64 0
		.amdhsa_float_denorm_mode_32 3
		.amdhsa_float_denorm_mode_16_64 3
		.amdhsa_dx10_clamp 1
		.amdhsa_ieee_mode 1
		.amdhsa_fp16_overflow 0
		.amdhsa_tg_split 0
		.amdhsa_exception_fp_ieee_invalid_op 0
		.amdhsa_exception_fp_denorm_src 0
		.amdhsa_exception_fp_ieee_div_zero 0
		.amdhsa_exception_fp_ieee_overflow 0
		.amdhsa_exception_fp_ieee_underflow 0
		.amdhsa_exception_fp_ieee_inexact 0
		.amdhsa_exception_int_div_zero 0
	.end_amdhsa_kernel
	.section	.text._ZN9rocsparseL41csrgemm_numeric_fill_block_per_row_kernelILj128ELj16ELj256ELj137ELj32ElldEEvT5_PKS1_S3_NS_24const_host_device_scalarIT6_EEPKT4_S3_PKS5_S9_S3_SB_S6_S9_S3_SB_S9_S3_PS5_21rocsparse_index_base_SD_SD_SD_bbb,"axG",@progbits,_ZN9rocsparseL41csrgemm_numeric_fill_block_per_row_kernelILj128ELj16ELj256ELj137ELj32ElldEEvT5_PKS1_S3_NS_24const_host_device_scalarIT6_EEPKT4_S3_PKS5_S9_S3_SB_S6_S9_S3_SB_S9_S3_PS5_21rocsparse_index_base_SD_SD_SD_bbb,comdat
.Lfunc_end102:
	.size	_ZN9rocsparseL41csrgemm_numeric_fill_block_per_row_kernelILj128ELj16ELj256ELj137ELj32ElldEEvT5_PKS1_S3_NS_24const_host_device_scalarIT6_EEPKT4_S3_PKS5_S9_S3_SB_S6_S9_S3_SB_S9_S3_PS5_21rocsparse_index_base_SD_SD_SD_bbb, .Lfunc_end102-_ZN9rocsparseL41csrgemm_numeric_fill_block_per_row_kernelILj128ELj16ELj256ELj137ELj32ElldEEvT5_PKS1_S3_NS_24const_host_device_scalarIT6_EEPKT4_S3_PKS5_S9_S3_SB_S6_S9_S3_SB_S9_S3_PS5_21rocsparse_index_base_SD_SD_SD_bbb
                                        ; -- End function
	.set _ZN9rocsparseL41csrgemm_numeric_fill_block_per_row_kernelILj128ELj16ELj256ELj137ELj32ElldEEvT5_PKS1_S3_NS_24const_host_device_scalarIT6_EEPKT4_S3_PKS5_S9_S3_SB_S6_S9_S3_SB_S9_S3_PS5_21rocsparse_index_base_SD_SD_SD_bbb.num_vgpr, 40
	.set _ZN9rocsparseL41csrgemm_numeric_fill_block_per_row_kernelILj128ELj16ELj256ELj137ELj32ElldEEvT5_PKS1_S3_NS_24const_host_device_scalarIT6_EEPKT4_S3_PKS5_S9_S3_SB_S6_S9_S3_SB_S9_S3_PS5_21rocsparse_index_base_SD_SD_SD_bbb.num_agpr, 0
	.set _ZN9rocsparseL41csrgemm_numeric_fill_block_per_row_kernelILj128ELj16ELj256ELj137ELj32ElldEEvT5_PKS1_S3_NS_24const_host_device_scalarIT6_EEPKT4_S3_PKS5_S9_S3_SB_S6_S9_S3_SB_S9_S3_PS5_21rocsparse_index_base_SD_SD_SD_bbb.numbered_sgpr, 58
	.set _ZN9rocsparseL41csrgemm_numeric_fill_block_per_row_kernelILj128ELj16ELj256ELj137ELj32ElldEEvT5_PKS1_S3_NS_24const_host_device_scalarIT6_EEPKT4_S3_PKS5_S9_S3_SB_S6_S9_S3_SB_S9_S3_PS5_21rocsparse_index_base_SD_SD_SD_bbb.num_named_barrier, 0
	.set _ZN9rocsparseL41csrgemm_numeric_fill_block_per_row_kernelILj128ELj16ELj256ELj137ELj32ElldEEvT5_PKS1_S3_NS_24const_host_device_scalarIT6_EEPKT4_S3_PKS5_S9_S3_SB_S6_S9_S3_SB_S9_S3_PS5_21rocsparse_index_base_SD_SD_SD_bbb.private_seg_size, 0
	.set _ZN9rocsparseL41csrgemm_numeric_fill_block_per_row_kernelILj128ELj16ELj256ELj137ELj32ElldEEvT5_PKS1_S3_NS_24const_host_device_scalarIT6_EEPKT4_S3_PKS5_S9_S3_SB_S6_S9_S3_SB_S9_S3_PS5_21rocsparse_index_base_SD_SD_SD_bbb.uses_vcc, 1
	.set _ZN9rocsparseL41csrgemm_numeric_fill_block_per_row_kernelILj128ELj16ELj256ELj137ELj32ElldEEvT5_PKS1_S3_NS_24const_host_device_scalarIT6_EEPKT4_S3_PKS5_S9_S3_SB_S6_S9_S3_SB_S9_S3_PS5_21rocsparse_index_base_SD_SD_SD_bbb.uses_flat_scratch, 0
	.set _ZN9rocsparseL41csrgemm_numeric_fill_block_per_row_kernelILj128ELj16ELj256ELj137ELj32ElldEEvT5_PKS1_S3_NS_24const_host_device_scalarIT6_EEPKT4_S3_PKS5_S9_S3_SB_S6_S9_S3_SB_S9_S3_PS5_21rocsparse_index_base_SD_SD_SD_bbb.has_dyn_sized_stack, 0
	.set _ZN9rocsparseL41csrgemm_numeric_fill_block_per_row_kernelILj128ELj16ELj256ELj137ELj32ElldEEvT5_PKS1_S3_NS_24const_host_device_scalarIT6_EEPKT4_S3_PKS5_S9_S3_SB_S6_S9_S3_SB_S9_S3_PS5_21rocsparse_index_base_SD_SD_SD_bbb.has_recursion, 0
	.set _ZN9rocsparseL41csrgemm_numeric_fill_block_per_row_kernelILj128ELj16ELj256ELj137ELj32ElldEEvT5_PKS1_S3_NS_24const_host_device_scalarIT6_EEPKT4_S3_PKS5_S9_S3_SB_S6_S9_S3_SB_S9_S3_PS5_21rocsparse_index_base_SD_SD_SD_bbb.has_indirect_call, 0
	.section	.AMDGPU.csdata,"",@progbits
; Kernel info:
; codeLenInByte = 2556
; TotalNumSgprs: 64
; NumVgprs: 40
; NumAgprs: 0
; TotalNumVgprs: 40
; ScratchSize: 0
; MemoryBound: 0
; FloatMode: 240
; IeeeMode: 1
; LDSByteSize: 0 bytes/workgroup (compile time only)
; SGPRBlocks: 7
; VGPRBlocks: 4
; NumSGPRsForWavesPerEU: 64
; NumVGPRsForWavesPerEU: 40
; AccumOffset: 40
; Occupancy: 8
; WaveLimiterHint : 1
; COMPUTE_PGM_RSRC2:SCRATCH_EN: 0
; COMPUTE_PGM_RSRC2:USER_SGPR: 2
; COMPUTE_PGM_RSRC2:TRAP_HANDLER: 0
; COMPUTE_PGM_RSRC2:TGID_X_EN: 1
; COMPUTE_PGM_RSRC2:TGID_Y_EN: 0
; COMPUTE_PGM_RSRC2:TGID_Z_EN: 0
; COMPUTE_PGM_RSRC2:TIDIG_COMP_CNT: 0
; COMPUTE_PGM_RSRC3_GFX90A:ACCUM_OFFSET: 9
; COMPUTE_PGM_RSRC3_GFX90A:TG_SPLIT: 0
	.section	.text._ZN9rocsparseL41csrgemm_numeric_fill_block_per_row_kernelILj128ELj16ELj256ELj137ELj64ElldEEvT5_PKS1_S3_NS_24const_host_device_scalarIT6_EEPKT4_S3_PKS5_S9_S3_SB_S6_S9_S3_SB_S9_S3_PS5_21rocsparse_index_base_SD_SD_SD_bbb,"axG",@progbits,_ZN9rocsparseL41csrgemm_numeric_fill_block_per_row_kernelILj128ELj16ELj256ELj137ELj64ElldEEvT5_PKS1_S3_NS_24const_host_device_scalarIT6_EEPKT4_S3_PKS5_S9_S3_SB_S6_S9_S3_SB_S9_S3_PS5_21rocsparse_index_base_SD_SD_SD_bbb,comdat
	.globl	_ZN9rocsparseL41csrgemm_numeric_fill_block_per_row_kernelILj128ELj16ELj256ELj137ELj64ElldEEvT5_PKS1_S3_NS_24const_host_device_scalarIT6_EEPKT4_S3_PKS5_S9_S3_SB_S6_S9_S3_SB_S9_S3_PS5_21rocsparse_index_base_SD_SD_SD_bbb ; -- Begin function _ZN9rocsparseL41csrgemm_numeric_fill_block_per_row_kernelILj128ELj16ELj256ELj137ELj64ElldEEvT5_PKS1_S3_NS_24const_host_device_scalarIT6_EEPKT4_S3_PKS5_S9_S3_SB_S6_S9_S3_SB_S9_S3_PS5_21rocsparse_index_base_SD_SD_SD_bbb
	.p2align	8
	.type	_ZN9rocsparseL41csrgemm_numeric_fill_block_per_row_kernelILj128ELj16ELj256ELj137ELj64ElldEEvT5_PKS1_S3_NS_24const_host_device_scalarIT6_EEPKT4_S3_PKS5_S9_S3_SB_S6_S9_S3_SB_S9_S3_PS5_21rocsparse_index_base_SD_SD_SD_bbb,@function
_ZN9rocsparseL41csrgemm_numeric_fill_block_per_row_kernelILj128ELj16ELj256ELj137ELj64ElldEEvT5_PKS1_S3_NS_24const_host_device_scalarIT6_EEPKT4_S3_PKS5_S9_S3_SB_S6_S9_S3_SB_S9_S3_PS5_21rocsparse_index_base_SD_SD_SD_bbb: ; @_ZN9rocsparseL41csrgemm_numeric_fill_block_per_row_kernelILj128ELj16ELj256ELj137ELj64ElldEEvT5_PKS1_S3_NS_24const_host_device_scalarIT6_EEPKT4_S3_PKS5_S9_S3_SB_S6_S9_S3_SB_S9_S3_PS5_21rocsparse_index_base_SD_SD_SD_bbb
; %bb.0:
	s_load_dword s3, s[0:1], 0x98
	s_load_dwordx2 s[6:7], s[0:1], 0x18
	s_load_dwordx2 s[4:5], s[0:1], 0x50
	s_waitcnt lgkmcnt(0)
	s_bitcmp1_b32 s3, 0
	s_cselect_b64 s[40:41], -1, 0
	s_bitcmp1_b32 s3, 16
	s_cselect_b64 s[8:9], -1, 0
	s_xor_b64 s[10:11], s[40:41], -1
	s_or_b64 s[10:11], s[8:9], s[10:11]
	s_and_b64 s[12:13], s[40:41], exec
	s_cselect_b32 s13, s7, 0
	s_cselect_b32 s12, s6, 0
	s_and_b64 vcc, exec, s[10:11]
	v_mov_b64_e32 v[4:5], s[12:13]
	s_cbranch_vccnz .LBB103_2
; %bb.1:
	v_mov_b64_e32 v[2:3], s[6:7]
	flat_load_dwordx2 v[4:5], v[2:3]
.LBB103_2:
	s_bitcmp1_b32 s3, 8
	s_cselect_b64 s[36:37], -1, 0
	s_load_dwordx4 s[16:19], s[0:1], 0x88
	s_xor_b64 s[6:7], s[36:37], -1
	s_or_b64 s[6:7], s[8:9], s[6:7]
	s_and_b64 s[8:9], s[36:37], exec
	s_cselect_b32 s9, s5, 0
	s_cselect_b32 s8, s4, 0
	s_and_b64 vcc, exec, s[6:7]
	v_mov_b64_e32 v[2:3], s[8:9]
	s_cbranch_vccnz .LBB103_4
; %bb.3:
	v_mov_b64_e32 v[2:3], s[4:5]
	flat_load_dwordx2 v[2:3], v[2:3]
.LBB103_4:
	s_load_dwordx2 s[6:7], s[0:1], 0x80
	s_load_dwordx2 s[34:35], s[0:1], 0x70
	;; [unrolled: 1-line block ×3, first 2 shown]
	s_load_dwordx4 s[20:23], s[0:1], 0x0
	s_load_dwordx2 s[42:43], s[0:1], 0x10
	s_load_dwordx8 s[8:15], s[0:1], 0x20
	s_movk_i32 s3, 0x100
	v_cmp_gt_u32_e64 s[4:5], s3, v0
	v_lshl_add_u32 v1, v0, 3, 0
	s_and_saveexec_b64 s[24:25], s[4:5]
	s_cbranch_execz .LBB103_7
; %bb.5:
	v_mov_b32_e32 v6, 0
	v_or_b32_e32 v10, 0xffffff80, v0
	v_lshl_add_u32 v11, v0, 3, 0
	s_mov_b64 s[26:27], 0
	s_waitcnt lgkmcnt(0)
	v_mov_b64_e32 v[8:9], s[20:21]
	v_mov_b32_e32 v7, v6
.LBB103_6:                              ; =>This Inner Loop Header: Depth=1
	v_add_co_u32_e32 v10, vcc, 0x80, v10
	s_xor_b64 s[28:29], vcc, -1
	s_and_b64 s[28:29], exec, s[28:29]
	ds_write2st64_b64 v11, v[8:9], v[6:7] offset1:4
	s_or_b64 s[26:27], s[28:29], s[26:27]
	v_add_u32_e32 v11, 0x400, v11
	s_andn2_b64 exec, exec, s[26:27]
	s_cbranch_execnz .LBB103_6
.LBB103_7:
	s_or_b64 exec, exec, s[24:25]
	s_load_dwordx4 s[24:27], s[0:1], 0x60
	s_load_dwordx4 s[28:31], s[0:1], 0x40
	s_waitcnt lgkmcnt(0)
	s_barrier
	s_load_dwordx2 s[0:1], s[22:23], 0x0
	s_mov_b32 s3, 0
	s_waitcnt lgkmcnt(0)
	s_lshl_b64 s[0:1], s[0:1], 3
	s_add_u32 s22, s42, s0
	s_addc_u32 s23, s43, s1
	s_lshl_b64 s[0:1], s[2:3], 3
	s_add_u32 s0, s22, s0
	s_addc_u32 s1, s23, s1
	s_load_dwordx2 s[22:23], s[0:1], 0x0
	s_and_b64 vcc, exec, s[40:41]
	s_cbranch_vccz .LBB103_27
; %bb.8:
	s_waitcnt lgkmcnt(0)
	s_lshl_b64 s[0:1], s[22:23], 3
	s_add_u32 s0, s8, s0
	s_addc_u32 s1, s9, s1
	s_load_dwordx4 s[40:43], s[0:1], 0x0
	v_lshrrev_b32_e32 v6, 4, v0
	v_subrev_co_u32_e32 v6, vcc, s16, v6
	s_waitcnt lgkmcnt(0)
	s_sub_u32 s0, s42, s16
	v_subb_co_u32_e64 v7, s[2:3], 0, 0, vcc
	s_subb_u32 s1, s43, 0
	v_lshl_add_u64 v[6:7], s[40:41], 0, v[6:7]
	v_cmp_gt_i64_e32 vcc, s[0:1], v[6:7]
	s_and_saveexec_b64 s[2:3], vcc
	s_cbranch_execz .LBB103_26
; %bb.9:
	v_and_b32_e32 v8, 15, v0
	v_subrev_co_u32_e32 v8, vcc, s17, v8
	s_mov_b32 s33, s17
	s_nop 0
	v_subb_co_u32_e64 v9, s[8:9], 0, 0, vcc
	s_mov_b64 s[8:9], 0
	s_movk_i32 s17, 0x89
	s_branch .LBB103_11
.LBB103_10:                             ;   in Loop: Header=BB103_11 Depth=1
	s_or_b64 exec, exec, s[40:41]
	v_lshl_add_u64 v[6:7], v[6:7], 0, 8
	v_cmp_le_i64_e32 vcc, s[0:1], v[6:7]
	s_or_b64 s[8:9], vcc, s[8:9]
	s_andn2_b64 exec, exec, s[8:9]
	s_cbranch_execz .LBB103_26
.LBB103_11:                             ; =>This Loop Header: Depth=1
                                        ;     Child Loop BB103_15 Depth 2
                                        ;       Child Loop BB103_18 Depth 3
	v_lshl_add_u64 v[10:11], v[6:7], 3, s[10:11]
	global_load_dwordx2 v[10:11], v[10:11], off
	s_waitcnt vmcnt(0)
	v_subrev_co_u32_e32 v10, vcc, s16, v10
	s_nop 1
	v_subbrev_co_u32_e32 v11, vcc, 0, v11, vcc
	v_lshl_add_u64 v[10:11], v[10:11], 3, s[14:15]
	global_load_dwordx4 v[12:15], v[10:11], off
	s_waitcnt vmcnt(0)
	v_subrev_co_u32_e32 v10, vcc, s33, v14
	s_nop 1
	v_subbrev_co_u32_e32 v11, vcc, 0, v15, vcc
	v_lshl_add_u64 v[12:13], v[12:13], 0, v[8:9]
	v_cmp_lt_i64_e32 vcc, v[12:13], v[10:11]
	s_and_saveexec_b64 s[40:41], vcc
	s_cbranch_execz .LBB103_10
; %bb.12:                               ;   in Loop: Header=BB103_11 Depth=1
	v_lshl_add_u64 v[14:15], v[6:7], 3, s[12:13]
	global_load_dwordx2 v[14:15], v[14:15], off
	s_mov_b64 s[42:43], 0
	s_waitcnt vmcnt(0)
	v_mul_f64 v[14:15], v[4:5], v[14:15]
	s_branch .LBB103_15
.LBB103_13:                             ;   in Loop: Header=BB103_15 Depth=2
	s_or_b64 exec, exec, s[46:47]
.LBB103_14:                             ;   in Loop: Header=BB103_15 Depth=2
	s_or_b64 exec, exec, s[44:45]
	s_waitcnt vmcnt(0)
	v_mul_f64 v[16:17], v[14:15], v[16:17]
	v_lshl_add_u32 v18, v20, 3, 0
	ds_add_f64 v18, v[16:17] offset:2048
	v_lshl_add_u64 v[12:13], v[12:13], 0, 16
	v_cmp_ge_i64_e32 vcc, v[12:13], v[10:11]
	s_or_b64 s[42:43], vcc, s[42:43]
	s_andn2_b64 exec, exec, s[42:43]
	s_cbranch_execz .LBB103_10
.LBB103_15:                             ;   Parent Loop BB103_11 Depth=1
                                        ; =>  This Loop Header: Depth=2
                                        ;       Child Loop BB103_18 Depth 3
	v_lshlrev_b64 v[16:17], 3, v[12:13]
	v_lshl_add_u64 v[18:19], s[28:29], 0, v[16:17]
	global_load_dwordx2 v[18:19], v[18:19], off
	v_lshl_add_u64 v[16:17], s[30:31], 0, v[16:17]
	global_load_dwordx2 v[16:17], v[16:17], off
	s_waitcnt vmcnt(1)
	v_subrev_co_u32_e32 v18, vcc, s33, v18
	v_mul_lo_u32 v20, v18, s17
	v_and_b32_e32 v20, 0xff, v20
	v_lshl_add_u32 v26, v20, 3, 0
	ds_read_b64 v[24:25], v26
	v_subbrev_co_u32_e32 v19, vcc, 0, v19, vcc
	s_waitcnt lgkmcnt(0)
	v_cmp_ne_u64_e32 vcc, v[24:25], v[18:19]
	s_and_saveexec_b64 s[44:45], vcc
	s_cbranch_execz .LBB103_14
; %bb.16:                               ;   in Loop: Header=BB103_15 Depth=2
	s_mov_b64 s[46:47], 0
                                        ; implicit-def: $sgpr48_sgpr49
                                        ; implicit-def: $sgpr50_sgpr51
	s_branch .LBB103_18
.LBB103_17:                             ;   in Loop: Header=BB103_18 Depth=3
	s_or_b64 exec, exec, s[56:57]
	s_and_b64 s[52:53], exec, s[54:55]
	s_or_b64 s[46:47], s[52:53], s[46:47]
	s_andn2_b64 s[48:49], s[48:49], exec
	s_and_b64 s[52:53], s[50:51], exec
	s_or_b64 s[48:49], s[48:49], s[52:53]
	s_andn2_b64 exec, exec, s[46:47]
	s_cbranch_execz .LBB103_24
.LBB103_18:                             ;   Parent Loop BB103_11 Depth=1
                                        ;     Parent Loop BB103_15 Depth=2
                                        ; =>    This Inner Loop Header: Depth=3
	v_mov_b64_e32 v[22:23], v[20:21]
	v_cmp_ne_u64_e32 vcc, s[20:21], v[24:25]
	s_mov_b64 s[52:53], 0
                                        ; implicit-def: $vgpr20_vgpr21
	s_and_saveexec_b64 s[54:55], vcc
	s_xor_b64 s[54:55], exec, s[54:55]
; %bb.19:                               ;   in Loop: Header=BB103_18 Depth=3
	v_add_u32_e32 v20, 1, v22
	s_mov_b64 s[52:53], exec
	v_and_b32_e32 v20, 0xff, v20
                                        ; implicit-def: $vgpr26
; %bb.20:                               ;   in Loop: Header=BB103_18 Depth=3
	s_andn2_saveexec_b64 s[54:55], s[54:55]
	s_cbranch_execz .LBB103_22
; %bb.21:                               ;   in Loop: Header=BB103_18 Depth=3
	v_mov_b64_e32 v[20:21], s[20:21]
	ds_cmpst_rtn_b64 v[20:21], v26, v[20:21], v[18:19]
	s_andn2_b64 s[52:53], s[52:53], exec
	s_waitcnt lgkmcnt(0)
	v_cmp_ne_u64_e32 vcc, s[20:21], v[20:21]
	s_and_b64 s[56:57], vcc, exec
	s_or_b64 s[52:53], s[52:53], s[56:57]
	v_mov_b64_e32 v[20:21], v[22:23]
.LBB103_22:                             ;   in Loop: Header=BB103_18 Depth=3
	s_or_b64 exec, exec, s[54:55]
	s_mov_b64 s[54:55], -1
	s_or_b64 s[50:51], s[50:51], exec
                                        ; implicit-def: $vgpr26
                                        ; implicit-def: $vgpr24_vgpr25
	s_and_saveexec_b64 s[56:57], s[52:53]
	s_cbranch_execz .LBB103_17
; %bb.23:                               ;   in Loop: Header=BB103_18 Depth=3
	v_lshl_add_u32 v26, v20, 3, 0
	ds_read_b64 v[24:25], v26
	s_andn2_b64 s[50:51], s[50:51], exec
	s_waitcnt lgkmcnt(0)
	v_cmp_eq_u64_e32 vcc, v[24:25], v[18:19]
	s_orn2_b64 s[54:55], vcc, exec
	s_branch .LBB103_17
.LBB103_24:                             ;   in Loop: Header=BB103_15 Depth=2
	s_or_b64 exec, exec, s[46:47]
	s_and_saveexec_b64 s[46:47], s[48:49]
	s_xor_b64 s[46:47], exec, s[46:47]
	s_cbranch_execz .LBB103_13
; %bb.25:                               ;   in Loop: Header=BB103_15 Depth=2
	v_mov_b32_e32 v20, v22
	s_branch .LBB103_13
.LBB103_26:
	s_or_b64 exec, exec, s[2:3]
.LBB103_27:
	s_andn2_b64 vcc, exec, s[36:37]
	s_cbranch_vccnz .LBB103_44
; %bb.28:
	s_waitcnt lgkmcnt(0)
	s_lshl_b64 s[0:1], s[22:23], 3
	s_add_u32 s0, s38, s0
	s_addc_u32 s1, s39, s1
	s_load_dwordx4 s[8:11], s[0:1], 0x0
	s_waitcnt vmcnt(0)
	v_subrev_co_u32_e32 v4, vcc, s19, v0
	s_waitcnt lgkmcnt(0)
	s_sub_u32 s0, s10, s19
	v_subb_co_u32_e64 v5, s[2:3], 0, 0, vcc
	s_subb_u32 s1, s11, 0
	v_lshl_add_u64 v[4:5], s[8:9], 0, v[4:5]
	v_cmp_gt_i64_e32 vcc, s[0:1], v[4:5]
	s_and_saveexec_b64 s[2:3], vcc
	s_cbranch_execz .LBB103_43
; %bb.29:
	s_mov_b32 s33, s19
	s_mov_b64 s[8:9], 0
	s_movk_i32 s19, 0x89
	s_mov_b64 s[10:11], 0x80
	s_branch .LBB103_32
.LBB103_30:                             ;   in Loop: Header=BB103_32 Depth=1
	s_or_b64 exec, exec, s[14:15]
.LBB103_31:                             ;   in Loop: Header=BB103_32 Depth=1
	s_or_b64 exec, exec, s[12:13]
	s_waitcnt vmcnt(0)
	v_mul_f64 v[6:7], v[2:3], v[6:7]
	v_lshl_add_u32 v8, v10, 3, 0
	ds_add_f64 v8, v[6:7] offset:2048
	v_lshl_add_u64 v[4:5], v[4:5], 0, s[10:11]
	v_cmp_le_i64_e32 vcc, s[0:1], v[4:5]
	s_or_b64 s[8:9], vcc, s[8:9]
	s_andn2_b64 exec, exec, s[8:9]
	s_cbranch_execz .LBB103_43
.LBB103_32:                             ; =>This Loop Header: Depth=1
                                        ;     Child Loop BB103_35 Depth 2
	v_lshlrev_b64 v[6:7], 3, v[4:5]
	v_lshl_add_u64 v[8:9], s[24:25], 0, v[6:7]
	global_load_dwordx2 v[8:9], v[8:9], off
	v_lshl_add_u64 v[6:7], s[26:27], 0, v[6:7]
	global_load_dwordx2 v[6:7], v[6:7], off
	s_waitcnt vmcnt(1)
	v_subrev_co_u32_e32 v8, vcc, s33, v8
	v_mul_lo_u32 v10, v8, s19
	v_and_b32_e32 v10, 0xff, v10
	v_lshl_add_u32 v16, v10, 3, 0
	ds_read_b64 v[14:15], v16
	v_subbrev_co_u32_e32 v9, vcc, 0, v9, vcc
	s_waitcnt lgkmcnt(0)
	v_cmp_ne_u64_e32 vcc, v[14:15], v[8:9]
	s_and_saveexec_b64 s[12:13], vcc
	s_cbranch_execz .LBB103_31
; %bb.33:                               ;   in Loop: Header=BB103_32 Depth=1
	s_mov_b64 s[14:15], 0
                                        ; implicit-def: $sgpr16_sgpr17
                                        ; implicit-def: $sgpr28_sgpr29
	s_branch .LBB103_35
.LBB103_34:                             ;   in Loop: Header=BB103_35 Depth=2
	s_or_b64 exec, exec, s[38:39]
	s_and_b64 s[30:31], exec, s[36:37]
	s_or_b64 s[14:15], s[30:31], s[14:15]
	s_andn2_b64 s[16:17], s[16:17], exec
	s_and_b64 s[30:31], s[28:29], exec
	s_or_b64 s[16:17], s[16:17], s[30:31]
	s_andn2_b64 exec, exec, s[14:15]
	s_cbranch_execz .LBB103_41
.LBB103_35:                             ;   Parent Loop BB103_32 Depth=1
                                        ; =>  This Inner Loop Header: Depth=2
	v_mov_b64_e32 v[12:13], v[10:11]
	v_cmp_ne_u64_e32 vcc, s[20:21], v[14:15]
	s_mov_b64 s[30:31], 0
                                        ; implicit-def: $vgpr10_vgpr11
	s_and_saveexec_b64 s[36:37], vcc
	s_xor_b64 s[36:37], exec, s[36:37]
; %bb.36:                               ;   in Loop: Header=BB103_35 Depth=2
	v_add_u32_e32 v10, 1, v12
	s_mov_b64 s[30:31], exec
	v_and_b32_e32 v10, 0xff, v10
                                        ; implicit-def: $vgpr16
; %bb.37:                               ;   in Loop: Header=BB103_35 Depth=2
	s_andn2_saveexec_b64 s[36:37], s[36:37]
	s_cbranch_execz .LBB103_39
; %bb.38:                               ;   in Loop: Header=BB103_35 Depth=2
	v_mov_b64_e32 v[10:11], s[20:21]
	ds_cmpst_rtn_b64 v[10:11], v16, v[10:11], v[8:9]
	s_andn2_b64 s[30:31], s[30:31], exec
	s_waitcnt lgkmcnt(0)
	v_cmp_ne_u64_e32 vcc, s[20:21], v[10:11]
	s_and_b64 s[38:39], vcc, exec
	s_or_b64 s[30:31], s[30:31], s[38:39]
	v_mov_b64_e32 v[10:11], v[12:13]
.LBB103_39:                             ;   in Loop: Header=BB103_35 Depth=2
	s_or_b64 exec, exec, s[36:37]
	s_mov_b64 s[36:37], -1
	s_or_b64 s[28:29], s[28:29], exec
                                        ; implicit-def: $vgpr16
                                        ; implicit-def: $vgpr14_vgpr15
	s_and_saveexec_b64 s[38:39], s[30:31]
	s_cbranch_execz .LBB103_34
; %bb.40:                               ;   in Loop: Header=BB103_35 Depth=2
	v_lshl_add_u32 v16, v10, 3, 0
	ds_read_b64 v[14:15], v16
	s_andn2_b64 s[28:29], s[28:29], exec
	s_waitcnt lgkmcnt(0)
	v_cmp_eq_u64_e32 vcc, v[14:15], v[8:9]
	s_orn2_b64 s[36:37], vcc, exec
	s_branch .LBB103_34
.LBB103_41:                             ;   in Loop: Header=BB103_32 Depth=1
	s_or_b64 exec, exec, s[14:15]
	s_and_saveexec_b64 s[14:15], s[16:17]
	s_xor_b64 s[14:15], exec, s[14:15]
	s_cbranch_execz .LBB103_30
; %bb.42:                               ;   in Loop: Header=BB103_32 Depth=1
	v_mov_b32_e32 v10, v12
	s_branch .LBB103_30
.LBB103_43:
	s_or_b64 exec, exec, s[2:3]
.LBB103_44:
	s_waitcnt lgkmcnt(0)
	s_barrier
	s_and_saveexec_b64 s[8:9], s[4:5]
	s_cbranch_execz .LBB103_53
; %bb.45:
	s_waitcnt vmcnt(0)
	v_mbcnt_lo_u32_b32 v2, -1, 0
	v_mbcnt_hi_u32_b32 v2, -1, v2
	v_sub_u32_e32 v2, 63, v2
	v_lshrrev_b64 v[8:9], v2, -1
	v_lshrrev_b32_e32 v2, 3, v0
	v_and_b32_e32 v2, 8, v2
	s_movk_i32 s2, 0x7f
	v_mov_b32_e32 v7, 0
	v_add_u32_e32 v14, 0, v2
	v_cmp_lt_u32_e64 s[0:1], 63, v0
	v_cmp_eq_u32_e64 s[2:3], s2, v0
	v_or_b32_e32 v15, 0xffffff80, v0
	s_mov_b64 s[4:5], 0
	v_mov_b64_e32 v[10:11], 0
	s_branch .LBB103_47
.LBB103_46:                             ;   in Loop: Header=BB103_47 Depth=1
	s_or_b64 exec, exec, s[10:11]
	s_waitcnt lgkmcnt(0)
	s_barrier
	ds_read_b64 v[2:3], v7 offset:4104
	v_add_co_u32_e32 v15, vcc, 0x80, v15
	s_xor_b64 s[10:11], vcc, -1
	s_and_b64 s[10:11], exec, s[10:11]
	s_waitcnt lgkmcnt(0)
	v_lshl_add_u64 v[10:11], v[2:3], 0, v[10:11]
	s_or_b64 s[4:5], s[10:11], s[4:5]
	v_add_u32_e32 v1, 0x400, v1
	s_andn2_b64 exec, exec, s[4:5]
	s_cbranch_execz .LBB103_53
.LBB103_47:                             ; =>This Inner Loop Header: Depth=1
	ds_read2st64_b64 v[2:5], v1 offset1:4
	v_mov_b32_e32 v17, v7
	s_waitcnt lgkmcnt(0)
	s_barrier
	v_cmp_gt_i64_e32 vcc, s[20:21], v[2:3]
	s_bcnt1_i32_b64 s10, vcc
	v_mov_b32_e32 v16, s10
	v_and_b32_e32 v12, vcc_lo, v8
	v_and_b32_e32 v6, vcc_hi, v9
	v_bcnt_u32_b32 v12, v12, 0
	v_bcnt_u32_b32 v6, v6, v12
	v_mov_b64_e32 v[12:13], v[6:7]
	ds_write_b64 v14, v[16:17] offset:4096
	s_waitcnt lgkmcnt(0)
	s_barrier
	s_and_saveexec_b64 s[10:11], s[0:1]
	s_cbranch_execnz .LBB103_50
; %bb.48:                               ;   in Loop: Header=BB103_47 Depth=1
	s_or_b64 exec, exec, s[10:11]
	s_and_saveexec_b64 s[10:11], vcc
	s_cbranch_execnz .LBB103_51
.LBB103_49:                             ;   in Loop: Header=BB103_47 Depth=1
	s_or_b64 exec, exec, s[10:11]
	s_and_saveexec_b64 s[10:11], s[2:3]
	s_cbranch_execz .LBB103_46
	s_branch .LBB103_52
.LBB103_50:                             ;   in Loop: Header=BB103_47 Depth=1
	ds_read_b64 v[12:13], v7 offset:4096
	s_waitcnt lgkmcnt(0)
	v_lshl_add_u64 v[12:13], v[12:13], 0, v[6:7]
	s_or_b64 exec, exec, s[10:11]
	s_and_saveexec_b64 s[10:11], vcc
	s_cbranch_execz .LBB103_49
.LBB103_51:                             ;   in Loop: Header=BB103_47 Depth=1
	v_add3_u32 v6, v10, -1, v12
	v_lshl_add_u32 v6, v6, 3, 0
	v_add_u32_e32 v13, v10, v12
	v_lshl_add_u32 v13, v13, 3, 0
	ds_write_b64 v6, v[2:3]
	ds_write_b64 v13, v[4:5] offset:2040
	s_or_b64 exec, exec, s[10:11]
	s_and_saveexec_b64 s[10:11], s[2:3]
	s_cbranch_execz .LBB103_46
.LBB103_52:                             ;   in Loop: Header=BB103_47 Depth=1
	v_ashrrev_i32_e32 v13, 31, v12
	ds_write_b64 v7, v[12:13] offset:4104
	s_branch .LBB103_46
.LBB103_53:
	s_or_b64 exec, exec, s[8:9]
	s_lshl_b64 s[0:1], s[22:23], 3
	s_add_u32 s4, s34, s0
	s_addc_u32 s5, s35, s1
	s_load_dwordx4 s[0:3], s[4:5], 0x0
	v_mov_b32_e32 v1, 0
	s_waitcnt lgkmcnt(0)
	s_sub_u32 s4, s2, s0
	s_subb_u32 s5, s3, s1
	v_cmp_gt_i64_e32 vcc, s[4:5], v[0:1]
	s_and_saveexec_b64 s[8:9], vcc
	s_cbranch_execz .LBB103_63
; %bb.54:
	s_sub_u32 s10, s0, s18
	s_subb_u32 s11, s1, 0
	s_and_b32 s8, s4, 7
	s_sub_u32 s0, s0, s2
	s_mov_b32 s9, 0
	s_subb_u32 s1, s1, s3
	s_and_b32 s12, s4, -8
	s_cmp_lg_u64 s[8:9], 0
	v_cmp_lt_u64_e64 s[0:1], s[0:1], -7
	s_cselect_b64 s[2:3], -1, 0
	s_mov_b32 s13, s5
	s_waitcnt vmcnt(0)
	v_cndmask_b32_e64 v2, 0, 1, s[0:1]
	v_cmp_ne_u32_e64 s[0:1], 1, v2
	v_cndmask_b32_e64 v2, 0, 1, s[2:3]
	s_mov_b64 s[14:15], 0
	v_cmp_ne_u32_e64 s[2:3], 1, v2
	s_mov_b64 s[16:17], 0x80
	s_branch .LBB103_56
.LBB103_55:                             ;   in Loop: Header=BB103_56 Depth=1
	v_lshl_add_u64 v[0:1], v[0:1], 0, s[16:17]
	v_cmp_le_i64_e32 vcc, s[4:5], v[0:1]
	s_waitcnt lgkmcnt(0)
	v_lshl_add_u64 v[2:3], v[6:7], 3, s[6:7]
	s_or_b64 s[14:15], vcc, s[14:15]
	global_store_dwordx2 v[2:3], v[4:5], off
	s_andn2_b64 exec, exec, s[14:15]
	s_cbranch_execz .LBB103_63
.LBB103_56:                             ; =>This Loop Header: Depth=1
                                        ;     Child Loop BB103_58 Depth 2
                                        ;     Child Loop BB103_62 Depth 2
	v_lshl_add_u32 v2, v0, 3, 0
	ds_read2st64_b64 v[2:5], v2 offset1:4
	s_and_b64 vcc, exec, s[0:1]
	v_mov_b64_e32 v[6:7], s[10:11]
	s_mov_b64 s[18:19], 0
	s_cbranch_vccnz .LBB103_60
; %bb.57:                               ;   in Loop: Header=BB103_56 Depth=1
	s_mov_b32 s20, 0
	v_mov_b64_e32 v[6:7], s[10:11]
.LBB103_58:                             ;   Parent Loop BB103_56 Depth=1
                                        ; =>  This Inner Loop Header: Depth=2
	v_mov_b32_e32 v20, s20
	ds_read2_b64 v[8:11], v20 offset1:1
	ds_read2_b64 v[12:15], v20 offset0:2 offset1:3
	ds_read2_b64 v[16:19], v20 offset0:4 offset1:5
	;; [unrolled: 1-line block ×3, first 2 shown]
	v_mov_b32_e32 v25, s9
	s_waitcnt lgkmcnt(3)
	v_cmp_gt_i64_e32 vcc, v[2:3], v[8:9]
	v_mov_b32_e32 v27, s9
	v_mov_b32_e32 v29, s9
	v_cndmask_b32_e64 v24, 0, 1, vcc
	v_cmp_gt_i64_e32 vcc, v[2:3], v[10:11]
	v_lshl_add_u64 v[6:7], v[6:7], 0, v[24:25]
	v_mov_b32_e32 v31, s9
	v_cndmask_b32_e64 v26, 0, 1, vcc
	s_waitcnt lgkmcnt(2)
	v_cmp_gt_i64_e32 vcc, v[2:3], v[12:13]
	v_lshl_add_u64 v[6:7], v[6:7], 0, v[26:27]
	v_mov_b32_e32 v33, s9
	v_cndmask_b32_e64 v28, 0, 1, vcc
	v_cmp_gt_i64_e32 vcc, v[2:3], v[14:15]
	v_lshl_add_u64 v[6:7], v[6:7], 0, v[28:29]
	v_mov_b32_e32 v35, s9
	v_cndmask_b32_e64 v30, 0, 1, vcc
	s_waitcnt lgkmcnt(1)
	v_cmp_gt_i64_e32 vcc, v[2:3], v[16:17]
	v_lshl_add_u64 v[6:7], v[6:7], 0, v[30:31]
	v_mov_b32_e32 v37, s9
	v_cndmask_b32_e64 v32, 0, 1, vcc
	v_cmp_gt_i64_e32 vcc, v[2:3], v[18:19]
	v_lshl_add_u64 v[6:7], v[6:7], 0, v[32:33]
	s_add_u32 s18, s18, 8
	v_cndmask_b32_e64 v34, 0, 1, vcc
	s_waitcnt lgkmcnt(0)
	v_cmp_gt_i64_e32 vcc, v[2:3], v[20:21]
	v_lshl_add_u64 v[6:7], v[6:7], 0, v[34:35]
	v_mov_b32_e32 v39, s9
	v_cndmask_b32_e64 v36, 0, 1, vcc
	v_cmp_gt_i64_e32 vcc, v[2:3], v[22:23]
	s_addc_u32 s19, s19, 0
	s_add_i32 s20, s20, 64
	v_cndmask_b32_e64 v38, 0, 1, vcc
	v_lshl_add_u64 v[6:7], v[6:7], 0, v[36:37]
	s_cmp_eq_u64 s[12:13], s[18:19]
	v_lshl_add_u64 v[6:7], v[6:7], 0, v[38:39]
	s_cbranch_scc0 .LBB103_58
; %bb.59:                               ;   in Loop: Header=BB103_56 Depth=1
	s_mov_b64 s[18:19], s[12:13]
.LBB103_60:                             ;   in Loop: Header=BB103_56 Depth=1
	s_and_b64 vcc, exec, s[2:3]
	s_cbranch_vccnz .LBB103_55
; %bb.61:                               ;   in Loop: Header=BB103_56 Depth=1
	s_lshl_b32 s18, s18, 3
	s_add_i32 s20, s18, 0
	s_mov_b64 s[18:19], s[8:9]
.LBB103_62:                             ;   Parent Loop BB103_56 Depth=1
                                        ; =>  This Inner Loop Header: Depth=2
	v_mov_b32_e32 v8, s20
	ds_read_b64 v[10:11], v8
	s_add_i32 s20, s20, 8
	s_add_u32 s18, s18, -1
	v_mov_b32_e32 v9, s9
	s_addc_u32 s19, s19, -1
	s_waitcnt lgkmcnt(0)
	v_cmp_gt_i64_e32 vcc, v[2:3], v[10:11]
	s_cmp_lg_u64 s[18:19], 0
	s_nop 0
	v_cndmask_b32_e64 v8, 0, 1, vcc
	v_lshl_add_u64 v[6:7], v[6:7], 0, v[8:9]
	s_cbranch_scc1 .LBB103_62
	s_branch .LBB103_55
.LBB103_63:
	s_endpgm
	.section	.rodata,"a",@progbits
	.p2align	6, 0x0
	.amdhsa_kernel _ZN9rocsparseL41csrgemm_numeric_fill_block_per_row_kernelILj128ELj16ELj256ELj137ELj64ElldEEvT5_PKS1_S3_NS_24const_host_device_scalarIT6_EEPKT4_S3_PKS5_S9_S3_SB_S6_S9_S3_SB_S9_S3_PS5_21rocsparse_index_base_SD_SD_SD_bbb
		.amdhsa_group_segment_fixed_size 0
		.amdhsa_private_segment_fixed_size 0
		.amdhsa_kernarg_size 156
		.amdhsa_user_sgpr_count 2
		.amdhsa_user_sgpr_dispatch_ptr 0
		.amdhsa_user_sgpr_queue_ptr 0
		.amdhsa_user_sgpr_kernarg_segment_ptr 1
		.amdhsa_user_sgpr_dispatch_id 0
		.amdhsa_user_sgpr_kernarg_preload_length 0
		.amdhsa_user_sgpr_kernarg_preload_offset 0
		.amdhsa_user_sgpr_private_segment_size 0
		.amdhsa_uses_dynamic_stack 0
		.amdhsa_enable_private_segment 0
		.amdhsa_system_sgpr_workgroup_id_x 1
		.amdhsa_system_sgpr_workgroup_id_y 0
		.amdhsa_system_sgpr_workgroup_id_z 0
		.amdhsa_system_sgpr_workgroup_info 0
		.amdhsa_system_vgpr_workitem_id 0
		.amdhsa_next_free_vgpr 40
		.amdhsa_next_free_sgpr 58
		.amdhsa_accum_offset 40
		.amdhsa_reserve_vcc 1
		.amdhsa_float_round_mode_32 0
		.amdhsa_float_round_mode_16_64 0
		.amdhsa_float_denorm_mode_32 3
		.amdhsa_float_denorm_mode_16_64 3
		.amdhsa_dx10_clamp 1
		.amdhsa_ieee_mode 1
		.amdhsa_fp16_overflow 0
		.amdhsa_tg_split 0
		.amdhsa_exception_fp_ieee_invalid_op 0
		.amdhsa_exception_fp_denorm_src 0
		.amdhsa_exception_fp_ieee_div_zero 0
		.amdhsa_exception_fp_ieee_overflow 0
		.amdhsa_exception_fp_ieee_underflow 0
		.amdhsa_exception_fp_ieee_inexact 0
		.amdhsa_exception_int_div_zero 0
	.end_amdhsa_kernel
	.section	.text._ZN9rocsparseL41csrgemm_numeric_fill_block_per_row_kernelILj128ELj16ELj256ELj137ELj64ElldEEvT5_PKS1_S3_NS_24const_host_device_scalarIT6_EEPKT4_S3_PKS5_S9_S3_SB_S6_S9_S3_SB_S9_S3_PS5_21rocsparse_index_base_SD_SD_SD_bbb,"axG",@progbits,_ZN9rocsparseL41csrgemm_numeric_fill_block_per_row_kernelILj128ELj16ELj256ELj137ELj64ElldEEvT5_PKS1_S3_NS_24const_host_device_scalarIT6_EEPKT4_S3_PKS5_S9_S3_SB_S6_S9_S3_SB_S9_S3_PS5_21rocsparse_index_base_SD_SD_SD_bbb,comdat
.Lfunc_end103:
	.size	_ZN9rocsparseL41csrgemm_numeric_fill_block_per_row_kernelILj128ELj16ELj256ELj137ELj64ElldEEvT5_PKS1_S3_NS_24const_host_device_scalarIT6_EEPKT4_S3_PKS5_S9_S3_SB_S6_S9_S3_SB_S9_S3_PS5_21rocsparse_index_base_SD_SD_SD_bbb, .Lfunc_end103-_ZN9rocsparseL41csrgemm_numeric_fill_block_per_row_kernelILj128ELj16ELj256ELj137ELj64ElldEEvT5_PKS1_S3_NS_24const_host_device_scalarIT6_EEPKT4_S3_PKS5_S9_S3_SB_S6_S9_S3_SB_S9_S3_PS5_21rocsparse_index_base_SD_SD_SD_bbb
                                        ; -- End function
	.set _ZN9rocsparseL41csrgemm_numeric_fill_block_per_row_kernelILj128ELj16ELj256ELj137ELj64ElldEEvT5_PKS1_S3_NS_24const_host_device_scalarIT6_EEPKT4_S3_PKS5_S9_S3_SB_S6_S9_S3_SB_S9_S3_PS5_21rocsparse_index_base_SD_SD_SD_bbb.num_vgpr, 40
	.set _ZN9rocsparseL41csrgemm_numeric_fill_block_per_row_kernelILj128ELj16ELj256ELj137ELj64ElldEEvT5_PKS1_S3_NS_24const_host_device_scalarIT6_EEPKT4_S3_PKS5_S9_S3_SB_S6_S9_S3_SB_S9_S3_PS5_21rocsparse_index_base_SD_SD_SD_bbb.num_agpr, 0
	.set _ZN9rocsparseL41csrgemm_numeric_fill_block_per_row_kernelILj128ELj16ELj256ELj137ELj64ElldEEvT5_PKS1_S3_NS_24const_host_device_scalarIT6_EEPKT4_S3_PKS5_S9_S3_SB_S6_S9_S3_SB_S9_S3_PS5_21rocsparse_index_base_SD_SD_SD_bbb.numbered_sgpr, 58
	.set _ZN9rocsparseL41csrgemm_numeric_fill_block_per_row_kernelILj128ELj16ELj256ELj137ELj64ElldEEvT5_PKS1_S3_NS_24const_host_device_scalarIT6_EEPKT4_S3_PKS5_S9_S3_SB_S6_S9_S3_SB_S9_S3_PS5_21rocsparse_index_base_SD_SD_SD_bbb.num_named_barrier, 0
	.set _ZN9rocsparseL41csrgemm_numeric_fill_block_per_row_kernelILj128ELj16ELj256ELj137ELj64ElldEEvT5_PKS1_S3_NS_24const_host_device_scalarIT6_EEPKT4_S3_PKS5_S9_S3_SB_S6_S9_S3_SB_S9_S3_PS5_21rocsparse_index_base_SD_SD_SD_bbb.private_seg_size, 0
	.set _ZN9rocsparseL41csrgemm_numeric_fill_block_per_row_kernelILj128ELj16ELj256ELj137ELj64ElldEEvT5_PKS1_S3_NS_24const_host_device_scalarIT6_EEPKT4_S3_PKS5_S9_S3_SB_S6_S9_S3_SB_S9_S3_PS5_21rocsparse_index_base_SD_SD_SD_bbb.uses_vcc, 1
	.set _ZN9rocsparseL41csrgemm_numeric_fill_block_per_row_kernelILj128ELj16ELj256ELj137ELj64ElldEEvT5_PKS1_S3_NS_24const_host_device_scalarIT6_EEPKT4_S3_PKS5_S9_S3_SB_S6_S9_S3_SB_S9_S3_PS5_21rocsparse_index_base_SD_SD_SD_bbb.uses_flat_scratch, 0
	.set _ZN9rocsparseL41csrgemm_numeric_fill_block_per_row_kernelILj128ELj16ELj256ELj137ELj64ElldEEvT5_PKS1_S3_NS_24const_host_device_scalarIT6_EEPKT4_S3_PKS5_S9_S3_SB_S6_S9_S3_SB_S9_S3_PS5_21rocsparse_index_base_SD_SD_SD_bbb.has_dyn_sized_stack, 0
	.set _ZN9rocsparseL41csrgemm_numeric_fill_block_per_row_kernelILj128ELj16ELj256ELj137ELj64ElldEEvT5_PKS1_S3_NS_24const_host_device_scalarIT6_EEPKT4_S3_PKS5_S9_S3_SB_S6_S9_S3_SB_S9_S3_PS5_21rocsparse_index_base_SD_SD_SD_bbb.has_recursion, 0
	.set _ZN9rocsparseL41csrgemm_numeric_fill_block_per_row_kernelILj128ELj16ELj256ELj137ELj64ElldEEvT5_PKS1_S3_NS_24const_host_device_scalarIT6_EEPKT4_S3_PKS5_S9_S3_SB_S6_S9_S3_SB_S9_S3_PS5_21rocsparse_index_base_SD_SD_SD_bbb.has_indirect_call, 0
	.section	.AMDGPU.csdata,"",@progbits
; Kernel info:
; codeLenInByte = 2460
; TotalNumSgprs: 64
; NumVgprs: 40
; NumAgprs: 0
; TotalNumVgprs: 40
; ScratchSize: 0
; MemoryBound: 0
; FloatMode: 240
; IeeeMode: 1
; LDSByteSize: 0 bytes/workgroup (compile time only)
; SGPRBlocks: 7
; VGPRBlocks: 4
; NumSGPRsForWavesPerEU: 64
; NumVGPRsForWavesPerEU: 40
; AccumOffset: 40
; Occupancy: 8
; WaveLimiterHint : 1
; COMPUTE_PGM_RSRC2:SCRATCH_EN: 0
; COMPUTE_PGM_RSRC2:USER_SGPR: 2
; COMPUTE_PGM_RSRC2:TRAP_HANDLER: 0
; COMPUTE_PGM_RSRC2:TGID_X_EN: 1
; COMPUTE_PGM_RSRC2:TGID_Y_EN: 0
; COMPUTE_PGM_RSRC2:TGID_Z_EN: 0
; COMPUTE_PGM_RSRC2:TIDIG_COMP_CNT: 0
; COMPUTE_PGM_RSRC3_GFX90A:ACCUM_OFFSET: 9
; COMPUTE_PGM_RSRC3_GFX90A:TG_SPLIT: 0
	.section	.text._ZN9rocsparseL41csrgemm_numeric_fill_block_per_row_kernelILj256ELj32ELj512ELj137ELj32ElldEEvT5_PKS1_S3_NS_24const_host_device_scalarIT6_EEPKT4_S3_PKS5_S9_S3_SB_S6_S9_S3_SB_S9_S3_PS5_21rocsparse_index_base_SD_SD_SD_bbb,"axG",@progbits,_ZN9rocsparseL41csrgemm_numeric_fill_block_per_row_kernelILj256ELj32ELj512ELj137ELj32ElldEEvT5_PKS1_S3_NS_24const_host_device_scalarIT6_EEPKT4_S3_PKS5_S9_S3_SB_S6_S9_S3_SB_S9_S3_PS5_21rocsparse_index_base_SD_SD_SD_bbb,comdat
	.globl	_ZN9rocsparseL41csrgemm_numeric_fill_block_per_row_kernelILj256ELj32ELj512ELj137ELj32ElldEEvT5_PKS1_S3_NS_24const_host_device_scalarIT6_EEPKT4_S3_PKS5_S9_S3_SB_S6_S9_S3_SB_S9_S3_PS5_21rocsparse_index_base_SD_SD_SD_bbb ; -- Begin function _ZN9rocsparseL41csrgemm_numeric_fill_block_per_row_kernelILj256ELj32ELj512ELj137ELj32ElldEEvT5_PKS1_S3_NS_24const_host_device_scalarIT6_EEPKT4_S3_PKS5_S9_S3_SB_S6_S9_S3_SB_S9_S3_PS5_21rocsparse_index_base_SD_SD_SD_bbb
	.p2align	8
	.type	_ZN9rocsparseL41csrgemm_numeric_fill_block_per_row_kernelILj256ELj32ELj512ELj137ELj32ElldEEvT5_PKS1_S3_NS_24const_host_device_scalarIT6_EEPKT4_S3_PKS5_S9_S3_SB_S6_S9_S3_SB_S9_S3_PS5_21rocsparse_index_base_SD_SD_SD_bbb,@function
_ZN9rocsparseL41csrgemm_numeric_fill_block_per_row_kernelILj256ELj32ELj512ELj137ELj32ElldEEvT5_PKS1_S3_NS_24const_host_device_scalarIT6_EEPKT4_S3_PKS5_S9_S3_SB_S6_S9_S3_SB_S9_S3_PS5_21rocsparse_index_base_SD_SD_SD_bbb: ; @_ZN9rocsparseL41csrgemm_numeric_fill_block_per_row_kernelILj256ELj32ELj512ELj137ELj32ElldEEvT5_PKS1_S3_NS_24const_host_device_scalarIT6_EEPKT4_S3_PKS5_S9_S3_SB_S6_S9_S3_SB_S9_S3_PS5_21rocsparse_index_base_SD_SD_SD_bbb
; %bb.0:
	s_load_dword s3, s[0:1], 0x98
	s_load_dwordx2 s[6:7], s[0:1], 0x18
	s_load_dwordx2 s[4:5], s[0:1], 0x50
	s_waitcnt lgkmcnt(0)
	s_bitcmp1_b32 s3, 0
	s_cselect_b64 s[40:41], -1, 0
	s_bitcmp1_b32 s3, 16
	s_cselect_b64 s[8:9], -1, 0
	s_xor_b64 s[10:11], s[40:41], -1
	s_or_b64 s[10:11], s[8:9], s[10:11]
	s_and_b64 s[12:13], s[40:41], exec
	s_cselect_b32 s13, s7, 0
	s_cselect_b32 s12, s6, 0
	s_and_b64 vcc, exec, s[10:11]
	v_mov_b64_e32 v[4:5], s[12:13]
	s_cbranch_vccnz .LBB104_2
; %bb.1:
	v_mov_b64_e32 v[2:3], s[6:7]
	flat_load_dwordx2 v[4:5], v[2:3]
.LBB104_2:
	s_bitcmp1_b32 s3, 8
	s_cselect_b64 s[6:7], -1, 0
	s_load_dwordx4 s[16:19], s[0:1], 0x88
	s_xor_b64 s[10:11], s[6:7], -1
	s_or_b64 s[8:9], s[8:9], s[10:11]
	s_and_b64 s[10:11], s[6:7], exec
	s_cselect_b32 s11, s5, 0
	s_cselect_b32 s10, s4, 0
	s_and_b64 vcc, exec, s[8:9]
	v_mov_b64_e32 v[2:3], s[10:11]
	s_cbranch_vccnz .LBB104_4
; %bb.3:
	v_mov_b64_e32 v[2:3], s[4:5]
	flat_load_dwordx2 v[2:3], v[2:3]
.LBB104_4:
	s_load_dwordx2 s[34:35], s[0:1], 0x80
	s_load_dwordx2 s[36:37], s[0:1], 0x70
	;; [unrolled: 1-line block ×3, first 2 shown]
	s_load_dwordx4 s[20:23], s[0:1], 0x0
	s_load_dwordx2 s[42:43], s[0:1], 0x10
	s_load_dwordx8 s[8:15], s[0:1], 0x20
	s_movk_i32 s3, 0x200
	v_cmp_gt_u32_e64 s[4:5], s3, v0
	v_lshl_add_u32 v1, v0, 3, 0
	s_and_saveexec_b64 s[24:25], s[4:5]
	s_cbranch_execz .LBB104_7
; %bb.5:
	v_mov_b32_e32 v6, 0
	v_or_b32_e32 v10, 0xffffff00, v0
	v_lshl_add_u32 v11, v0, 3, 0
	s_mov_b64 s[26:27], 0
	s_waitcnt lgkmcnt(0)
	v_mov_b64_e32 v[8:9], s[20:21]
	v_mov_b32_e32 v7, v6
.LBB104_6:                              ; =>This Inner Loop Header: Depth=1
	v_add_co_u32_e32 v10, vcc, 0x100, v10
	s_xor_b64 s[28:29], vcc, -1
	s_and_b64 s[28:29], exec, s[28:29]
	ds_write2st64_b64 v11, v[8:9], v[6:7] offset1:8
	s_or_b64 s[26:27], s[28:29], s[26:27]
	v_add_u32_e32 v11, 0x800, v11
	s_andn2_b64 exec, exec, s[26:27]
	s_cbranch_execnz .LBB104_6
.LBB104_7:
	s_or_b64 exec, exec, s[24:25]
	s_load_dwordx4 s[24:27], s[0:1], 0x60
	s_load_dwordx4 s[28:31], s[0:1], 0x40
	s_waitcnt lgkmcnt(0)
	s_barrier
	s_load_dwordx2 s[0:1], s[22:23], 0x0
	s_mov_b32 s3, 0
	v_lshrrev_b32_e32 v26, 5, v0
	s_waitcnt lgkmcnt(0)
	s_lshl_b64 s[0:1], s[0:1], 3
	s_add_u32 s22, s42, s0
	s_addc_u32 s23, s43, s1
	s_lshl_b64 s[0:1], s[2:3], 3
	s_add_u32 s0, s22, s0
	s_addc_u32 s1, s23, s1
	s_load_dwordx2 s[22:23], s[0:1], 0x0
	s_and_b64 vcc, exec, s[40:41]
	s_cbranch_vccz .LBB104_27
; %bb.8:
	s_waitcnt lgkmcnt(0)
	s_lshl_b64 s[0:1], s[22:23], 3
	s_add_u32 s0, s8, s0
	s_addc_u32 s1, s9, s1
	s_load_dwordx4 s[40:43], s[0:1], 0x0
	v_subrev_co_u32_e32 v6, vcc, s16, v26
	s_nop 1
	v_subb_co_u32_e64 v7, s[0:1], 0, 0, vcc
	s_waitcnt lgkmcnt(0)
	s_sub_u32 s0, s42, s16
	s_subb_u32 s1, s43, 0
	v_lshl_add_u64 v[6:7], s[40:41], 0, v[6:7]
	v_cmp_gt_i64_e32 vcc, s[0:1], v[6:7]
	s_and_saveexec_b64 s[2:3], vcc
	s_cbranch_execz .LBB104_26
; %bb.9:
	v_and_b32_e32 v8, 31, v0
	v_subrev_co_u32_e32 v8, vcc, s17, v8
	s_mov_b32 s33, s17
	s_nop 0
	v_subb_co_u32_e64 v9, s[8:9], 0, 0, vcc
	s_mov_b64 s[8:9], 0
	s_movk_i32 s17, 0x89
	s_branch .LBB104_11
.LBB104_10:                             ;   in Loop: Header=BB104_11 Depth=1
	s_or_b64 exec, exec, s[40:41]
	v_lshl_add_u64 v[6:7], v[6:7], 0, 8
	v_cmp_le_i64_e32 vcc, s[0:1], v[6:7]
	s_or_b64 s[8:9], vcc, s[8:9]
	s_andn2_b64 exec, exec, s[8:9]
	s_cbranch_execz .LBB104_26
.LBB104_11:                             ; =>This Loop Header: Depth=1
                                        ;     Child Loop BB104_15 Depth 2
                                        ;       Child Loop BB104_18 Depth 3
	v_lshl_add_u64 v[10:11], v[6:7], 3, s[10:11]
	global_load_dwordx2 v[10:11], v[10:11], off
	s_waitcnt vmcnt(0)
	v_subrev_co_u32_e32 v10, vcc, s16, v10
	s_nop 1
	v_subbrev_co_u32_e32 v11, vcc, 0, v11, vcc
	v_lshl_add_u64 v[10:11], v[10:11], 3, s[14:15]
	global_load_dwordx4 v[12:15], v[10:11], off
	s_waitcnt vmcnt(0)
	v_subrev_co_u32_e32 v10, vcc, s33, v14
	s_nop 1
	v_subbrev_co_u32_e32 v11, vcc, 0, v15, vcc
	v_lshl_add_u64 v[12:13], v[12:13], 0, v[8:9]
	v_cmp_lt_i64_e32 vcc, v[12:13], v[10:11]
	s_and_saveexec_b64 s[40:41], vcc
	s_cbranch_execz .LBB104_10
; %bb.12:                               ;   in Loop: Header=BB104_11 Depth=1
	v_lshl_add_u64 v[14:15], v[6:7], 3, s[12:13]
	global_load_dwordx2 v[14:15], v[14:15], off
	s_mov_b64 s[42:43], 0
	s_waitcnt vmcnt(0)
	v_mul_f64 v[14:15], v[4:5], v[14:15]
	s_branch .LBB104_15
.LBB104_13:                             ;   in Loop: Header=BB104_15 Depth=2
	s_or_b64 exec, exec, s[46:47]
.LBB104_14:                             ;   in Loop: Header=BB104_15 Depth=2
	s_or_b64 exec, exec, s[44:45]
	s_waitcnt vmcnt(0)
	v_mul_f64 v[16:17], v[14:15], v[16:17]
	v_lshl_add_u32 v18, v20, 3, 0
	ds_add_f64 v18, v[16:17] offset:4096
	v_lshl_add_u64 v[12:13], v[12:13], 0, 32
	v_cmp_ge_i64_e32 vcc, v[12:13], v[10:11]
	s_or_b64 s[42:43], vcc, s[42:43]
	s_andn2_b64 exec, exec, s[42:43]
	s_cbranch_execz .LBB104_10
.LBB104_15:                             ;   Parent Loop BB104_11 Depth=1
                                        ; =>  This Loop Header: Depth=2
                                        ;       Child Loop BB104_18 Depth 3
	v_lshlrev_b64 v[16:17], 3, v[12:13]
	v_lshl_add_u64 v[18:19], s[28:29], 0, v[16:17]
	global_load_dwordx2 v[18:19], v[18:19], off
	v_lshl_add_u64 v[16:17], s[30:31], 0, v[16:17]
	global_load_dwordx2 v[16:17], v[16:17], off
	s_waitcnt vmcnt(1)
	v_subrev_co_u32_e32 v18, vcc, s33, v18
	v_mul_lo_u32 v20, v18, s17
	v_and_b32_e32 v20, 0x1ff, v20
	v_lshl_add_u32 v27, v20, 3, 0
	ds_read_b64 v[24:25], v27
	v_subbrev_co_u32_e32 v19, vcc, 0, v19, vcc
	s_waitcnt lgkmcnt(0)
	v_cmp_ne_u64_e32 vcc, v[24:25], v[18:19]
	s_and_saveexec_b64 s[44:45], vcc
	s_cbranch_execz .LBB104_14
; %bb.16:                               ;   in Loop: Header=BB104_15 Depth=2
	s_mov_b64 s[46:47], 0
                                        ; implicit-def: $sgpr48_sgpr49
                                        ; implicit-def: $sgpr50_sgpr51
	s_branch .LBB104_18
.LBB104_17:                             ;   in Loop: Header=BB104_18 Depth=3
	s_or_b64 exec, exec, s[56:57]
	s_and_b64 s[52:53], exec, s[54:55]
	s_or_b64 s[46:47], s[52:53], s[46:47]
	s_andn2_b64 s[48:49], s[48:49], exec
	s_and_b64 s[52:53], s[50:51], exec
	s_or_b64 s[48:49], s[48:49], s[52:53]
	s_andn2_b64 exec, exec, s[46:47]
	s_cbranch_execz .LBB104_24
.LBB104_18:                             ;   Parent Loop BB104_11 Depth=1
                                        ;     Parent Loop BB104_15 Depth=2
                                        ; =>    This Inner Loop Header: Depth=3
	v_mov_b64_e32 v[22:23], v[20:21]
	v_cmp_ne_u64_e32 vcc, s[20:21], v[24:25]
	s_mov_b64 s[52:53], 0
                                        ; implicit-def: $vgpr20_vgpr21
	s_and_saveexec_b64 s[54:55], vcc
	s_xor_b64 s[54:55], exec, s[54:55]
; %bb.19:                               ;   in Loop: Header=BB104_18 Depth=3
	v_add_u32_e32 v20, 1, v22
	s_mov_b64 s[52:53], exec
	v_and_b32_e32 v20, 0x1ff, v20
                                        ; implicit-def: $vgpr27
; %bb.20:                               ;   in Loop: Header=BB104_18 Depth=3
	s_andn2_saveexec_b64 s[54:55], s[54:55]
	s_cbranch_execz .LBB104_22
; %bb.21:                               ;   in Loop: Header=BB104_18 Depth=3
	v_mov_b64_e32 v[20:21], s[20:21]
	ds_cmpst_rtn_b64 v[20:21], v27, v[20:21], v[18:19]
	s_andn2_b64 s[52:53], s[52:53], exec
	s_waitcnt lgkmcnt(0)
	v_cmp_ne_u64_e32 vcc, s[20:21], v[20:21]
	s_and_b64 s[56:57], vcc, exec
	s_or_b64 s[52:53], s[52:53], s[56:57]
	v_mov_b64_e32 v[20:21], v[22:23]
.LBB104_22:                             ;   in Loop: Header=BB104_18 Depth=3
	s_or_b64 exec, exec, s[54:55]
	s_mov_b64 s[54:55], -1
	s_or_b64 s[50:51], s[50:51], exec
                                        ; implicit-def: $vgpr27
                                        ; implicit-def: $vgpr24_vgpr25
	s_and_saveexec_b64 s[56:57], s[52:53]
	s_cbranch_execz .LBB104_17
; %bb.23:                               ;   in Loop: Header=BB104_18 Depth=3
	v_lshl_add_u32 v27, v20, 3, 0
	ds_read_b64 v[24:25], v27
	s_andn2_b64 s[50:51], s[50:51], exec
	s_waitcnt lgkmcnt(0)
	v_cmp_eq_u64_e32 vcc, v[24:25], v[18:19]
	s_orn2_b64 s[54:55], vcc, exec
	s_branch .LBB104_17
.LBB104_24:                             ;   in Loop: Header=BB104_15 Depth=2
	s_or_b64 exec, exec, s[46:47]
	s_and_saveexec_b64 s[46:47], s[48:49]
	s_xor_b64 s[46:47], exec, s[46:47]
	s_cbranch_execz .LBB104_13
; %bb.25:                               ;   in Loop: Header=BB104_15 Depth=2
	v_mov_b32_e32 v20, v22
	s_branch .LBB104_13
.LBB104_26:
	s_or_b64 exec, exec, s[2:3]
.LBB104_27:
	s_andn2_b64 vcc, exec, s[6:7]
	s_cbranch_vccnz .LBB104_44
; %bb.28:
	s_waitcnt lgkmcnt(0)
	s_lshl_b64 s[0:1], s[22:23], 3
	s_add_u32 s0, s38, s0
	s_addc_u32 s1, s39, s1
	s_load_dwordx4 s[8:11], s[0:1], 0x0
	s_waitcnt vmcnt(0)
	v_subrev_co_u32_e32 v4, vcc, s19, v0
	s_waitcnt lgkmcnt(0)
	s_sub_u32 s0, s10, s19
	v_subb_co_u32_e64 v5, s[2:3], 0, 0, vcc
	s_subb_u32 s1, s11, 0
	v_lshl_add_u64 v[4:5], s[8:9], 0, v[4:5]
	v_cmp_gt_i64_e32 vcc, s[0:1], v[4:5]
	s_and_saveexec_b64 s[2:3], vcc
	s_cbranch_execz .LBB104_43
; %bb.29:
	s_mov_b32 s33, s19
	s_mov_b64 s[6:7], 0
	s_movk_i32 s19, 0x89
	s_mov_b64 s[8:9], 0x100
	s_branch .LBB104_32
.LBB104_30:                             ;   in Loop: Header=BB104_32 Depth=1
	s_or_b64 exec, exec, s[12:13]
.LBB104_31:                             ;   in Loop: Header=BB104_32 Depth=1
	s_or_b64 exec, exec, s[10:11]
	s_waitcnt vmcnt(0)
	v_mul_f64 v[6:7], v[2:3], v[6:7]
	v_lshl_add_u32 v8, v10, 3, 0
	ds_add_f64 v8, v[6:7] offset:4096
	v_lshl_add_u64 v[4:5], v[4:5], 0, s[8:9]
	v_cmp_le_i64_e32 vcc, s[0:1], v[4:5]
	s_or_b64 s[6:7], vcc, s[6:7]
	s_andn2_b64 exec, exec, s[6:7]
	s_cbranch_execz .LBB104_43
.LBB104_32:                             ; =>This Loop Header: Depth=1
                                        ;     Child Loop BB104_35 Depth 2
	v_lshlrev_b64 v[6:7], 3, v[4:5]
	v_lshl_add_u64 v[8:9], s[24:25], 0, v[6:7]
	global_load_dwordx2 v[8:9], v[8:9], off
	v_lshl_add_u64 v[6:7], s[26:27], 0, v[6:7]
	global_load_dwordx2 v[6:7], v[6:7], off
	s_waitcnt vmcnt(1)
	v_subrev_co_u32_e32 v8, vcc, s33, v8
	v_mul_lo_u32 v10, v8, s19
	v_and_b32_e32 v10, 0x1ff, v10
	v_lshl_add_u32 v16, v10, 3, 0
	ds_read_b64 v[14:15], v16
	v_subbrev_co_u32_e32 v9, vcc, 0, v9, vcc
	s_waitcnt lgkmcnt(0)
	v_cmp_ne_u64_e32 vcc, v[14:15], v[8:9]
	s_and_saveexec_b64 s[10:11], vcc
	s_cbranch_execz .LBB104_31
; %bb.33:                               ;   in Loop: Header=BB104_32 Depth=1
	s_mov_b64 s[12:13], 0
                                        ; implicit-def: $sgpr14_sgpr15
                                        ; implicit-def: $sgpr16_sgpr17
	s_branch .LBB104_35
.LBB104_34:                             ;   in Loop: Header=BB104_35 Depth=2
	s_or_b64 exec, exec, s[38:39]
	s_and_b64 s[28:29], exec, s[30:31]
	s_or_b64 s[12:13], s[28:29], s[12:13]
	s_andn2_b64 s[14:15], s[14:15], exec
	s_and_b64 s[28:29], s[16:17], exec
	s_or_b64 s[14:15], s[14:15], s[28:29]
	s_andn2_b64 exec, exec, s[12:13]
	s_cbranch_execz .LBB104_41
.LBB104_35:                             ;   Parent Loop BB104_32 Depth=1
                                        ; =>  This Inner Loop Header: Depth=2
	v_mov_b64_e32 v[12:13], v[10:11]
	v_cmp_ne_u64_e32 vcc, s[20:21], v[14:15]
	s_mov_b64 s[28:29], 0
                                        ; implicit-def: $vgpr10_vgpr11
	s_and_saveexec_b64 s[30:31], vcc
	s_xor_b64 s[30:31], exec, s[30:31]
; %bb.36:                               ;   in Loop: Header=BB104_35 Depth=2
	v_add_u32_e32 v10, 1, v12
	s_mov_b64 s[28:29], exec
	v_and_b32_e32 v10, 0x1ff, v10
                                        ; implicit-def: $vgpr16
; %bb.37:                               ;   in Loop: Header=BB104_35 Depth=2
	s_andn2_saveexec_b64 s[30:31], s[30:31]
	s_cbranch_execz .LBB104_39
; %bb.38:                               ;   in Loop: Header=BB104_35 Depth=2
	v_mov_b64_e32 v[10:11], s[20:21]
	ds_cmpst_rtn_b64 v[10:11], v16, v[10:11], v[8:9]
	s_andn2_b64 s[28:29], s[28:29], exec
	s_waitcnt lgkmcnt(0)
	v_cmp_ne_u64_e32 vcc, s[20:21], v[10:11]
	s_and_b64 s[38:39], vcc, exec
	s_or_b64 s[28:29], s[28:29], s[38:39]
	v_mov_b64_e32 v[10:11], v[12:13]
.LBB104_39:                             ;   in Loop: Header=BB104_35 Depth=2
	s_or_b64 exec, exec, s[30:31]
	s_mov_b64 s[30:31], -1
	s_or_b64 s[16:17], s[16:17], exec
                                        ; implicit-def: $vgpr16
                                        ; implicit-def: $vgpr14_vgpr15
	s_and_saveexec_b64 s[38:39], s[28:29]
	s_cbranch_execz .LBB104_34
; %bb.40:                               ;   in Loop: Header=BB104_35 Depth=2
	v_lshl_add_u32 v16, v10, 3, 0
	ds_read_b64 v[14:15], v16
	s_andn2_b64 s[16:17], s[16:17], exec
	s_waitcnt lgkmcnt(0)
	v_cmp_eq_u64_e32 vcc, v[14:15], v[8:9]
	s_orn2_b64 s[30:31], vcc, exec
	s_branch .LBB104_34
.LBB104_41:                             ;   in Loop: Header=BB104_32 Depth=1
	s_or_b64 exec, exec, s[12:13]
	s_and_saveexec_b64 s[12:13], s[14:15]
	s_xor_b64 s[12:13], exec, s[12:13]
	s_cbranch_execz .LBB104_30
; %bb.42:                               ;   in Loop: Header=BB104_32 Depth=1
	v_mov_b32_e32 v10, v12
	s_branch .LBB104_30
.LBB104_43:
	s_or_b64 exec, exec, s[2:3]
.LBB104_44:
	s_waitcnt lgkmcnt(0)
	s_barrier
	s_and_saveexec_b64 s[16:17], s[4:5]
	s_cbranch_execz .LBB104_65
; %bb.45:
	s_waitcnt vmcnt(0)
	v_mbcnt_lo_u32_b32 v2, -1, 0
	v_mbcnt_hi_u32_b32 v2, -1, v2
	v_sub_u32_e32 v2, 63, v2
	s_movk_i32 s0, 0xff
	s_movk_i32 s6, 0x5f
	;; [unrolled: 1-line block ×6, first 2 shown]
	v_mov_b32_e32 v7, 0
	v_lshrrev_b64 v[8:9], v2, -1
	v_lshl_add_u32 v14, v26, 3, 0
	v_cmp_eq_u32_e64 s[0:1], s0, v0
	v_cmp_lt_u32_e64 s[2:3], 31, v0
	v_cmp_lt_u32_e64 s[4:5], 63, v0
	v_cmp_lt_u32_e64 s[6:7], s6, v0
	v_cmp_lt_u32_e64 s[8:9], s8, v0
	v_cmp_lt_u32_e64 s[10:11], s10, v0
	v_cmp_lt_u32_e64 s[12:13], s12, v0
	v_cmp_lt_u32_e64 s[14:15], s14, v0
	v_or_b32_e32 v15, 0xffffff00, v0
	s_mov_b64 s[24:25], 0
	v_mov_b64_e32 v[10:11], 0
	s_branch .LBB104_47
.LBB104_46:                             ;   in Loop: Header=BB104_47 Depth=1
	s_or_b64 exec, exec, s[26:27]
	s_waitcnt lgkmcnt(0)
	s_barrier
	ds_read_b64 v[2:3], v7 offset:8248
	v_add_co_u32_e32 v15, vcc, 0x100, v15
	s_xor_b64 s[26:27], vcc, -1
	s_and_b64 s[26:27], exec, s[26:27]
	s_waitcnt lgkmcnt(0)
	v_lshl_add_u64 v[10:11], v[2:3], 0, v[10:11]
	s_or_b64 s[24:25], s[26:27], s[24:25]
	v_add_u32_e32 v1, 0x800, v1
	s_andn2_b64 exec, exec, s[24:25]
	s_cbranch_execz .LBB104_65
.LBB104_47:                             ; =>This Inner Loop Header: Depth=1
	ds_read2st64_b64 v[2:5], v1 offset1:8
	s_waitcnt lgkmcnt(0)
	s_barrier
	v_cmp_gt_i64_e32 vcc, s[20:21], v[2:3]
	s_bcnt1_i32_b64 s19, vcc
	s_nop 0
	v_and_b32_e32 v13, vcc_lo, v8
	v_and_b32_e32 v12, vcc_hi, v9
	v_bcnt_u32_b32 v13, v13, 0
	v_mov_b32_e32 v6, s19
	v_bcnt_u32_b32 v12, v12, v13
	ds_write_b64 v14, v[6:7] offset:8192
	s_waitcnt lgkmcnt(0)
	s_barrier
	s_and_saveexec_b64 s[26:27], s[2:3]
	s_cbranch_execnz .LBB104_56
; %bb.48:                               ;   in Loop: Header=BB104_47 Depth=1
	s_or_b64 exec, exec, s[26:27]
	s_and_saveexec_b64 s[26:27], s[4:5]
	s_cbranch_execnz .LBB104_57
.LBB104_49:                             ;   in Loop: Header=BB104_47 Depth=1
	s_or_b64 exec, exec, s[26:27]
	s_and_saveexec_b64 s[26:27], s[6:7]
	s_cbranch_execnz .LBB104_58
.LBB104_50:                             ;   in Loop: Header=BB104_47 Depth=1
	s_or_b64 exec, exec, s[26:27]
	s_and_saveexec_b64 s[26:27], s[8:9]
	s_cbranch_execnz .LBB104_59
.LBB104_51:                             ;   in Loop: Header=BB104_47 Depth=1
	s_or_b64 exec, exec, s[26:27]
	s_and_saveexec_b64 s[26:27], s[10:11]
	s_cbranch_execnz .LBB104_60
.LBB104_52:                             ;   in Loop: Header=BB104_47 Depth=1
	s_or_b64 exec, exec, s[26:27]
	s_and_saveexec_b64 s[26:27], s[12:13]
	s_cbranch_execnz .LBB104_61
.LBB104_53:                             ;   in Loop: Header=BB104_47 Depth=1
	s_or_b64 exec, exec, s[26:27]
	s_and_saveexec_b64 s[26:27], s[14:15]
	s_cbranch_execnz .LBB104_62
.LBB104_54:                             ;   in Loop: Header=BB104_47 Depth=1
	s_or_b64 exec, exec, s[26:27]
	v_ashrrev_i32_e32 v13, 31, v12
	s_and_saveexec_b64 s[26:27], vcc
	s_cbranch_execnz .LBB104_63
.LBB104_55:                             ;   in Loop: Header=BB104_47 Depth=1
	s_or_b64 exec, exec, s[26:27]
	s_and_saveexec_b64 s[26:27], s[0:1]
	s_cbranch_execz .LBB104_46
	s_branch .LBB104_64
.LBB104_56:                             ;   in Loop: Header=BB104_47 Depth=1
	ds_read_b32 v6, v7 offset:8192
	s_waitcnt lgkmcnt(0)
	v_add_u32_e32 v12, v6, v12
	s_or_b64 exec, exec, s[26:27]
	s_and_saveexec_b64 s[26:27], s[4:5]
	s_cbranch_execz .LBB104_49
.LBB104_57:                             ;   in Loop: Header=BB104_47 Depth=1
	ds_read_b32 v6, v7 offset:8200
	s_waitcnt lgkmcnt(0)
	v_add_u32_e32 v12, v12, v6
	s_or_b64 exec, exec, s[26:27]
	s_and_saveexec_b64 s[26:27], s[6:7]
	s_cbranch_execz .LBB104_50
.LBB104_58:                             ;   in Loop: Header=BB104_47 Depth=1
	ds_read_b32 v6, v7 offset:8208
	s_waitcnt lgkmcnt(0)
	v_add_u32_e32 v12, v12, v6
	s_or_b64 exec, exec, s[26:27]
	s_and_saveexec_b64 s[26:27], s[8:9]
	s_cbranch_execz .LBB104_51
.LBB104_59:                             ;   in Loop: Header=BB104_47 Depth=1
	ds_read_b32 v6, v7 offset:8216
	s_waitcnt lgkmcnt(0)
	v_add_u32_e32 v12, v12, v6
	s_or_b64 exec, exec, s[26:27]
	s_and_saveexec_b64 s[26:27], s[10:11]
	s_cbranch_execz .LBB104_52
.LBB104_60:                             ;   in Loop: Header=BB104_47 Depth=1
	ds_read_b32 v6, v7 offset:8224
	s_waitcnt lgkmcnt(0)
	v_add_u32_e32 v12, v12, v6
	s_or_b64 exec, exec, s[26:27]
	s_and_saveexec_b64 s[26:27], s[12:13]
	s_cbranch_execz .LBB104_53
.LBB104_61:                             ;   in Loop: Header=BB104_47 Depth=1
	ds_read_b32 v6, v7 offset:8232
	s_waitcnt lgkmcnt(0)
	v_add_u32_e32 v12, v12, v6
	s_or_b64 exec, exec, s[26:27]
	s_and_saveexec_b64 s[26:27], s[14:15]
	s_cbranch_execz .LBB104_54
.LBB104_62:                             ;   in Loop: Header=BB104_47 Depth=1
	ds_read_b32 v6, v7 offset:8240
	s_waitcnt lgkmcnt(0)
	v_add_u32_e32 v12, v12, v6
	s_or_b64 exec, exec, s[26:27]
	v_ashrrev_i32_e32 v13, 31, v12
	s_and_saveexec_b64 s[26:27], vcc
	s_cbranch_execz .LBB104_55
.LBB104_63:                             ;   in Loop: Header=BB104_47 Depth=1
	v_add3_u32 v6, v10, -1, v12
	v_lshl_add_u32 v6, v6, 3, 0
	v_add_u32_e32 v16, v10, v12
	v_lshl_add_u32 v16, v16, 3, 0
	ds_write_b64 v6, v[2:3]
	ds_write_b64 v16, v[4:5] offset:4088
	s_or_b64 exec, exec, s[26:27]
	s_and_saveexec_b64 s[26:27], s[0:1]
	s_cbranch_execz .LBB104_46
.LBB104_64:                             ;   in Loop: Header=BB104_47 Depth=1
	ds_write_b64 v7, v[12:13] offset:8248
	s_branch .LBB104_46
.LBB104_65:
	s_or_b64 exec, exec, s[16:17]
	s_lshl_b64 s[0:1], s[22:23], 3
	s_add_u32 s4, s36, s0
	s_addc_u32 s5, s37, s1
	s_load_dwordx4 s[0:3], s[4:5], 0x0
	v_mov_b32_e32 v1, 0
	s_waitcnt lgkmcnt(0)
	s_sub_u32 s4, s2, s0
	s_subb_u32 s5, s3, s1
	v_cmp_gt_i64_e32 vcc, s[4:5], v[0:1]
	s_and_saveexec_b64 s[6:7], vcc
	s_cbranch_execz .LBB104_75
; %bb.66:
	s_sub_u32 s8, s0, s18
	s_subb_u32 s9, s1, 0
	s_and_b32 s6, s4, 7
	s_sub_u32 s0, s0, s2
	s_mov_b32 s7, 0
	s_subb_u32 s1, s1, s3
	s_and_b32 s10, s4, -8
	s_cmp_lg_u64 s[6:7], 0
	v_cmp_lt_u64_e64 s[0:1], s[0:1], -7
	s_cselect_b64 s[2:3], -1, 0
	s_mov_b32 s11, s5
	s_waitcnt vmcnt(0)
	v_cndmask_b32_e64 v2, 0, 1, s[0:1]
	v_cmp_ne_u32_e64 s[0:1], 1, v2
	v_cndmask_b32_e64 v2, 0, 1, s[2:3]
	s_mov_b64 s[12:13], 0
	v_cmp_ne_u32_e64 s[2:3], 1, v2
	s_mov_b64 s[14:15], 0x100
	s_branch .LBB104_68
.LBB104_67:                             ;   in Loop: Header=BB104_68 Depth=1
	v_lshl_add_u64 v[0:1], v[0:1], 0, s[14:15]
	v_cmp_le_i64_e32 vcc, s[4:5], v[0:1]
	s_waitcnt lgkmcnt(0)
	v_lshl_add_u64 v[2:3], v[6:7], 3, s[34:35]
	s_or_b64 s[12:13], vcc, s[12:13]
	global_store_dwordx2 v[2:3], v[4:5], off
	s_andn2_b64 exec, exec, s[12:13]
	s_cbranch_execz .LBB104_75
.LBB104_68:                             ; =>This Loop Header: Depth=1
                                        ;     Child Loop BB104_70 Depth 2
                                        ;     Child Loop BB104_74 Depth 2
	v_lshl_add_u32 v2, v0, 3, 0
	ds_read2st64_b64 v[2:5], v2 offset1:8
	s_and_b64 vcc, exec, s[0:1]
	v_mov_b64_e32 v[6:7], s[8:9]
	s_mov_b64 s[16:17], 0
	s_cbranch_vccnz .LBB104_72
; %bb.69:                               ;   in Loop: Header=BB104_68 Depth=1
	s_mov_b32 s18, 0
	v_mov_b64_e32 v[6:7], s[8:9]
.LBB104_70:                             ;   Parent Loop BB104_68 Depth=1
                                        ; =>  This Inner Loop Header: Depth=2
	v_mov_b32_e32 v20, s18
	ds_read2_b64 v[8:11], v20 offset1:1
	ds_read2_b64 v[12:15], v20 offset0:2 offset1:3
	ds_read2_b64 v[16:19], v20 offset0:4 offset1:5
	ds_read2_b64 v[20:23], v20 offset0:6 offset1:7
	v_mov_b32_e32 v25, s7
	s_waitcnt lgkmcnt(3)
	v_cmp_gt_i64_e32 vcc, v[2:3], v[8:9]
	v_mov_b32_e32 v27, s7
	v_mov_b32_e32 v29, s7
	v_cndmask_b32_e64 v24, 0, 1, vcc
	v_cmp_gt_i64_e32 vcc, v[2:3], v[10:11]
	v_lshl_add_u64 v[6:7], v[6:7], 0, v[24:25]
	v_mov_b32_e32 v31, s7
	v_cndmask_b32_e64 v26, 0, 1, vcc
	s_waitcnt lgkmcnt(2)
	v_cmp_gt_i64_e32 vcc, v[2:3], v[12:13]
	v_lshl_add_u64 v[6:7], v[6:7], 0, v[26:27]
	v_mov_b32_e32 v33, s7
	v_cndmask_b32_e64 v28, 0, 1, vcc
	v_cmp_gt_i64_e32 vcc, v[2:3], v[14:15]
	v_lshl_add_u64 v[6:7], v[6:7], 0, v[28:29]
	v_mov_b32_e32 v35, s7
	v_cndmask_b32_e64 v30, 0, 1, vcc
	s_waitcnt lgkmcnt(1)
	v_cmp_gt_i64_e32 vcc, v[2:3], v[16:17]
	v_lshl_add_u64 v[6:7], v[6:7], 0, v[30:31]
	v_mov_b32_e32 v37, s7
	v_cndmask_b32_e64 v32, 0, 1, vcc
	v_cmp_gt_i64_e32 vcc, v[2:3], v[18:19]
	v_lshl_add_u64 v[6:7], v[6:7], 0, v[32:33]
	s_add_u32 s16, s16, 8
	v_cndmask_b32_e64 v34, 0, 1, vcc
	s_waitcnt lgkmcnt(0)
	v_cmp_gt_i64_e32 vcc, v[2:3], v[20:21]
	v_lshl_add_u64 v[6:7], v[6:7], 0, v[34:35]
	v_mov_b32_e32 v39, s7
	v_cndmask_b32_e64 v36, 0, 1, vcc
	v_cmp_gt_i64_e32 vcc, v[2:3], v[22:23]
	s_addc_u32 s17, s17, 0
	s_add_i32 s18, s18, 64
	v_cndmask_b32_e64 v38, 0, 1, vcc
	v_lshl_add_u64 v[6:7], v[6:7], 0, v[36:37]
	s_cmp_eq_u64 s[10:11], s[16:17]
	v_lshl_add_u64 v[6:7], v[6:7], 0, v[38:39]
	s_cbranch_scc0 .LBB104_70
; %bb.71:                               ;   in Loop: Header=BB104_68 Depth=1
	s_mov_b64 s[16:17], s[10:11]
.LBB104_72:                             ;   in Loop: Header=BB104_68 Depth=1
	s_and_b64 vcc, exec, s[2:3]
	s_cbranch_vccnz .LBB104_67
; %bb.73:                               ;   in Loop: Header=BB104_68 Depth=1
	s_lshl_b32 s16, s16, 3
	s_add_i32 s18, s16, 0
	s_mov_b64 s[16:17], s[6:7]
.LBB104_74:                             ;   Parent Loop BB104_68 Depth=1
                                        ; =>  This Inner Loop Header: Depth=2
	v_mov_b32_e32 v8, s18
	ds_read_b64 v[10:11], v8
	s_add_i32 s18, s18, 8
	s_add_u32 s16, s16, -1
	v_mov_b32_e32 v9, s7
	s_addc_u32 s17, s17, -1
	s_waitcnt lgkmcnt(0)
	v_cmp_gt_i64_e32 vcc, v[2:3], v[10:11]
	s_cmp_lg_u64 s[16:17], 0
	s_nop 0
	v_cndmask_b32_e64 v8, 0, 1, vcc
	v_lshl_add_u64 v[6:7], v[6:7], 0, v[8:9]
	s_cbranch_scc1 .LBB104_74
	s_branch .LBB104_67
.LBB104_75:
	s_endpgm
	.section	.rodata,"a",@progbits
	.p2align	6, 0x0
	.amdhsa_kernel _ZN9rocsparseL41csrgemm_numeric_fill_block_per_row_kernelILj256ELj32ELj512ELj137ELj32ElldEEvT5_PKS1_S3_NS_24const_host_device_scalarIT6_EEPKT4_S3_PKS5_S9_S3_SB_S6_S9_S3_SB_S9_S3_PS5_21rocsparse_index_base_SD_SD_SD_bbb
		.amdhsa_group_segment_fixed_size 0
		.amdhsa_private_segment_fixed_size 0
		.amdhsa_kernarg_size 156
		.amdhsa_user_sgpr_count 2
		.amdhsa_user_sgpr_dispatch_ptr 0
		.amdhsa_user_sgpr_queue_ptr 0
		.amdhsa_user_sgpr_kernarg_segment_ptr 1
		.amdhsa_user_sgpr_dispatch_id 0
		.amdhsa_user_sgpr_kernarg_preload_length 0
		.amdhsa_user_sgpr_kernarg_preload_offset 0
		.amdhsa_user_sgpr_private_segment_size 0
		.amdhsa_uses_dynamic_stack 0
		.amdhsa_enable_private_segment 0
		.amdhsa_system_sgpr_workgroup_id_x 1
		.amdhsa_system_sgpr_workgroup_id_y 0
		.amdhsa_system_sgpr_workgroup_id_z 0
		.amdhsa_system_sgpr_workgroup_info 0
		.amdhsa_system_vgpr_workitem_id 0
		.amdhsa_next_free_vgpr 40
		.amdhsa_next_free_sgpr 58
		.amdhsa_accum_offset 40
		.amdhsa_reserve_vcc 1
		.amdhsa_float_round_mode_32 0
		.amdhsa_float_round_mode_16_64 0
		.amdhsa_float_denorm_mode_32 3
		.amdhsa_float_denorm_mode_16_64 3
		.amdhsa_dx10_clamp 1
		.amdhsa_ieee_mode 1
		.amdhsa_fp16_overflow 0
		.amdhsa_tg_split 0
		.amdhsa_exception_fp_ieee_invalid_op 0
		.amdhsa_exception_fp_denorm_src 0
		.amdhsa_exception_fp_ieee_div_zero 0
		.amdhsa_exception_fp_ieee_overflow 0
		.amdhsa_exception_fp_ieee_underflow 0
		.amdhsa_exception_fp_ieee_inexact 0
		.amdhsa_exception_int_div_zero 0
	.end_amdhsa_kernel
	.section	.text._ZN9rocsparseL41csrgemm_numeric_fill_block_per_row_kernelILj256ELj32ELj512ELj137ELj32ElldEEvT5_PKS1_S3_NS_24const_host_device_scalarIT6_EEPKT4_S3_PKS5_S9_S3_SB_S6_S9_S3_SB_S9_S3_PS5_21rocsparse_index_base_SD_SD_SD_bbb,"axG",@progbits,_ZN9rocsparseL41csrgemm_numeric_fill_block_per_row_kernelILj256ELj32ELj512ELj137ELj32ElldEEvT5_PKS1_S3_NS_24const_host_device_scalarIT6_EEPKT4_S3_PKS5_S9_S3_SB_S6_S9_S3_SB_S9_S3_PS5_21rocsparse_index_base_SD_SD_SD_bbb,comdat
.Lfunc_end104:
	.size	_ZN9rocsparseL41csrgemm_numeric_fill_block_per_row_kernelILj256ELj32ELj512ELj137ELj32ElldEEvT5_PKS1_S3_NS_24const_host_device_scalarIT6_EEPKT4_S3_PKS5_S9_S3_SB_S6_S9_S3_SB_S9_S3_PS5_21rocsparse_index_base_SD_SD_SD_bbb, .Lfunc_end104-_ZN9rocsparseL41csrgemm_numeric_fill_block_per_row_kernelILj256ELj32ELj512ELj137ELj32ElldEEvT5_PKS1_S3_NS_24const_host_device_scalarIT6_EEPKT4_S3_PKS5_S9_S3_SB_S6_S9_S3_SB_S9_S3_PS5_21rocsparse_index_base_SD_SD_SD_bbb
                                        ; -- End function
	.set _ZN9rocsparseL41csrgemm_numeric_fill_block_per_row_kernelILj256ELj32ELj512ELj137ELj32ElldEEvT5_PKS1_S3_NS_24const_host_device_scalarIT6_EEPKT4_S3_PKS5_S9_S3_SB_S6_S9_S3_SB_S9_S3_PS5_21rocsparse_index_base_SD_SD_SD_bbb.num_vgpr, 40
	.set _ZN9rocsparseL41csrgemm_numeric_fill_block_per_row_kernelILj256ELj32ELj512ELj137ELj32ElldEEvT5_PKS1_S3_NS_24const_host_device_scalarIT6_EEPKT4_S3_PKS5_S9_S3_SB_S6_S9_S3_SB_S9_S3_PS5_21rocsparse_index_base_SD_SD_SD_bbb.num_agpr, 0
	.set _ZN9rocsparseL41csrgemm_numeric_fill_block_per_row_kernelILj256ELj32ELj512ELj137ELj32ElldEEvT5_PKS1_S3_NS_24const_host_device_scalarIT6_EEPKT4_S3_PKS5_S9_S3_SB_S6_S9_S3_SB_S9_S3_PS5_21rocsparse_index_base_SD_SD_SD_bbb.numbered_sgpr, 58
	.set _ZN9rocsparseL41csrgemm_numeric_fill_block_per_row_kernelILj256ELj32ELj512ELj137ELj32ElldEEvT5_PKS1_S3_NS_24const_host_device_scalarIT6_EEPKT4_S3_PKS5_S9_S3_SB_S6_S9_S3_SB_S9_S3_PS5_21rocsparse_index_base_SD_SD_SD_bbb.num_named_barrier, 0
	.set _ZN9rocsparseL41csrgemm_numeric_fill_block_per_row_kernelILj256ELj32ELj512ELj137ELj32ElldEEvT5_PKS1_S3_NS_24const_host_device_scalarIT6_EEPKT4_S3_PKS5_S9_S3_SB_S6_S9_S3_SB_S9_S3_PS5_21rocsparse_index_base_SD_SD_SD_bbb.private_seg_size, 0
	.set _ZN9rocsparseL41csrgemm_numeric_fill_block_per_row_kernelILj256ELj32ELj512ELj137ELj32ElldEEvT5_PKS1_S3_NS_24const_host_device_scalarIT6_EEPKT4_S3_PKS5_S9_S3_SB_S6_S9_S3_SB_S9_S3_PS5_21rocsparse_index_base_SD_SD_SD_bbb.uses_vcc, 1
	.set _ZN9rocsparseL41csrgemm_numeric_fill_block_per_row_kernelILj256ELj32ELj512ELj137ELj32ElldEEvT5_PKS1_S3_NS_24const_host_device_scalarIT6_EEPKT4_S3_PKS5_S9_S3_SB_S6_S9_S3_SB_S9_S3_PS5_21rocsparse_index_base_SD_SD_SD_bbb.uses_flat_scratch, 0
	.set _ZN9rocsparseL41csrgemm_numeric_fill_block_per_row_kernelILj256ELj32ELj512ELj137ELj32ElldEEvT5_PKS1_S3_NS_24const_host_device_scalarIT6_EEPKT4_S3_PKS5_S9_S3_SB_S6_S9_S3_SB_S9_S3_PS5_21rocsparse_index_base_SD_SD_SD_bbb.has_dyn_sized_stack, 0
	.set _ZN9rocsparseL41csrgemm_numeric_fill_block_per_row_kernelILj256ELj32ELj512ELj137ELj32ElldEEvT5_PKS1_S3_NS_24const_host_device_scalarIT6_EEPKT4_S3_PKS5_S9_S3_SB_S6_S9_S3_SB_S9_S3_PS5_21rocsparse_index_base_SD_SD_SD_bbb.has_recursion, 0
	.set _ZN9rocsparseL41csrgemm_numeric_fill_block_per_row_kernelILj256ELj32ELj512ELj137ELj32ElldEEvT5_PKS1_S3_NS_24const_host_device_scalarIT6_EEPKT4_S3_PKS5_S9_S3_SB_S6_S9_S3_SB_S9_S3_PS5_21rocsparse_index_base_SD_SD_SD_bbb.has_indirect_call, 0
	.section	.AMDGPU.csdata,"",@progbits
; Kernel info:
; codeLenInByte = 2764
; TotalNumSgprs: 64
; NumVgprs: 40
; NumAgprs: 0
; TotalNumVgprs: 40
; ScratchSize: 0
; MemoryBound: 0
; FloatMode: 240
; IeeeMode: 1
; LDSByteSize: 0 bytes/workgroup (compile time only)
; SGPRBlocks: 7
; VGPRBlocks: 4
; NumSGPRsForWavesPerEU: 64
; NumVGPRsForWavesPerEU: 40
; AccumOffset: 40
; Occupancy: 8
; WaveLimiterHint : 1
; COMPUTE_PGM_RSRC2:SCRATCH_EN: 0
; COMPUTE_PGM_RSRC2:USER_SGPR: 2
; COMPUTE_PGM_RSRC2:TRAP_HANDLER: 0
; COMPUTE_PGM_RSRC2:TGID_X_EN: 1
; COMPUTE_PGM_RSRC2:TGID_Y_EN: 0
; COMPUTE_PGM_RSRC2:TGID_Z_EN: 0
; COMPUTE_PGM_RSRC2:TIDIG_COMP_CNT: 0
; COMPUTE_PGM_RSRC3_GFX90A:ACCUM_OFFSET: 9
; COMPUTE_PGM_RSRC3_GFX90A:TG_SPLIT: 0
	.section	.text._ZN9rocsparseL41csrgemm_numeric_fill_block_per_row_kernelILj256ELj32ELj512ELj137ELj64ElldEEvT5_PKS1_S3_NS_24const_host_device_scalarIT6_EEPKT4_S3_PKS5_S9_S3_SB_S6_S9_S3_SB_S9_S3_PS5_21rocsparse_index_base_SD_SD_SD_bbb,"axG",@progbits,_ZN9rocsparseL41csrgemm_numeric_fill_block_per_row_kernelILj256ELj32ELj512ELj137ELj64ElldEEvT5_PKS1_S3_NS_24const_host_device_scalarIT6_EEPKT4_S3_PKS5_S9_S3_SB_S6_S9_S3_SB_S9_S3_PS5_21rocsparse_index_base_SD_SD_SD_bbb,comdat
	.globl	_ZN9rocsparseL41csrgemm_numeric_fill_block_per_row_kernelILj256ELj32ELj512ELj137ELj64ElldEEvT5_PKS1_S3_NS_24const_host_device_scalarIT6_EEPKT4_S3_PKS5_S9_S3_SB_S6_S9_S3_SB_S9_S3_PS5_21rocsparse_index_base_SD_SD_SD_bbb ; -- Begin function _ZN9rocsparseL41csrgemm_numeric_fill_block_per_row_kernelILj256ELj32ELj512ELj137ELj64ElldEEvT5_PKS1_S3_NS_24const_host_device_scalarIT6_EEPKT4_S3_PKS5_S9_S3_SB_S6_S9_S3_SB_S9_S3_PS5_21rocsparse_index_base_SD_SD_SD_bbb
	.p2align	8
	.type	_ZN9rocsparseL41csrgemm_numeric_fill_block_per_row_kernelILj256ELj32ELj512ELj137ELj64ElldEEvT5_PKS1_S3_NS_24const_host_device_scalarIT6_EEPKT4_S3_PKS5_S9_S3_SB_S6_S9_S3_SB_S9_S3_PS5_21rocsparse_index_base_SD_SD_SD_bbb,@function
_ZN9rocsparseL41csrgemm_numeric_fill_block_per_row_kernelILj256ELj32ELj512ELj137ELj64ElldEEvT5_PKS1_S3_NS_24const_host_device_scalarIT6_EEPKT4_S3_PKS5_S9_S3_SB_S6_S9_S3_SB_S9_S3_PS5_21rocsparse_index_base_SD_SD_SD_bbb: ; @_ZN9rocsparseL41csrgemm_numeric_fill_block_per_row_kernelILj256ELj32ELj512ELj137ELj64ElldEEvT5_PKS1_S3_NS_24const_host_device_scalarIT6_EEPKT4_S3_PKS5_S9_S3_SB_S6_S9_S3_SB_S9_S3_PS5_21rocsparse_index_base_SD_SD_SD_bbb
; %bb.0:
	s_load_dword s3, s[0:1], 0x98
	s_load_dwordx2 s[6:7], s[0:1], 0x18
	s_load_dwordx2 s[4:5], s[0:1], 0x50
	s_waitcnt lgkmcnt(0)
	s_bitcmp1_b32 s3, 0
	s_cselect_b64 s[40:41], -1, 0
	s_bitcmp1_b32 s3, 16
	s_cselect_b64 s[8:9], -1, 0
	s_xor_b64 s[10:11], s[40:41], -1
	s_or_b64 s[10:11], s[8:9], s[10:11]
	s_and_b64 s[12:13], s[40:41], exec
	s_cselect_b32 s13, s7, 0
	s_cselect_b32 s12, s6, 0
	s_and_b64 vcc, exec, s[10:11]
	v_mov_b64_e32 v[4:5], s[12:13]
	s_cbranch_vccnz .LBB105_2
; %bb.1:
	v_mov_b64_e32 v[2:3], s[6:7]
	flat_load_dwordx2 v[4:5], v[2:3]
.LBB105_2:
	s_bitcmp1_b32 s3, 8
	s_cselect_b64 s[6:7], -1, 0
	s_load_dwordx4 s[16:19], s[0:1], 0x88
	s_xor_b64 s[10:11], s[6:7], -1
	s_or_b64 s[8:9], s[8:9], s[10:11]
	s_and_b64 s[10:11], s[6:7], exec
	s_cselect_b32 s11, s5, 0
	s_cselect_b32 s10, s4, 0
	s_and_b64 vcc, exec, s[8:9]
	v_mov_b64_e32 v[2:3], s[10:11]
	s_cbranch_vccnz .LBB105_4
; %bb.3:
	v_mov_b64_e32 v[2:3], s[4:5]
	flat_load_dwordx2 v[2:3], v[2:3]
.LBB105_4:
	s_load_dwordx2 s[34:35], s[0:1], 0x80
	s_load_dwordx2 s[36:37], s[0:1], 0x70
	;; [unrolled: 1-line block ×3, first 2 shown]
	s_load_dwordx4 s[20:23], s[0:1], 0x0
	s_load_dwordx2 s[42:43], s[0:1], 0x10
	s_load_dwordx8 s[8:15], s[0:1], 0x20
	s_movk_i32 s3, 0x200
	v_cmp_gt_u32_e64 s[4:5], s3, v0
	v_lshl_add_u32 v1, v0, 3, 0
	s_and_saveexec_b64 s[24:25], s[4:5]
	s_cbranch_execz .LBB105_7
; %bb.5:
	v_mov_b32_e32 v6, 0
	v_or_b32_e32 v10, 0xffffff00, v0
	v_lshl_add_u32 v11, v0, 3, 0
	s_mov_b64 s[26:27], 0
	s_waitcnt lgkmcnt(0)
	v_mov_b64_e32 v[8:9], s[20:21]
	v_mov_b32_e32 v7, v6
.LBB105_6:                              ; =>This Inner Loop Header: Depth=1
	v_add_co_u32_e32 v10, vcc, 0x100, v10
	s_xor_b64 s[28:29], vcc, -1
	s_and_b64 s[28:29], exec, s[28:29]
	ds_write2st64_b64 v11, v[8:9], v[6:7] offset1:8
	s_or_b64 s[26:27], s[28:29], s[26:27]
	v_add_u32_e32 v11, 0x800, v11
	s_andn2_b64 exec, exec, s[26:27]
	s_cbranch_execnz .LBB105_6
.LBB105_7:
	s_or_b64 exec, exec, s[24:25]
	s_load_dwordx4 s[24:27], s[0:1], 0x60
	s_load_dwordx4 s[28:31], s[0:1], 0x40
	s_waitcnt lgkmcnt(0)
	s_barrier
	s_load_dwordx2 s[0:1], s[22:23], 0x0
	s_mov_b32 s3, 0
	s_waitcnt lgkmcnt(0)
	s_lshl_b64 s[0:1], s[0:1], 3
	s_add_u32 s22, s42, s0
	s_addc_u32 s23, s43, s1
	s_lshl_b64 s[0:1], s[2:3], 3
	s_add_u32 s0, s22, s0
	s_addc_u32 s1, s23, s1
	s_load_dwordx2 s[22:23], s[0:1], 0x0
	s_and_b64 vcc, exec, s[40:41]
	s_cbranch_vccz .LBB105_27
; %bb.8:
	s_waitcnt lgkmcnt(0)
	s_lshl_b64 s[0:1], s[22:23], 3
	s_add_u32 s0, s8, s0
	s_addc_u32 s1, s9, s1
	s_load_dwordx4 s[40:43], s[0:1], 0x0
	v_lshrrev_b32_e32 v6, 5, v0
	v_subrev_co_u32_e32 v6, vcc, s16, v6
	s_waitcnt lgkmcnt(0)
	s_sub_u32 s0, s42, s16
	v_subb_co_u32_e64 v7, s[2:3], 0, 0, vcc
	s_subb_u32 s1, s43, 0
	v_lshl_add_u64 v[6:7], s[40:41], 0, v[6:7]
	v_cmp_gt_i64_e32 vcc, s[0:1], v[6:7]
	s_and_saveexec_b64 s[2:3], vcc
	s_cbranch_execz .LBB105_26
; %bb.9:
	v_and_b32_e32 v8, 31, v0
	v_subrev_co_u32_e32 v8, vcc, s17, v8
	s_mov_b32 s33, s17
	s_nop 0
	v_subb_co_u32_e64 v9, s[8:9], 0, 0, vcc
	s_mov_b64 s[8:9], 0
	s_movk_i32 s17, 0x89
	s_branch .LBB105_11
.LBB105_10:                             ;   in Loop: Header=BB105_11 Depth=1
	s_or_b64 exec, exec, s[40:41]
	v_lshl_add_u64 v[6:7], v[6:7], 0, 8
	v_cmp_le_i64_e32 vcc, s[0:1], v[6:7]
	s_or_b64 s[8:9], vcc, s[8:9]
	s_andn2_b64 exec, exec, s[8:9]
	s_cbranch_execz .LBB105_26
.LBB105_11:                             ; =>This Loop Header: Depth=1
                                        ;     Child Loop BB105_15 Depth 2
                                        ;       Child Loop BB105_18 Depth 3
	v_lshl_add_u64 v[10:11], v[6:7], 3, s[10:11]
	global_load_dwordx2 v[10:11], v[10:11], off
	s_waitcnt vmcnt(0)
	v_subrev_co_u32_e32 v10, vcc, s16, v10
	s_nop 1
	v_subbrev_co_u32_e32 v11, vcc, 0, v11, vcc
	v_lshl_add_u64 v[10:11], v[10:11], 3, s[14:15]
	global_load_dwordx4 v[12:15], v[10:11], off
	s_waitcnt vmcnt(0)
	v_subrev_co_u32_e32 v10, vcc, s33, v14
	s_nop 1
	v_subbrev_co_u32_e32 v11, vcc, 0, v15, vcc
	v_lshl_add_u64 v[12:13], v[12:13], 0, v[8:9]
	v_cmp_lt_i64_e32 vcc, v[12:13], v[10:11]
	s_and_saveexec_b64 s[40:41], vcc
	s_cbranch_execz .LBB105_10
; %bb.12:                               ;   in Loop: Header=BB105_11 Depth=1
	v_lshl_add_u64 v[14:15], v[6:7], 3, s[12:13]
	global_load_dwordx2 v[14:15], v[14:15], off
	s_mov_b64 s[42:43], 0
	s_waitcnt vmcnt(0)
	v_mul_f64 v[14:15], v[4:5], v[14:15]
	s_branch .LBB105_15
.LBB105_13:                             ;   in Loop: Header=BB105_15 Depth=2
	s_or_b64 exec, exec, s[46:47]
.LBB105_14:                             ;   in Loop: Header=BB105_15 Depth=2
	s_or_b64 exec, exec, s[44:45]
	s_waitcnt vmcnt(0)
	v_mul_f64 v[16:17], v[14:15], v[16:17]
	v_lshl_add_u32 v18, v20, 3, 0
	ds_add_f64 v18, v[16:17] offset:4096
	v_lshl_add_u64 v[12:13], v[12:13], 0, 32
	v_cmp_ge_i64_e32 vcc, v[12:13], v[10:11]
	s_or_b64 s[42:43], vcc, s[42:43]
	s_andn2_b64 exec, exec, s[42:43]
	s_cbranch_execz .LBB105_10
.LBB105_15:                             ;   Parent Loop BB105_11 Depth=1
                                        ; =>  This Loop Header: Depth=2
                                        ;       Child Loop BB105_18 Depth 3
	v_lshlrev_b64 v[16:17], 3, v[12:13]
	v_lshl_add_u64 v[18:19], s[28:29], 0, v[16:17]
	global_load_dwordx2 v[18:19], v[18:19], off
	v_lshl_add_u64 v[16:17], s[30:31], 0, v[16:17]
	global_load_dwordx2 v[16:17], v[16:17], off
	s_waitcnt vmcnt(1)
	v_subrev_co_u32_e32 v18, vcc, s33, v18
	v_mul_lo_u32 v20, v18, s17
	v_and_b32_e32 v20, 0x1ff, v20
	v_lshl_add_u32 v26, v20, 3, 0
	ds_read_b64 v[24:25], v26
	v_subbrev_co_u32_e32 v19, vcc, 0, v19, vcc
	s_waitcnt lgkmcnt(0)
	v_cmp_ne_u64_e32 vcc, v[24:25], v[18:19]
	s_and_saveexec_b64 s[44:45], vcc
	s_cbranch_execz .LBB105_14
; %bb.16:                               ;   in Loop: Header=BB105_15 Depth=2
	s_mov_b64 s[46:47], 0
                                        ; implicit-def: $sgpr48_sgpr49
                                        ; implicit-def: $sgpr50_sgpr51
	s_branch .LBB105_18
.LBB105_17:                             ;   in Loop: Header=BB105_18 Depth=3
	s_or_b64 exec, exec, s[56:57]
	s_and_b64 s[52:53], exec, s[54:55]
	s_or_b64 s[46:47], s[52:53], s[46:47]
	s_andn2_b64 s[48:49], s[48:49], exec
	s_and_b64 s[52:53], s[50:51], exec
	s_or_b64 s[48:49], s[48:49], s[52:53]
	s_andn2_b64 exec, exec, s[46:47]
	s_cbranch_execz .LBB105_24
.LBB105_18:                             ;   Parent Loop BB105_11 Depth=1
                                        ;     Parent Loop BB105_15 Depth=2
                                        ; =>    This Inner Loop Header: Depth=3
	v_mov_b64_e32 v[22:23], v[20:21]
	v_cmp_ne_u64_e32 vcc, s[20:21], v[24:25]
	s_mov_b64 s[52:53], 0
                                        ; implicit-def: $vgpr20_vgpr21
	s_and_saveexec_b64 s[54:55], vcc
	s_xor_b64 s[54:55], exec, s[54:55]
; %bb.19:                               ;   in Loop: Header=BB105_18 Depth=3
	v_add_u32_e32 v20, 1, v22
	s_mov_b64 s[52:53], exec
	v_and_b32_e32 v20, 0x1ff, v20
                                        ; implicit-def: $vgpr26
; %bb.20:                               ;   in Loop: Header=BB105_18 Depth=3
	s_andn2_saveexec_b64 s[54:55], s[54:55]
	s_cbranch_execz .LBB105_22
; %bb.21:                               ;   in Loop: Header=BB105_18 Depth=3
	v_mov_b64_e32 v[20:21], s[20:21]
	ds_cmpst_rtn_b64 v[20:21], v26, v[20:21], v[18:19]
	s_andn2_b64 s[52:53], s[52:53], exec
	s_waitcnt lgkmcnt(0)
	v_cmp_ne_u64_e32 vcc, s[20:21], v[20:21]
	s_and_b64 s[56:57], vcc, exec
	s_or_b64 s[52:53], s[52:53], s[56:57]
	v_mov_b64_e32 v[20:21], v[22:23]
.LBB105_22:                             ;   in Loop: Header=BB105_18 Depth=3
	s_or_b64 exec, exec, s[54:55]
	s_mov_b64 s[54:55], -1
	s_or_b64 s[50:51], s[50:51], exec
                                        ; implicit-def: $vgpr26
                                        ; implicit-def: $vgpr24_vgpr25
	s_and_saveexec_b64 s[56:57], s[52:53]
	s_cbranch_execz .LBB105_17
; %bb.23:                               ;   in Loop: Header=BB105_18 Depth=3
	v_lshl_add_u32 v26, v20, 3, 0
	ds_read_b64 v[24:25], v26
	s_andn2_b64 s[50:51], s[50:51], exec
	s_waitcnt lgkmcnt(0)
	v_cmp_eq_u64_e32 vcc, v[24:25], v[18:19]
	s_orn2_b64 s[54:55], vcc, exec
	s_branch .LBB105_17
.LBB105_24:                             ;   in Loop: Header=BB105_15 Depth=2
	s_or_b64 exec, exec, s[46:47]
	s_and_saveexec_b64 s[46:47], s[48:49]
	s_xor_b64 s[46:47], exec, s[46:47]
	s_cbranch_execz .LBB105_13
; %bb.25:                               ;   in Loop: Header=BB105_15 Depth=2
	v_mov_b32_e32 v20, v22
	s_branch .LBB105_13
.LBB105_26:
	s_or_b64 exec, exec, s[2:3]
.LBB105_27:
	s_andn2_b64 vcc, exec, s[6:7]
	s_cbranch_vccnz .LBB105_44
; %bb.28:
	s_waitcnt lgkmcnt(0)
	s_lshl_b64 s[0:1], s[22:23], 3
	s_add_u32 s0, s38, s0
	s_addc_u32 s1, s39, s1
	s_load_dwordx4 s[8:11], s[0:1], 0x0
	s_waitcnt vmcnt(0)
	v_subrev_co_u32_e32 v4, vcc, s19, v0
	s_waitcnt lgkmcnt(0)
	s_sub_u32 s0, s10, s19
	v_subb_co_u32_e64 v5, s[2:3], 0, 0, vcc
	s_subb_u32 s1, s11, 0
	v_lshl_add_u64 v[4:5], s[8:9], 0, v[4:5]
	v_cmp_gt_i64_e32 vcc, s[0:1], v[4:5]
	s_and_saveexec_b64 s[2:3], vcc
	s_cbranch_execz .LBB105_43
; %bb.29:
	s_mov_b32 s33, s19
	s_mov_b64 s[6:7], 0
	s_movk_i32 s19, 0x89
	s_mov_b64 s[8:9], 0x100
	s_branch .LBB105_32
.LBB105_30:                             ;   in Loop: Header=BB105_32 Depth=1
	s_or_b64 exec, exec, s[12:13]
.LBB105_31:                             ;   in Loop: Header=BB105_32 Depth=1
	s_or_b64 exec, exec, s[10:11]
	s_waitcnt vmcnt(0)
	v_mul_f64 v[6:7], v[2:3], v[6:7]
	v_lshl_add_u32 v8, v10, 3, 0
	ds_add_f64 v8, v[6:7] offset:4096
	v_lshl_add_u64 v[4:5], v[4:5], 0, s[8:9]
	v_cmp_le_i64_e32 vcc, s[0:1], v[4:5]
	s_or_b64 s[6:7], vcc, s[6:7]
	s_andn2_b64 exec, exec, s[6:7]
	s_cbranch_execz .LBB105_43
.LBB105_32:                             ; =>This Loop Header: Depth=1
                                        ;     Child Loop BB105_35 Depth 2
	v_lshlrev_b64 v[6:7], 3, v[4:5]
	v_lshl_add_u64 v[8:9], s[24:25], 0, v[6:7]
	global_load_dwordx2 v[8:9], v[8:9], off
	v_lshl_add_u64 v[6:7], s[26:27], 0, v[6:7]
	global_load_dwordx2 v[6:7], v[6:7], off
	s_waitcnt vmcnt(1)
	v_subrev_co_u32_e32 v8, vcc, s33, v8
	v_mul_lo_u32 v10, v8, s19
	v_and_b32_e32 v10, 0x1ff, v10
	v_lshl_add_u32 v16, v10, 3, 0
	ds_read_b64 v[14:15], v16
	v_subbrev_co_u32_e32 v9, vcc, 0, v9, vcc
	s_waitcnt lgkmcnt(0)
	v_cmp_ne_u64_e32 vcc, v[14:15], v[8:9]
	s_and_saveexec_b64 s[10:11], vcc
	s_cbranch_execz .LBB105_31
; %bb.33:                               ;   in Loop: Header=BB105_32 Depth=1
	s_mov_b64 s[12:13], 0
                                        ; implicit-def: $sgpr14_sgpr15
                                        ; implicit-def: $sgpr16_sgpr17
	s_branch .LBB105_35
.LBB105_34:                             ;   in Loop: Header=BB105_35 Depth=2
	s_or_b64 exec, exec, s[38:39]
	s_and_b64 s[28:29], exec, s[30:31]
	s_or_b64 s[12:13], s[28:29], s[12:13]
	s_andn2_b64 s[14:15], s[14:15], exec
	s_and_b64 s[28:29], s[16:17], exec
	s_or_b64 s[14:15], s[14:15], s[28:29]
	s_andn2_b64 exec, exec, s[12:13]
	s_cbranch_execz .LBB105_41
.LBB105_35:                             ;   Parent Loop BB105_32 Depth=1
                                        ; =>  This Inner Loop Header: Depth=2
	v_mov_b64_e32 v[12:13], v[10:11]
	v_cmp_ne_u64_e32 vcc, s[20:21], v[14:15]
	s_mov_b64 s[28:29], 0
                                        ; implicit-def: $vgpr10_vgpr11
	s_and_saveexec_b64 s[30:31], vcc
	s_xor_b64 s[30:31], exec, s[30:31]
; %bb.36:                               ;   in Loop: Header=BB105_35 Depth=2
	v_add_u32_e32 v10, 1, v12
	s_mov_b64 s[28:29], exec
	v_and_b32_e32 v10, 0x1ff, v10
                                        ; implicit-def: $vgpr16
; %bb.37:                               ;   in Loop: Header=BB105_35 Depth=2
	s_andn2_saveexec_b64 s[30:31], s[30:31]
	s_cbranch_execz .LBB105_39
; %bb.38:                               ;   in Loop: Header=BB105_35 Depth=2
	v_mov_b64_e32 v[10:11], s[20:21]
	ds_cmpst_rtn_b64 v[10:11], v16, v[10:11], v[8:9]
	s_andn2_b64 s[28:29], s[28:29], exec
	s_waitcnt lgkmcnt(0)
	v_cmp_ne_u64_e32 vcc, s[20:21], v[10:11]
	s_and_b64 s[38:39], vcc, exec
	s_or_b64 s[28:29], s[28:29], s[38:39]
	v_mov_b64_e32 v[10:11], v[12:13]
.LBB105_39:                             ;   in Loop: Header=BB105_35 Depth=2
	s_or_b64 exec, exec, s[30:31]
	s_mov_b64 s[30:31], -1
	s_or_b64 s[16:17], s[16:17], exec
                                        ; implicit-def: $vgpr16
                                        ; implicit-def: $vgpr14_vgpr15
	s_and_saveexec_b64 s[38:39], s[28:29]
	s_cbranch_execz .LBB105_34
; %bb.40:                               ;   in Loop: Header=BB105_35 Depth=2
	v_lshl_add_u32 v16, v10, 3, 0
	ds_read_b64 v[14:15], v16
	s_andn2_b64 s[16:17], s[16:17], exec
	s_waitcnt lgkmcnt(0)
	v_cmp_eq_u64_e32 vcc, v[14:15], v[8:9]
	s_orn2_b64 s[30:31], vcc, exec
	s_branch .LBB105_34
.LBB105_41:                             ;   in Loop: Header=BB105_32 Depth=1
	s_or_b64 exec, exec, s[12:13]
	s_and_saveexec_b64 s[12:13], s[14:15]
	s_xor_b64 s[12:13], exec, s[12:13]
	s_cbranch_execz .LBB105_30
; %bb.42:                               ;   in Loop: Header=BB105_32 Depth=1
	v_mov_b32_e32 v10, v12
	s_branch .LBB105_30
.LBB105_43:
	s_or_b64 exec, exec, s[2:3]
.LBB105_44:
	s_waitcnt lgkmcnt(0)
	s_barrier
	s_and_saveexec_b64 s[8:9], s[4:5]
	s_cbranch_execz .LBB105_57
; %bb.45:
	s_waitcnt vmcnt(0)
	v_mbcnt_lo_u32_b32 v2, -1, 0
	v_mbcnt_hi_u32_b32 v2, -1, v2
	v_sub_u32_e32 v2, 63, v2
	v_lshrrev_b64 v[8:9], v2, -1
	v_lshrrev_b32_e32 v2, 3, v0
	v_and_b32_e32 v2, 24, v2
	s_movk_i32 s0, 0xff
	s_movk_i32 s4, 0x7f
	;; [unrolled: 1-line block ×3, first 2 shown]
	v_mov_b32_e32 v7, 0
	v_add_u32_e32 v14, 0, v2
	v_cmp_eq_u32_e64 s[0:1], s0, v0
	v_cmp_lt_u32_e64 s[2:3], 63, v0
	v_cmp_lt_u32_e64 s[4:5], s4, v0
	;; [unrolled: 1-line block ×3, first 2 shown]
	v_or_b32_e32 v15, 0xffffff00, v0
	s_mov_b64 s[10:11], 0
	v_mov_b64_e32 v[10:11], 0
	s_branch .LBB105_47
.LBB105_46:                             ;   in Loop: Header=BB105_47 Depth=1
	s_or_b64 exec, exec, s[12:13]
	s_waitcnt lgkmcnt(0)
	s_barrier
	ds_read_b64 v[2:3], v7 offset:8216
	v_add_co_u32_e32 v15, vcc, 0x100, v15
	s_xor_b64 s[12:13], vcc, -1
	s_and_b64 s[12:13], exec, s[12:13]
	s_waitcnt lgkmcnt(0)
	v_lshl_add_u64 v[10:11], v[2:3], 0, v[10:11]
	s_or_b64 s[10:11], s[12:13], s[10:11]
	v_add_u32_e32 v1, 0x800, v1
	s_andn2_b64 exec, exec, s[10:11]
	s_cbranch_execz .LBB105_57
.LBB105_47:                             ; =>This Inner Loop Header: Depth=1
	ds_read2st64_b64 v[2:5], v1 offset1:8
	s_waitcnt lgkmcnt(0)
	s_barrier
	v_cmp_gt_i64_e32 vcc, s[20:21], v[2:3]
	s_bcnt1_i32_b64 s12, vcc
	s_nop 0
	v_and_b32_e32 v13, vcc_lo, v8
	v_and_b32_e32 v12, vcc_hi, v9
	v_bcnt_u32_b32 v13, v13, 0
	v_mov_b32_e32 v6, s12
	v_bcnt_u32_b32 v12, v12, v13
	ds_write_b64 v14, v[6:7] offset:8192
	s_waitcnt lgkmcnt(0)
	s_barrier
	s_and_saveexec_b64 s[12:13], s[2:3]
	s_cbranch_execnz .LBB105_52
; %bb.48:                               ;   in Loop: Header=BB105_47 Depth=1
	s_or_b64 exec, exec, s[12:13]
	s_and_saveexec_b64 s[12:13], s[4:5]
	s_cbranch_execnz .LBB105_53
.LBB105_49:                             ;   in Loop: Header=BB105_47 Depth=1
	s_or_b64 exec, exec, s[12:13]
	s_and_saveexec_b64 s[12:13], s[6:7]
	s_cbranch_execnz .LBB105_54
.LBB105_50:                             ;   in Loop: Header=BB105_47 Depth=1
	s_or_b64 exec, exec, s[12:13]
	v_ashrrev_i32_e32 v13, 31, v12
	s_and_saveexec_b64 s[12:13], vcc
	s_cbranch_execnz .LBB105_55
.LBB105_51:                             ;   in Loop: Header=BB105_47 Depth=1
	s_or_b64 exec, exec, s[12:13]
	s_and_saveexec_b64 s[12:13], s[0:1]
	s_cbranch_execz .LBB105_46
	s_branch .LBB105_56
.LBB105_52:                             ;   in Loop: Header=BB105_47 Depth=1
	ds_read_b32 v6, v7 offset:8192
	s_waitcnt lgkmcnt(0)
	v_add_u32_e32 v12, v6, v12
	s_or_b64 exec, exec, s[12:13]
	s_and_saveexec_b64 s[12:13], s[4:5]
	s_cbranch_execz .LBB105_49
.LBB105_53:                             ;   in Loop: Header=BB105_47 Depth=1
	ds_read_b32 v6, v7 offset:8200
	s_waitcnt lgkmcnt(0)
	v_add_u32_e32 v12, v12, v6
	s_or_b64 exec, exec, s[12:13]
	s_and_saveexec_b64 s[12:13], s[6:7]
	s_cbranch_execz .LBB105_50
.LBB105_54:                             ;   in Loop: Header=BB105_47 Depth=1
	ds_read_b32 v6, v7 offset:8208
	s_waitcnt lgkmcnt(0)
	v_add_u32_e32 v12, v12, v6
	s_or_b64 exec, exec, s[12:13]
	v_ashrrev_i32_e32 v13, 31, v12
	s_and_saveexec_b64 s[12:13], vcc
	s_cbranch_execz .LBB105_51
.LBB105_55:                             ;   in Loop: Header=BB105_47 Depth=1
	v_add3_u32 v6, v10, -1, v12
	v_lshl_add_u32 v6, v6, 3, 0
	v_add_u32_e32 v16, v10, v12
	v_lshl_add_u32 v16, v16, 3, 0
	ds_write_b64 v6, v[2:3]
	ds_write_b64 v16, v[4:5] offset:4088
	s_or_b64 exec, exec, s[12:13]
	s_and_saveexec_b64 s[12:13], s[0:1]
	s_cbranch_execz .LBB105_46
.LBB105_56:                             ;   in Loop: Header=BB105_47 Depth=1
	ds_write_b64 v7, v[12:13] offset:8216
	s_branch .LBB105_46
.LBB105_57:
	s_or_b64 exec, exec, s[8:9]
	s_lshl_b64 s[0:1], s[22:23], 3
	s_add_u32 s4, s36, s0
	s_addc_u32 s5, s37, s1
	s_load_dwordx4 s[0:3], s[4:5], 0x0
	v_mov_b32_e32 v1, 0
	s_waitcnt lgkmcnt(0)
	s_sub_u32 s4, s2, s0
	s_subb_u32 s5, s3, s1
	v_cmp_gt_i64_e32 vcc, s[4:5], v[0:1]
	s_and_saveexec_b64 s[6:7], vcc
	s_cbranch_execz .LBB105_67
; %bb.58:
	s_sub_u32 s8, s0, s18
	s_subb_u32 s9, s1, 0
	s_and_b32 s6, s4, 7
	s_sub_u32 s0, s0, s2
	s_mov_b32 s7, 0
	s_subb_u32 s1, s1, s3
	s_and_b32 s10, s4, -8
	s_cmp_lg_u64 s[6:7], 0
	v_cmp_lt_u64_e64 s[0:1], s[0:1], -7
	s_cselect_b64 s[2:3], -1, 0
	s_mov_b32 s11, s5
	s_waitcnt vmcnt(0)
	v_cndmask_b32_e64 v2, 0, 1, s[0:1]
	v_cmp_ne_u32_e64 s[0:1], 1, v2
	v_cndmask_b32_e64 v2, 0, 1, s[2:3]
	s_mov_b64 s[12:13], 0
	v_cmp_ne_u32_e64 s[2:3], 1, v2
	s_mov_b64 s[14:15], 0x100
	s_branch .LBB105_60
.LBB105_59:                             ;   in Loop: Header=BB105_60 Depth=1
	v_lshl_add_u64 v[0:1], v[0:1], 0, s[14:15]
	v_cmp_le_i64_e32 vcc, s[4:5], v[0:1]
	s_waitcnt lgkmcnt(0)
	v_lshl_add_u64 v[2:3], v[6:7], 3, s[34:35]
	s_or_b64 s[12:13], vcc, s[12:13]
	global_store_dwordx2 v[2:3], v[4:5], off
	s_andn2_b64 exec, exec, s[12:13]
	s_cbranch_execz .LBB105_67
.LBB105_60:                             ; =>This Loop Header: Depth=1
                                        ;     Child Loop BB105_62 Depth 2
                                        ;     Child Loop BB105_66 Depth 2
	v_lshl_add_u32 v2, v0, 3, 0
	ds_read2st64_b64 v[2:5], v2 offset1:8
	s_and_b64 vcc, exec, s[0:1]
	v_mov_b64_e32 v[6:7], s[8:9]
	s_mov_b64 s[16:17], 0
	s_cbranch_vccnz .LBB105_64
; %bb.61:                               ;   in Loop: Header=BB105_60 Depth=1
	s_mov_b32 s18, 0
	v_mov_b64_e32 v[6:7], s[8:9]
.LBB105_62:                             ;   Parent Loop BB105_60 Depth=1
                                        ; =>  This Inner Loop Header: Depth=2
	v_mov_b32_e32 v20, s18
	ds_read2_b64 v[8:11], v20 offset1:1
	ds_read2_b64 v[12:15], v20 offset0:2 offset1:3
	ds_read2_b64 v[16:19], v20 offset0:4 offset1:5
	;; [unrolled: 1-line block ×3, first 2 shown]
	v_mov_b32_e32 v25, s7
	s_waitcnt lgkmcnt(3)
	v_cmp_gt_i64_e32 vcc, v[2:3], v[8:9]
	v_mov_b32_e32 v27, s7
	v_mov_b32_e32 v29, s7
	v_cndmask_b32_e64 v24, 0, 1, vcc
	v_cmp_gt_i64_e32 vcc, v[2:3], v[10:11]
	v_lshl_add_u64 v[6:7], v[6:7], 0, v[24:25]
	v_mov_b32_e32 v31, s7
	v_cndmask_b32_e64 v26, 0, 1, vcc
	s_waitcnt lgkmcnt(2)
	v_cmp_gt_i64_e32 vcc, v[2:3], v[12:13]
	v_lshl_add_u64 v[6:7], v[6:7], 0, v[26:27]
	v_mov_b32_e32 v33, s7
	v_cndmask_b32_e64 v28, 0, 1, vcc
	v_cmp_gt_i64_e32 vcc, v[2:3], v[14:15]
	v_lshl_add_u64 v[6:7], v[6:7], 0, v[28:29]
	v_mov_b32_e32 v35, s7
	v_cndmask_b32_e64 v30, 0, 1, vcc
	s_waitcnt lgkmcnt(1)
	v_cmp_gt_i64_e32 vcc, v[2:3], v[16:17]
	v_lshl_add_u64 v[6:7], v[6:7], 0, v[30:31]
	v_mov_b32_e32 v37, s7
	v_cndmask_b32_e64 v32, 0, 1, vcc
	v_cmp_gt_i64_e32 vcc, v[2:3], v[18:19]
	v_lshl_add_u64 v[6:7], v[6:7], 0, v[32:33]
	s_add_u32 s16, s16, 8
	v_cndmask_b32_e64 v34, 0, 1, vcc
	s_waitcnt lgkmcnt(0)
	v_cmp_gt_i64_e32 vcc, v[2:3], v[20:21]
	v_lshl_add_u64 v[6:7], v[6:7], 0, v[34:35]
	v_mov_b32_e32 v39, s7
	v_cndmask_b32_e64 v36, 0, 1, vcc
	v_cmp_gt_i64_e32 vcc, v[2:3], v[22:23]
	s_addc_u32 s17, s17, 0
	s_add_i32 s18, s18, 64
	v_cndmask_b32_e64 v38, 0, 1, vcc
	v_lshl_add_u64 v[6:7], v[6:7], 0, v[36:37]
	s_cmp_eq_u64 s[10:11], s[16:17]
	v_lshl_add_u64 v[6:7], v[6:7], 0, v[38:39]
	s_cbranch_scc0 .LBB105_62
; %bb.63:                               ;   in Loop: Header=BB105_60 Depth=1
	s_mov_b64 s[16:17], s[10:11]
.LBB105_64:                             ;   in Loop: Header=BB105_60 Depth=1
	s_and_b64 vcc, exec, s[2:3]
	s_cbranch_vccnz .LBB105_59
; %bb.65:                               ;   in Loop: Header=BB105_60 Depth=1
	s_lshl_b32 s16, s16, 3
	s_add_i32 s18, s16, 0
	s_mov_b64 s[16:17], s[6:7]
.LBB105_66:                             ;   Parent Loop BB105_60 Depth=1
                                        ; =>  This Inner Loop Header: Depth=2
	v_mov_b32_e32 v8, s18
	ds_read_b64 v[10:11], v8
	s_add_i32 s18, s18, 8
	s_add_u32 s16, s16, -1
	v_mov_b32_e32 v9, s7
	s_addc_u32 s17, s17, -1
	s_waitcnt lgkmcnt(0)
	v_cmp_gt_i64_e32 vcc, v[2:3], v[10:11]
	s_cmp_lg_u64 s[16:17], 0
	s_nop 0
	v_cndmask_b32_e64 v8, 0, 1, vcc
	v_lshl_add_u64 v[6:7], v[6:7], 0, v[8:9]
	s_cbranch_scc1 .LBB105_66
	s_branch .LBB105_59
.LBB105_67:
	s_endpgm
	.section	.rodata,"a",@progbits
	.p2align	6, 0x0
	.amdhsa_kernel _ZN9rocsparseL41csrgemm_numeric_fill_block_per_row_kernelILj256ELj32ELj512ELj137ELj64ElldEEvT5_PKS1_S3_NS_24const_host_device_scalarIT6_EEPKT4_S3_PKS5_S9_S3_SB_S6_S9_S3_SB_S9_S3_PS5_21rocsparse_index_base_SD_SD_SD_bbb
		.amdhsa_group_segment_fixed_size 0
		.amdhsa_private_segment_fixed_size 0
		.amdhsa_kernarg_size 156
		.amdhsa_user_sgpr_count 2
		.amdhsa_user_sgpr_dispatch_ptr 0
		.amdhsa_user_sgpr_queue_ptr 0
		.amdhsa_user_sgpr_kernarg_segment_ptr 1
		.amdhsa_user_sgpr_dispatch_id 0
		.amdhsa_user_sgpr_kernarg_preload_length 0
		.amdhsa_user_sgpr_kernarg_preload_offset 0
		.amdhsa_user_sgpr_private_segment_size 0
		.amdhsa_uses_dynamic_stack 0
		.amdhsa_enable_private_segment 0
		.amdhsa_system_sgpr_workgroup_id_x 1
		.amdhsa_system_sgpr_workgroup_id_y 0
		.amdhsa_system_sgpr_workgroup_id_z 0
		.amdhsa_system_sgpr_workgroup_info 0
		.amdhsa_system_vgpr_workitem_id 0
		.amdhsa_next_free_vgpr 40
		.amdhsa_next_free_sgpr 58
		.amdhsa_accum_offset 40
		.amdhsa_reserve_vcc 1
		.amdhsa_float_round_mode_32 0
		.amdhsa_float_round_mode_16_64 0
		.amdhsa_float_denorm_mode_32 3
		.amdhsa_float_denorm_mode_16_64 3
		.amdhsa_dx10_clamp 1
		.amdhsa_ieee_mode 1
		.amdhsa_fp16_overflow 0
		.amdhsa_tg_split 0
		.amdhsa_exception_fp_ieee_invalid_op 0
		.amdhsa_exception_fp_denorm_src 0
		.amdhsa_exception_fp_ieee_div_zero 0
		.amdhsa_exception_fp_ieee_overflow 0
		.amdhsa_exception_fp_ieee_underflow 0
		.amdhsa_exception_fp_ieee_inexact 0
		.amdhsa_exception_int_div_zero 0
	.end_amdhsa_kernel
	.section	.text._ZN9rocsparseL41csrgemm_numeric_fill_block_per_row_kernelILj256ELj32ELj512ELj137ELj64ElldEEvT5_PKS1_S3_NS_24const_host_device_scalarIT6_EEPKT4_S3_PKS5_S9_S3_SB_S6_S9_S3_SB_S9_S3_PS5_21rocsparse_index_base_SD_SD_SD_bbb,"axG",@progbits,_ZN9rocsparseL41csrgemm_numeric_fill_block_per_row_kernelILj256ELj32ELj512ELj137ELj64ElldEEvT5_PKS1_S3_NS_24const_host_device_scalarIT6_EEPKT4_S3_PKS5_S9_S3_SB_S6_S9_S3_SB_S9_S3_PS5_21rocsparse_index_base_SD_SD_SD_bbb,comdat
.Lfunc_end105:
	.size	_ZN9rocsparseL41csrgemm_numeric_fill_block_per_row_kernelILj256ELj32ELj512ELj137ELj64ElldEEvT5_PKS1_S3_NS_24const_host_device_scalarIT6_EEPKT4_S3_PKS5_S9_S3_SB_S6_S9_S3_SB_S9_S3_PS5_21rocsparse_index_base_SD_SD_SD_bbb, .Lfunc_end105-_ZN9rocsparseL41csrgemm_numeric_fill_block_per_row_kernelILj256ELj32ELj512ELj137ELj64ElldEEvT5_PKS1_S3_NS_24const_host_device_scalarIT6_EEPKT4_S3_PKS5_S9_S3_SB_S6_S9_S3_SB_S9_S3_PS5_21rocsparse_index_base_SD_SD_SD_bbb
                                        ; -- End function
	.set _ZN9rocsparseL41csrgemm_numeric_fill_block_per_row_kernelILj256ELj32ELj512ELj137ELj64ElldEEvT5_PKS1_S3_NS_24const_host_device_scalarIT6_EEPKT4_S3_PKS5_S9_S3_SB_S6_S9_S3_SB_S9_S3_PS5_21rocsparse_index_base_SD_SD_SD_bbb.num_vgpr, 40
	.set _ZN9rocsparseL41csrgemm_numeric_fill_block_per_row_kernelILj256ELj32ELj512ELj137ELj64ElldEEvT5_PKS1_S3_NS_24const_host_device_scalarIT6_EEPKT4_S3_PKS5_S9_S3_SB_S6_S9_S3_SB_S9_S3_PS5_21rocsparse_index_base_SD_SD_SD_bbb.num_agpr, 0
	.set _ZN9rocsparseL41csrgemm_numeric_fill_block_per_row_kernelILj256ELj32ELj512ELj137ELj64ElldEEvT5_PKS1_S3_NS_24const_host_device_scalarIT6_EEPKT4_S3_PKS5_S9_S3_SB_S6_S9_S3_SB_S9_S3_PS5_21rocsparse_index_base_SD_SD_SD_bbb.numbered_sgpr, 58
	.set _ZN9rocsparseL41csrgemm_numeric_fill_block_per_row_kernelILj256ELj32ELj512ELj137ELj64ElldEEvT5_PKS1_S3_NS_24const_host_device_scalarIT6_EEPKT4_S3_PKS5_S9_S3_SB_S6_S9_S3_SB_S9_S3_PS5_21rocsparse_index_base_SD_SD_SD_bbb.num_named_barrier, 0
	.set _ZN9rocsparseL41csrgemm_numeric_fill_block_per_row_kernelILj256ELj32ELj512ELj137ELj64ElldEEvT5_PKS1_S3_NS_24const_host_device_scalarIT6_EEPKT4_S3_PKS5_S9_S3_SB_S6_S9_S3_SB_S9_S3_PS5_21rocsparse_index_base_SD_SD_SD_bbb.private_seg_size, 0
	.set _ZN9rocsparseL41csrgemm_numeric_fill_block_per_row_kernelILj256ELj32ELj512ELj137ELj64ElldEEvT5_PKS1_S3_NS_24const_host_device_scalarIT6_EEPKT4_S3_PKS5_S9_S3_SB_S6_S9_S3_SB_S9_S3_PS5_21rocsparse_index_base_SD_SD_SD_bbb.uses_vcc, 1
	.set _ZN9rocsparseL41csrgemm_numeric_fill_block_per_row_kernelILj256ELj32ELj512ELj137ELj64ElldEEvT5_PKS1_S3_NS_24const_host_device_scalarIT6_EEPKT4_S3_PKS5_S9_S3_SB_S6_S9_S3_SB_S9_S3_PS5_21rocsparse_index_base_SD_SD_SD_bbb.uses_flat_scratch, 0
	.set _ZN9rocsparseL41csrgemm_numeric_fill_block_per_row_kernelILj256ELj32ELj512ELj137ELj64ElldEEvT5_PKS1_S3_NS_24const_host_device_scalarIT6_EEPKT4_S3_PKS5_S9_S3_SB_S6_S9_S3_SB_S9_S3_PS5_21rocsparse_index_base_SD_SD_SD_bbb.has_dyn_sized_stack, 0
	.set _ZN9rocsparseL41csrgemm_numeric_fill_block_per_row_kernelILj256ELj32ELj512ELj137ELj64ElldEEvT5_PKS1_S3_NS_24const_host_device_scalarIT6_EEPKT4_S3_PKS5_S9_S3_SB_S6_S9_S3_SB_S9_S3_PS5_21rocsparse_index_base_SD_SD_SD_bbb.has_recursion, 0
	.set _ZN9rocsparseL41csrgemm_numeric_fill_block_per_row_kernelILj256ELj32ELj512ELj137ELj64ElldEEvT5_PKS1_S3_NS_24const_host_device_scalarIT6_EEPKT4_S3_PKS5_S9_S3_SB_S6_S9_S3_SB_S9_S3_PS5_21rocsparse_index_base_SD_SD_SD_bbb.has_indirect_call, 0
	.section	.AMDGPU.csdata,"",@progbits
; Kernel info:
; codeLenInByte = 2560
; TotalNumSgprs: 64
; NumVgprs: 40
; NumAgprs: 0
; TotalNumVgprs: 40
; ScratchSize: 0
; MemoryBound: 0
; FloatMode: 240
; IeeeMode: 1
; LDSByteSize: 0 bytes/workgroup (compile time only)
; SGPRBlocks: 7
; VGPRBlocks: 4
; NumSGPRsForWavesPerEU: 64
; NumVGPRsForWavesPerEU: 40
; AccumOffset: 40
; Occupancy: 8
; WaveLimiterHint : 1
; COMPUTE_PGM_RSRC2:SCRATCH_EN: 0
; COMPUTE_PGM_RSRC2:USER_SGPR: 2
; COMPUTE_PGM_RSRC2:TRAP_HANDLER: 0
; COMPUTE_PGM_RSRC2:TGID_X_EN: 1
; COMPUTE_PGM_RSRC2:TGID_Y_EN: 0
; COMPUTE_PGM_RSRC2:TGID_Z_EN: 0
; COMPUTE_PGM_RSRC2:TIDIG_COMP_CNT: 0
; COMPUTE_PGM_RSRC3_GFX90A:ACCUM_OFFSET: 9
; COMPUTE_PGM_RSRC3_GFX90A:TG_SPLIT: 0
	.section	.text._ZN9rocsparseL41csrgemm_numeric_fill_block_per_row_kernelILj512ELj32ELj1024ELj137ELj32ElldEEvT5_PKS1_S3_NS_24const_host_device_scalarIT6_EEPKT4_S3_PKS5_S9_S3_SB_S6_S9_S3_SB_S9_S3_PS5_21rocsparse_index_base_SD_SD_SD_bbb,"axG",@progbits,_ZN9rocsparseL41csrgemm_numeric_fill_block_per_row_kernelILj512ELj32ELj1024ELj137ELj32ElldEEvT5_PKS1_S3_NS_24const_host_device_scalarIT6_EEPKT4_S3_PKS5_S9_S3_SB_S6_S9_S3_SB_S9_S3_PS5_21rocsparse_index_base_SD_SD_SD_bbb,comdat
	.globl	_ZN9rocsparseL41csrgemm_numeric_fill_block_per_row_kernelILj512ELj32ELj1024ELj137ELj32ElldEEvT5_PKS1_S3_NS_24const_host_device_scalarIT6_EEPKT4_S3_PKS5_S9_S3_SB_S6_S9_S3_SB_S9_S3_PS5_21rocsparse_index_base_SD_SD_SD_bbb ; -- Begin function _ZN9rocsparseL41csrgemm_numeric_fill_block_per_row_kernelILj512ELj32ELj1024ELj137ELj32ElldEEvT5_PKS1_S3_NS_24const_host_device_scalarIT6_EEPKT4_S3_PKS5_S9_S3_SB_S6_S9_S3_SB_S9_S3_PS5_21rocsparse_index_base_SD_SD_SD_bbb
	.p2align	8
	.type	_ZN9rocsparseL41csrgemm_numeric_fill_block_per_row_kernelILj512ELj32ELj1024ELj137ELj32ElldEEvT5_PKS1_S3_NS_24const_host_device_scalarIT6_EEPKT4_S3_PKS5_S9_S3_SB_S6_S9_S3_SB_S9_S3_PS5_21rocsparse_index_base_SD_SD_SD_bbb,@function
_ZN9rocsparseL41csrgemm_numeric_fill_block_per_row_kernelILj512ELj32ELj1024ELj137ELj32ElldEEvT5_PKS1_S3_NS_24const_host_device_scalarIT6_EEPKT4_S3_PKS5_S9_S3_SB_S6_S9_S3_SB_S9_S3_PS5_21rocsparse_index_base_SD_SD_SD_bbb: ; @_ZN9rocsparseL41csrgemm_numeric_fill_block_per_row_kernelILj512ELj32ELj1024ELj137ELj32ElldEEvT5_PKS1_S3_NS_24const_host_device_scalarIT6_EEPKT4_S3_PKS5_S9_S3_SB_S6_S9_S3_SB_S9_S3_PS5_21rocsparse_index_base_SD_SD_SD_bbb
; %bb.0:
	s_load_dword s3, s[0:1], 0x98
	s_load_dwordx4 s[36:39], s[0:1], 0x88
	s_load_dwordx2 s[4:5], s[0:1], 0x18
	s_load_dwordx2 s[12:13], s[0:1], 0x50
	s_waitcnt lgkmcnt(0)
	s_bitcmp1_b32 s3, 0
	s_cselect_b64 s[28:29], -1, 0
	s_bitcmp1_b32 s3, 16
	s_cselect_b64 s[14:15], -1, 0
	s_xor_b64 s[6:7], s[28:29], -1
	s_or_b64 s[6:7], s[14:15], s[6:7]
	s_and_b64 s[8:9], s[28:29], exec
	s_cselect_b32 s9, s5, 0
	s_cselect_b32 s8, s4, 0
	s_and_b64 vcc, exec, s[6:7]
	v_mov_b64_e32 v[4:5], s[8:9]
	s_cbranch_vccnz .LBB106_2
; %bb.1:
	v_mov_b64_e32 v[2:3], s[4:5]
	flat_load_dwordx2 v[4:5], v[2:3]
.LBB106_2:
	s_load_dwordx2 s[34:35], s[0:1], 0x80
	s_load_dwordx2 s[40:41], s[0:1], 0x70
	;; [unrolled: 1-line block ×3, first 2 shown]
	s_load_dwordx4 s[20:23], s[0:1], 0x8
	s_load_dwordx8 s[4:11], s[0:1], 0x20
	s_bitcmp1_b32 s3, 8
	s_cselect_b64 s[26:27], -1, 0
	s_xor_b64 s[16:17], s[26:27], -1
	s_or_b64 s[14:15], s[14:15], s[16:17]
	s_and_b64 s[16:17], s[26:27], exec
	s_cselect_b32 s17, s13, 0
	s_cselect_b32 s16, s12, 0
	s_and_b64 vcc, exec, s[14:15]
	v_mov_b64_e32 v[2:3], s[16:17]
	s_cbranch_vccnz .LBB106_4
; %bb.3:
	v_mov_b64_e32 v[2:3], s[12:13]
	flat_load_dwordx2 v[2:3], v[2:3]
.LBB106_4:
	s_load_dwordx4 s[12:15], s[0:1], 0x60
	s_load_dwordx4 s[16:19], s[0:1], 0x40
	s_load_dwordx2 s[42:43], s[0:1], 0x0
	v_or_b32_e32 v1, 0xfffffe00, v0
	v_mov_b32_e32 v6, 0
	v_lshl_add_u32 v26, v0, 3, 0
	s_mov_b64 s[0:1], 0
	s_waitcnt lgkmcnt(0)
	v_mov_b64_e32 v[8:9], s[42:43]
	v_mov_b32_e32 v7, v6
	v_mov_b32_e32 v10, v26
	;; [unrolled: 1-line block ×3, first 2 shown]
.LBB106_5:                              ; =>This Inner Loop Header: Depth=1
	v_add_co_u32_e32 v11, vcc, 0x200, v11
	s_xor_b64 s[30:31], vcc, -1
	s_and_b64 s[30:31], exec, s[30:31]
	ds_write2st64_b64 v10, v[8:9], v[6:7] offset1:16
	s_or_b64 s[0:1], s[30:31], s[0:1]
	v_add_u32_e32 v10, 0x1000, v10
	s_andn2_b64 exec, exec, s[0:1]
	s_cbranch_execnz .LBB106_5
; %bb.6:
	s_or_b64 exec, exec, s[0:1]
	s_waitcnt lgkmcnt(0)
	s_barrier
	s_load_dwordx2 s[0:1], s[20:21], 0x0
	s_mov_b32 s3, 0
	v_lshrrev_b32_e32 v27, 5, v0
	s_waitcnt lgkmcnt(0)
	s_lshl_b64 s[0:1], s[0:1], 3
	s_add_u32 s20, s22, s0
	s_addc_u32 s21, s23, s1
	s_lshl_b64 s[0:1], s[2:3], 3
	s_add_u32 s0, s20, s0
	s_addc_u32 s1, s21, s1
	s_load_dwordx2 s[44:45], s[0:1], 0x0
	s_and_b64 vcc, exec, s[28:29]
	s_cbranch_vccz .LBB106_26
; %bb.7:
	s_waitcnt lgkmcnt(0)
	s_lshl_b64 s[0:1], s[44:45], 3
	s_add_u32 s0, s4, s0
	s_addc_u32 s1, s5, s1
	s_load_dwordx4 s[20:23], s[0:1], 0x0
	v_subrev_co_u32_e32 v6, vcc, s36, v27
	s_nop 1
	v_subb_co_u32_e64 v7, s[0:1], 0, 0, vcc
	s_waitcnt lgkmcnt(0)
	s_sub_u32 s0, s22, s36
	s_subb_u32 s1, s23, 0
	v_lshl_add_u64 v[6:7], s[20:21], 0, v[6:7]
	v_cmp_gt_i64_e32 vcc, s[0:1], v[6:7]
	s_and_saveexec_b64 s[2:3], vcc
	s_cbranch_execz .LBB106_25
; %bb.8:
	v_and_b32_e32 v8, 31, v0
	v_subrev_co_u32_e32 v8, vcc, s37, v8
	s_mov_b32 s33, s37
	s_nop 0
	v_subb_co_u32_e64 v9, s[4:5], 0, 0, vcc
	s_mov_b64 s[4:5], 0
	s_movk_i32 s37, 0x89
	s_branch .LBB106_10
.LBB106_9:                              ;   in Loop: Header=BB106_10 Depth=1
	s_or_b64 exec, exec, s[20:21]
	v_lshl_add_u64 v[6:7], v[6:7], 0, 16
	v_cmp_le_i64_e32 vcc, s[0:1], v[6:7]
	s_or_b64 s[4:5], vcc, s[4:5]
	s_andn2_b64 exec, exec, s[4:5]
	s_cbranch_execz .LBB106_25
.LBB106_10:                             ; =>This Loop Header: Depth=1
                                        ;     Child Loop BB106_14 Depth 2
                                        ;       Child Loop BB106_17 Depth 3
	v_lshl_add_u64 v[10:11], v[6:7], 3, s[6:7]
	global_load_dwordx2 v[10:11], v[10:11], off
	s_waitcnt vmcnt(0)
	v_subrev_co_u32_e32 v10, vcc, s36, v10
	s_nop 1
	v_subbrev_co_u32_e32 v11, vcc, 0, v11, vcc
	v_lshl_add_u64 v[10:11], v[10:11], 3, s[10:11]
	global_load_dwordx4 v[12:15], v[10:11], off
	s_waitcnt vmcnt(0)
	v_subrev_co_u32_e32 v10, vcc, s33, v14
	s_nop 1
	v_subbrev_co_u32_e32 v11, vcc, 0, v15, vcc
	v_lshl_add_u64 v[12:13], v[12:13], 0, v[8:9]
	v_cmp_lt_i64_e32 vcc, v[12:13], v[10:11]
	s_and_saveexec_b64 s[20:21], vcc
	s_cbranch_execz .LBB106_9
; %bb.11:                               ;   in Loop: Header=BB106_10 Depth=1
	v_lshl_add_u64 v[14:15], v[6:7], 3, s[8:9]
	global_load_dwordx2 v[14:15], v[14:15], off
	s_mov_b64 s[22:23], 0
	s_waitcnt vmcnt(0)
	v_mul_f64 v[14:15], v[4:5], v[14:15]
	s_branch .LBB106_14
.LBB106_12:                             ;   in Loop: Header=BB106_14 Depth=2
	s_or_b64 exec, exec, s[30:31]
.LBB106_13:                             ;   in Loop: Header=BB106_14 Depth=2
	s_or_b64 exec, exec, s[28:29]
	s_waitcnt vmcnt(0)
	v_mul_f64 v[16:17], v[14:15], v[16:17]
	v_lshl_add_u32 v18, v20, 3, 0
	ds_add_f64 v18, v[16:17] offset:8192
	v_lshl_add_u64 v[12:13], v[12:13], 0, 32
	v_cmp_ge_i64_e32 vcc, v[12:13], v[10:11]
	s_or_b64 s[22:23], vcc, s[22:23]
	s_andn2_b64 exec, exec, s[22:23]
	s_cbranch_execz .LBB106_9
.LBB106_14:                             ;   Parent Loop BB106_10 Depth=1
                                        ; =>  This Loop Header: Depth=2
                                        ;       Child Loop BB106_17 Depth 3
	v_lshlrev_b64 v[16:17], 3, v[12:13]
	v_lshl_add_u64 v[18:19], s[16:17], 0, v[16:17]
	global_load_dwordx2 v[18:19], v[18:19], off
	v_lshl_add_u64 v[16:17], s[18:19], 0, v[16:17]
	global_load_dwordx2 v[16:17], v[16:17], off
	s_waitcnt vmcnt(1)
	v_subrev_co_u32_e32 v18, vcc, s33, v18
	v_mul_lo_u32 v20, v18, s37
	v_and_b32_e32 v20, 0x3ff, v20
	v_lshl_add_u32 v28, v20, 3, 0
	ds_read_b64 v[24:25], v28
	v_subbrev_co_u32_e32 v19, vcc, 0, v19, vcc
	s_waitcnt lgkmcnt(0)
	v_cmp_ne_u64_e32 vcc, v[24:25], v[18:19]
	s_and_saveexec_b64 s[28:29], vcc
	s_cbranch_execz .LBB106_13
; %bb.15:                               ;   in Loop: Header=BB106_14 Depth=2
	s_mov_b64 s[30:31], 0
                                        ; implicit-def: $sgpr46_sgpr47
                                        ; implicit-def: $sgpr48_sgpr49
	s_branch .LBB106_17
.LBB106_16:                             ;   in Loop: Header=BB106_17 Depth=3
	s_or_b64 exec, exec, s[54:55]
	s_and_b64 s[50:51], exec, s[52:53]
	s_or_b64 s[30:31], s[50:51], s[30:31]
	s_andn2_b64 s[46:47], s[46:47], exec
	s_and_b64 s[50:51], s[48:49], exec
	s_or_b64 s[46:47], s[46:47], s[50:51]
	s_andn2_b64 exec, exec, s[30:31]
	s_cbranch_execz .LBB106_23
.LBB106_17:                             ;   Parent Loop BB106_10 Depth=1
                                        ;     Parent Loop BB106_14 Depth=2
                                        ; =>    This Inner Loop Header: Depth=3
	v_mov_b64_e32 v[22:23], v[20:21]
	v_cmp_ne_u64_e32 vcc, s[42:43], v[24:25]
	s_mov_b64 s[50:51], 0
                                        ; implicit-def: $vgpr20_vgpr21
	s_and_saveexec_b64 s[52:53], vcc
	s_xor_b64 s[52:53], exec, s[52:53]
; %bb.18:                               ;   in Loop: Header=BB106_17 Depth=3
	v_add_u32_e32 v20, 1, v22
	s_mov_b64 s[50:51], exec
	v_and_b32_e32 v20, 0x3ff, v20
                                        ; implicit-def: $vgpr28
; %bb.19:                               ;   in Loop: Header=BB106_17 Depth=3
	s_andn2_saveexec_b64 s[52:53], s[52:53]
	s_cbranch_execz .LBB106_21
; %bb.20:                               ;   in Loop: Header=BB106_17 Depth=3
	v_mov_b64_e32 v[20:21], s[42:43]
	ds_cmpst_rtn_b64 v[20:21], v28, v[20:21], v[18:19]
	s_andn2_b64 s[50:51], s[50:51], exec
	s_waitcnt lgkmcnt(0)
	v_cmp_ne_u64_e32 vcc, s[42:43], v[20:21]
	s_and_b64 s[54:55], vcc, exec
	s_or_b64 s[50:51], s[50:51], s[54:55]
	v_mov_b64_e32 v[20:21], v[22:23]
.LBB106_21:                             ;   in Loop: Header=BB106_17 Depth=3
	s_or_b64 exec, exec, s[52:53]
	s_mov_b64 s[52:53], -1
	s_or_b64 s[48:49], s[48:49], exec
                                        ; implicit-def: $vgpr28
                                        ; implicit-def: $vgpr24_vgpr25
	s_and_saveexec_b64 s[54:55], s[50:51]
	s_cbranch_execz .LBB106_16
; %bb.22:                               ;   in Loop: Header=BB106_17 Depth=3
	v_lshl_add_u32 v28, v20, 3, 0
	ds_read_b64 v[24:25], v28
	s_andn2_b64 s[48:49], s[48:49], exec
	s_waitcnt lgkmcnt(0)
	v_cmp_eq_u64_e32 vcc, v[24:25], v[18:19]
	s_orn2_b64 s[52:53], vcc, exec
	s_branch .LBB106_16
.LBB106_23:                             ;   in Loop: Header=BB106_14 Depth=2
	s_or_b64 exec, exec, s[30:31]
	s_and_saveexec_b64 s[30:31], s[46:47]
	s_xor_b64 s[30:31], exec, s[30:31]
	s_cbranch_execz .LBB106_12
; %bb.24:                               ;   in Loop: Header=BB106_14 Depth=2
	v_mov_b32_e32 v20, v22
	s_branch .LBB106_12
.LBB106_25:
	s_or_b64 exec, exec, s[2:3]
.LBB106_26:
	s_andn2_b64 vcc, exec, s[26:27]
	s_cbranch_vccnz .LBB106_43
; %bb.27:
	s_waitcnt lgkmcnt(0)
	s_lshl_b64 s[0:1], s[44:45], 3
	s_add_u32 s0, s24, s0
	s_addc_u32 s1, s25, s1
	s_load_dwordx4 s[4:7], s[0:1], 0x0
	s_waitcnt vmcnt(0)
	v_subrev_co_u32_e32 v4, vcc, s39, v0
	s_waitcnt lgkmcnt(0)
	s_sub_u32 s0, s6, s39
	v_subb_co_u32_e64 v5, s[2:3], 0, 0, vcc
	s_subb_u32 s1, s7, 0
	v_lshl_add_u64 v[4:5], s[4:5], 0, v[4:5]
	v_cmp_gt_i64_e32 vcc, s[0:1], v[4:5]
	s_and_saveexec_b64 s[2:3], vcc
	s_cbranch_execz .LBB106_42
; %bb.28:
	s_mov_b32 s26, s39
	s_mov_b64 s[4:5], 0
	s_movk_i32 s27, 0x89
	s_mov_b64 s[6:7], 0x200
	s_branch .LBB106_31
.LBB106_29:                             ;   in Loop: Header=BB106_31 Depth=1
	s_or_b64 exec, exec, s[10:11]
.LBB106_30:                             ;   in Loop: Header=BB106_31 Depth=1
	s_or_b64 exec, exec, s[8:9]
	s_waitcnt vmcnt(0)
	v_mul_f64 v[6:7], v[2:3], v[6:7]
	v_lshl_add_u32 v8, v10, 3, 0
	ds_add_f64 v8, v[6:7] offset:8192
	v_lshl_add_u64 v[4:5], v[4:5], 0, s[6:7]
	v_cmp_le_i64_e32 vcc, s[0:1], v[4:5]
	s_or_b64 s[4:5], vcc, s[4:5]
	s_andn2_b64 exec, exec, s[4:5]
	s_cbranch_execz .LBB106_42
.LBB106_31:                             ; =>This Loop Header: Depth=1
                                        ;     Child Loop BB106_34 Depth 2
	v_lshlrev_b64 v[6:7], 3, v[4:5]
	v_lshl_add_u64 v[8:9], s[12:13], 0, v[6:7]
	global_load_dwordx2 v[8:9], v[8:9], off
	v_lshl_add_u64 v[6:7], s[14:15], 0, v[6:7]
	global_load_dwordx2 v[6:7], v[6:7], off
	s_waitcnt vmcnt(1)
	v_subrev_co_u32_e32 v8, vcc, s26, v8
	v_mul_lo_u32 v10, v8, s27
	v_and_b32_e32 v10, 0x3ff, v10
	v_lshl_add_u32 v16, v10, 3, 0
	ds_read_b64 v[14:15], v16
	v_subbrev_co_u32_e32 v9, vcc, 0, v9, vcc
	s_waitcnt lgkmcnt(0)
	v_cmp_ne_u64_e32 vcc, v[14:15], v[8:9]
	s_and_saveexec_b64 s[8:9], vcc
	s_cbranch_execz .LBB106_30
; %bb.32:                               ;   in Loop: Header=BB106_31 Depth=1
	s_mov_b64 s[10:11], 0
                                        ; implicit-def: $sgpr16_sgpr17
                                        ; implicit-def: $sgpr18_sgpr19
	s_branch .LBB106_34
.LBB106_33:                             ;   in Loop: Header=BB106_34 Depth=2
	s_or_b64 exec, exec, s[24:25]
	s_and_b64 s[20:21], exec, s[22:23]
	s_or_b64 s[10:11], s[20:21], s[10:11]
	s_andn2_b64 s[16:17], s[16:17], exec
	s_and_b64 s[20:21], s[18:19], exec
	s_or_b64 s[16:17], s[16:17], s[20:21]
	s_andn2_b64 exec, exec, s[10:11]
	s_cbranch_execz .LBB106_40
.LBB106_34:                             ;   Parent Loop BB106_31 Depth=1
                                        ; =>  This Inner Loop Header: Depth=2
	v_mov_b64_e32 v[12:13], v[10:11]
	v_cmp_ne_u64_e32 vcc, s[42:43], v[14:15]
	s_mov_b64 s[20:21], 0
                                        ; implicit-def: $vgpr10_vgpr11
	s_and_saveexec_b64 s[22:23], vcc
	s_xor_b64 s[22:23], exec, s[22:23]
; %bb.35:                               ;   in Loop: Header=BB106_34 Depth=2
	v_add_u32_e32 v10, 1, v12
	s_mov_b64 s[20:21], exec
	v_and_b32_e32 v10, 0x3ff, v10
                                        ; implicit-def: $vgpr16
; %bb.36:                               ;   in Loop: Header=BB106_34 Depth=2
	s_andn2_saveexec_b64 s[22:23], s[22:23]
	s_cbranch_execz .LBB106_38
; %bb.37:                               ;   in Loop: Header=BB106_34 Depth=2
	v_mov_b64_e32 v[10:11], s[42:43]
	ds_cmpst_rtn_b64 v[10:11], v16, v[10:11], v[8:9]
	s_andn2_b64 s[20:21], s[20:21], exec
	s_waitcnt lgkmcnt(0)
	v_cmp_ne_u64_e32 vcc, s[42:43], v[10:11]
	s_and_b64 s[24:25], vcc, exec
	s_or_b64 s[20:21], s[20:21], s[24:25]
	v_mov_b64_e32 v[10:11], v[12:13]
.LBB106_38:                             ;   in Loop: Header=BB106_34 Depth=2
	s_or_b64 exec, exec, s[22:23]
	s_mov_b64 s[22:23], -1
	s_or_b64 s[18:19], s[18:19], exec
                                        ; implicit-def: $vgpr16
                                        ; implicit-def: $vgpr14_vgpr15
	s_and_saveexec_b64 s[24:25], s[20:21]
	s_cbranch_execz .LBB106_33
; %bb.39:                               ;   in Loop: Header=BB106_34 Depth=2
	v_lshl_add_u32 v16, v10, 3, 0
	ds_read_b64 v[14:15], v16
	s_andn2_b64 s[18:19], s[18:19], exec
	s_waitcnt lgkmcnt(0)
	v_cmp_eq_u64_e32 vcc, v[14:15], v[8:9]
	s_orn2_b64 s[22:23], vcc, exec
	s_branch .LBB106_33
.LBB106_40:                             ;   in Loop: Header=BB106_31 Depth=1
	s_or_b64 exec, exec, s[10:11]
	s_and_saveexec_b64 s[10:11], s[16:17]
	s_xor_b64 s[10:11], exec, s[10:11]
	s_cbranch_execz .LBB106_29
; %bb.41:                               ;   in Loop: Header=BB106_31 Depth=1
	v_mov_b32_e32 v10, v12
	s_branch .LBB106_29
.LBB106_42:
	s_or_b64 exec, exec, s[2:3]
.LBB106_43:
	s_waitcnt vmcnt(0)
	v_mbcnt_lo_u32_b32 v2, -1, 0
	v_mbcnt_hi_u32_b32 v2, -1, v2
	v_sub_u32_e32 v2, 63, v2
	s_movk_i32 s0, 0x1ff
	s_movk_i32 s6, 0x5f
	s_movk_i32 s8, 0x7f
	s_movk_i32 s10, 0x9f
	s_movk_i32 s12, 0xbf
	s_movk_i32 s14, 0xdf
	s_movk_i32 s16, 0xff
	s_movk_i32 s18, 0x11f
	s_movk_i32 s20, 0x13f
	s_movk_i32 s22, 0x15f
	s_movk_i32 s24, 0x17f
	s_movk_i32 s26, 0x19f
	s_movk_i32 s28, 0x1bf
	s_movk_i32 s30, 0x1df
	v_mov_b32_e32 v7, 0
	v_lshrrev_b64 v[8:9], v2, -1
	v_lshl_add_u32 v14, v27, 3, 0
	v_cmp_eq_u32_e64 s[0:1], s0, v0
	v_cmp_lt_u32_e64 s[2:3], 31, v0
	v_cmp_lt_u32_e64 s[4:5], 63, v0
	;; [unrolled: 1-line block ×15, first 2 shown]
	s_mov_b64 s[36:37], 0
	v_mov_b64_e32 v[10:11], 0
	s_waitcnt lgkmcnt(0)
	s_barrier
	s_branch .LBB106_45
.LBB106_44:                             ;   in Loop: Header=BB106_45 Depth=1
	s_or_b64 exec, exec, s[46:47]
	s_waitcnt lgkmcnt(0)
	s_barrier
	ds_read_b64 v[2:3], v7 offset:16504
	v_add_co_u32_e32 v1, vcc, 0x200, v1
	s_xor_b64 s[46:47], vcc, -1
	s_and_b64 s[46:47], exec, s[46:47]
	s_waitcnt lgkmcnt(0)
	v_lshl_add_u64 v[10:11], v[2:3], 0, v[10:11]
	s_or_b64 s[36:37], s[46:47], s[36:37]
	v_add_u32_e32 v26, 0x1000, v26
	s_andn2_b64 exec, exec, s[36:37]
	s_cbranch_execz .LBB106_79
.LBB106_45:                             ; =>This Inner Loop Header: Depth=1
	ds_read2st64_b64 v[2:5], v26 offset1:16
	s_waitcnt lgkmcnt(0)
	s_barrier
	v_cmp_gt_i64_e32 vcc, s[42:43], v[2:3]
	s_bcnt1_i32_b64 s33, vcc
	s_nop 0
	v_and_b32_e32 v13, vcc_lo, v8
	v_and_b32_e32 v12, vcc_hi, v9
	v_bcnt_u32_b32 v13, v13, 0
	v_mov_b32_e32 v6, s33
	v_bcnt_u32_b32 v12, v12, v13
	ds_write_b64 v14, v[6:7] offset:16384
	s_waitcnt lgkmcnt(0)
	s_barrier
	s_and_saveexec_b64 s[46:47], s[2:3]
	s_cbranch_execnz .LBB106_62
; %bb.46:                               ;   in Loop: Header=BB106_45 Depth=1
	s_or_b64 exec, exec, s[46:47]
	s_and_saveexec_b64 s[46:47], s[4:5]
	s_cbranch_execnz .LBB106_63
.LBB106_47:                             ;   in Loop: Header=BB106_45 Depth=1
	s_or_b64 exec, exec, s[46:47]
	s_and_saveexec_b64 s[46:47], s[6:7]
	s_cbranch_execnz .LBB106_64
.LBB106_48:                             ;   in Loop: Header=BB106_45 Depth=1
	s_or_b64 exec, exec, s[46:47]
	s_and_saveexec_b64 s[46:47], s[8:9]
	s_cbranch_execnz .LBB106_65
.LBB106_49:                             ;   in Loop: Header=BB106_45 Depth=1
	s_or_b64 exec, exec, s[46:47]
	s_and_saveexec_b64 s[46:47], s[10:11]
	s_cbranch_execnz .LBB106_66
.LBB106_50:                             ;   in Loop: Header=BB106_45 Depth=1
	s_or_b64 exec, exec, s[46:47]
	s_and_saveexec_b64 s[46:47], s[12:13]
	s_cbranch_execnz .LBB106_67
.LBB106_51:                             ;   in Loop: Header=BB106_45 Depth=1
	s_or_b64 exec, exec, s[46:47]
	s_and_saveexec_b64 s[46:47], s[14:15]
	s_cbranch_execnz .LBB106_68
.LBB106_52:                             ;   in Loop: Header=BB106_45 Depth=1
	s_or_b64 exec, exec, s[46:47]
	s_and_saveexec_b64 s[46:47], s[16:17]
	s_cbranch_execnz .LBB106_69
.LBB106_53:                             ;   in Loop: Header=BB106_45 Depth=1
	s_or_b64 exec, exec, s[46:47]
	s_and_saveexec_b64 s[46:47], s[18:19]
	s_cbranch_execnz .LBB106_70
.LBB106_54:                             ;   in Loop: Header=BB106_45 Depth=1
	s_or_b64 exec, exec, s[46:47]
	s_and_saveexec_b64 s[46:47], s[20:21]
	s_cbranch_execnz .LBB106_71
.LBB106_55:                             ;   in Loop: Header=BB106_45 Depth=1
	s_or_b64 exec, exec, s[46:47]
	s_and_saveexec_b64 s[46:47], s[22:23]
	s_cbranch_execnz .LBB106_72
.LBB106_56:                             ;   in Loop: Header=BB106_45 Depth=1
	s_or_b64 exec, exec, s[46:47]
	s_and_saveexec_b64 s[46:47], s[24:25]
	s_cbranch_execnz .LBB106_73
.LBB106_57:                             ;   in Loop: Header=BB106_45 Depth=1
	s_or_b64 exec, exec, s[46:47]
	s_and_saveexec_b64 s[46:47], s[26:27]
	s_cbranch_execnz .LBB106_74
.LBB106_58:                             ;   in Loop: Header=BB106_45 Depth=1
	s_or_b64 exec, exec, s[46:47]
	s_and_saveexec_b64 s[46:47], s[28:29]
	s_cbranch_execnz .LBB106_75
.LBB106_59:                             ;   in Loop: Header=BB106_45 Depth=1
	s_or_b64 exec, exec, s[46:47]
	s_and_saveexec_b64 s[46:47], s[30:31]
	s_cbranch_execnz .LBB106_76
.LBB106_60:                             ;   in Loop: Header=BB106_45 Depth=1
	s_or_b64 exec, exec, s[46:47]
	v_ashrrev_i32_e32 v13, 31, v12
	s_and_saveexec_b64 s[46:47], vcc
	s_cbranch_execnz .LBB106_77
.LBB106_61:                             ;   in Loop: Header=BB106_45 Depth=1
	s_or_b64 exec, exec, s[46:47]
	s_and_saveexec_b64 s[46:47], s[0:1]
	s_cbranch_execz .LBB106_44
	s_branch .LBB106_78
.LBB106_62:                             ;   in Loop: Header=BB106_45 Depth=1
	ds_read_b32 v6, v7 offset:16384
	s_waitcnt lgkmcnt(0)
	v_add_u32_e32 v12, v6, v12
	s_or_b64 exec, exec, s[46:47]
	s_and_saveexec_b64 s[46:47], s[4:5]
	s_cbranch_execz .LBB106_47
.LBB106_63:                             ;   in Loop: Header=BB106_45 Depth=1
	ds_read_b32 v6, v7 offset:16392
	s_waitcnt lgkmcnt(0)
	v_add_u32_e32 v12, v12, v6
	s_or_b64 exec, exec, s[46:47]
	s_and_saveexec_b64 s[46:47], s[6:7]
	s_cbranch_execz .LBB106_48
.LBB106_64:                             ;   in Loop: Header=BB106_45 Depth=1
	ds_read_b32 v6, v7 offset:16400
	s_waitcnt lgkmcnt(0)
	v_add_u32_e32 v12, v12, v6
	s_or_b64 exec, exec, s[46:47]
	s_and_saveexec_b64 s[46:47], s[8:9]
	s_cbranch_execz .LBB106_49
.LBB106_65:                             ;   in Loop: Header=BB106_45 Depth=1
	ds_read_b32 v6, v7 offset:16408
	s_waitcnt lgkmcnt(0)
	v_add_u32_e32 v12, v12, v6
	s_or_b64 exec, exec, s[46:47]
	s_and_saveexec_b64 s[46:47], s[10:11]
	s_cbranch_execz .LBB106_50
.LBB106_66:                             ;   in Loop: Header=BB106_45 Depth=1
	ds_read_b32 v6, v7 offset:16416
	s_waitcnt lgkmcnt(0)
	v_add_u32_e32 v12, v12, v6
	s_or_b64 exec, exec, s[46:47]
	s_and_saveexec_b64 s[46:47], s[12:13]
	s_cbranch_execz .LBB106_51
.LBB106_67:                             ;   in Loop: Header=BB106_45 Depth=1
	ds_read_b32 v6, v7 offset:16424
	s_waitcnt lgkmcnt(0)
	v_add_u32_e32 v12, v12, v6
	s_or_b64 exec, exec, s[46:47]
	s_and_saveexec_b64 s[46:47], s[14:15]
	s_cbranch_execz .LBB106_52
.LBB106_68:                             ;   in Loop: Header=BB106_45 Depth=1
	ds_read_b32 v6, v7 offset:16432
	s_waitcnt lgkmcnt(0)
	v_add_u32_e32 v12, v12, v6
	s_or_b64 exec, exec, s[46:47]
	s_and_saveexec_b64 s[46:47], s[16:17]
	s_cbranch_execz .LBB106_53
.LBB106_69:                             ;   in Loop: Header=BB106_45 Depth=1
	ds_read_b32 v6, v7 offset:16440
	s_waitcnt lgkmcnt(0)
	v_add_u32_e32 v12, v12, v6
	s_or_b64 exec, exec, s[46:47]
	s_and_saveexec_b64 s[46:47], s[18:19]
	s_cbranch_execz .LBB106_54
.LBB106_70:                             ;   in Loop: Header=BB106_45 Depth=1
	ds_read_b32 v6, v7 offset:16448
	s_waitcnt lgkmcnt(0)
	v_add_u32_e32 v12, v12, v6
	s_or_b64 exec, exec, s[46:47]
	s_and_saveexec_b64 s[46:47], s[20:21]
	s_cbranch_execz .LBB106_55
.LBB106_71:                             ;   in Loop: Header=BB106_45 Depth=1
	ds_read_b32 v6, v7 offset:16456
	s_waitcnt lgkmcnt(0)
	v_add_u32_e32 v12, v12, v6
	s_or_b64 exec, exec, s[46:47]
	s_and_saveexec_b64 s[46:47], s[22:23]
	s_cbranch_execz .LBB106_56
.LBB106_72:                             ;   in Loop: Header=BB106_45 Depth=1
	ds_read_b32 v6, v7 offset:16464
	s_waitcnt lgkmcnt(0)
	v_add_u32_e32 v12, v12, v6
	s_or_b64 exec, exec, s[46:47]
	s_and_saveexec_b64 s[46:47], s[24:25]
	s_cbranch_execz .LBB106_57
.LBB106_73:                             ;   in Loop: Header=BB106_45 Depth=1
	ds_read_b32 v6, v7 offset:16472
	s_waitcnt lgkmcnt(0)
	v_add_u32_e32 v12, v12, v6
	s_or_b64 exec, exec, s[46:47]
	s_and_saveexec_b64 s[46:47], s[26:27]
	s_cbranch_execz .LBB106_58
.LBB106_74:                             ;   in Loop: Header=BB106_45 Depth=1
	ds_read_b32 v6, v7 offset:16480
	s_waitcnt lgkmcnt(0)
	v_add_u32_e32 v12, v12, v6
	s_or_b64 exec, exec, s[46:47]
	s_and_saveexec_b64 s[46:47], s[28:29]
	s_cbranch_execz .LBB106_59
.LBB106_75:                             ;   in Loop: Header=BB106_45 Depth=1
	ds_read_b32 v6, v7 offset:16488
	s_waitcnt lgkmcnt(0)
	v_add_u32_e32 v12, v12, v6
	s_or_b64 exec, exec, s[46:47]
	s_and_saveexec_b64 s[46:47], s[30:31]
	s_cbranch_execz .LBB106_60
.LBB106_76:                             ;   in Loop: Header=BB106_45 Depth=1
	ds_read_b32 v6, v7 offset:16496
	s_waitcnt lgkmcnt(0)
	v_add_u32_e32 v12, v12, v6
	s_or_b64 exec, exec, s[46:47]
	v_ashrrev_i32_e32 v13, 31, v12
	s_and_saveexec_b64 s[46:47], vcc
	s_cbranch_execz .LBB106_61
.LBB106_77:                             ;   in Loop: Header=BB106_45 Depth=1
	v_add3_u32 v6, v10, -1, v12
	v_lshl_add_u32 v6, v6, 3, 0
	v_add_u32_e32 v15, v10, v12
	v_lshl_add_u32 v15, v15, 3, 0
	ds_write_b64 v6, v[2:3]
	ds_write_b64 v15, v[4:5] offset:8184
	s_or_b64 exec, exec, s[46:47]
	s_and_saveexec_b64 s[46:47], s[0:1]
	s_cbranch_execz .LBB106_44
.LBB106_78:                             ;   in Loop: Header=BB106_45 Depth=1
	ds_write_b64 v7, v[12:13] offset:16504
	s_branch .LBB106_44
.LBB106_79:
	s_or_b64 exec, exec, s[36:37]
	s_lshl_b64 s[0:1], s[44:45], 3
	s_add_u32 s4, s40, s0
	s_addc_u32 s5, s41, s1
	s_load_dwordx4 s[0:3], s[4:5], 0x0
	v_mov_b32_e32 v1, 0
	s_waitcnt lgkmcnt(0)
	s_sub_u32 s4, s2, s0
	s_subb_u32 s5, s3, s1
	v_cmp_gt_i64_e32 vcc, s[4:5], v[0:1]
	s_and_saveexec_b64 s[6:7], vcc
	s_cbranch_execz .LBB106_89
; %bb.80:
	s_sub_u32 s8, s0, s38
	s_subb_u32 s9, s1, 0
	s_and_b32 s6, s4, 7
	s_sub_u32 s0, s0, s2
	s_mov_b32 s7, 0
	s_subb_u32 s1, s1, s3
	s_and_b32 s10, s4, -8
	s_cmp_lg_u64 s[6:7], 0
	v_cmp_lt_u64_e64 s[0:1], s[0:1], -7
	s_cselect_b64 s[2:3], -1, 0
	s_mov_b32 s11, s5
	v_cndmask_b32_e64 v2, 0, 1, s[0:1]
	v_cmp_ne_u32_e64 s[0:1], 1, v2
	v_cndmask_b32_e64 v2, 0, 1, s[2:3]
	s_mov_b64 s[12:13], 0
	v_cmp_ne_u32_e64 s[2:3], 1, v2
	s_mov_b64 s[14:15], 0x200
	s_branch .LBB106_82
.LBB106_81:                             ;   in Loop: Header=BB106_82 Depth=1
	v_lshl_add_u64 v[0:1], v[0:1], 0, s[14:15]
	v_cmp_le_i64_e32 vcc, s[4:5], v[0:1]
	s_waitcnt lgkmcnt(0)
	v_lshl_add_u64 v[2:3], v[6:7], 3, s[34:35]
	s_or_b64 s[12:13], vcc, s[12:13]
	global_store_dwordx2 v[2:3], v[4:5], off
	s_andn2_b64 exec, exec, s[12:13]
	s_cbranch_execz .LBB106_89
.LBB106_82:                             ; =>This Loop Header: Depth=1
                                        ;     Child Loop BB106_84 Depth 2
                                        ;     Child Loop BB106_88 Depth 2
	v_lshl_add_u32 v2, v0, 3, 0
	ds_read2st64_b64 v[2:5], v2 offset1:16
	s_and_b64 vcc, exec, s[0:1]
	v_mov_b64_e32 v[6:7], s[8:9]
	s_mov_b64 s[16:17], 0
	s_cbranch_vccnz .LBB106_86
; %bb.83:                               ;   in Loop: Header=BB106_82 Depth=1
	s_mov_b32 s18, 0
	v_mov_b64_e32 v[6:7], s[8:9]
.LBB106_84:                             ;   Parent Loop BB106_82 Depth=1
                                        ; =>  This Inner Loop Header: Depth=2
	v_mov_b32_e32 v20, s18
	ds_read2_b64 v[8:11], v20 offset1:1
	ds_read2_b64 v[12:15], v20 offset0:2 offset1:3
	ds_read2_b64 v[16:19], v20 offset0:4 offset1:5
	;; [unrolled: 1-line block ×3, first 2 shown]
	v_mov_b32_e32 v25, s7
	s_waitcnt lgkmcnt(3)
	v_cmp_gt_i64_e32 vcc, v[2:3], v[8:9]
	v_mov_b32_e32 v27, s7
	v_mov_b32_e32 v29, s7
	v_cndmask_b32_e64 v24, 0, 1, vcc
	v_cmp_gt_i64_e32 vcc, v[2:3], v[10:11]
	v_lshl_add_u64 v[6:7], v[6:7], 0, v[24:25]
	v_mov_b32_e32 v31, s7
	v_cndmask_b32_e64 v26, 0, 1, vcc
	s_waitcnt lgkmcnt(2)
	v_cmp_gt_i64_e32 vcc, v[2:3], v[12:13]
	v_lshl_add_u64 v[6:7], v[6:7], 0, v[26:27]
	v_mov_b32_e32 v33, s7
	v_cndmask_b32_e64 v28, 0, 1, vcc
	v_cmp_gt_i64_e32 vcc, v[2:3], v[14:15]
	v_lshl_add_u64 v[6:7], v[6:7], 0, v[28:29]
	v_mov_b32_e32 v35, s7
	v_cndmask_b32_e64 v30, 0, 1, vcc
	s_waitcnt lgkmcnt(1)
	v_cmp_gt_i64_e32 vcc, v[2:3], v[16:17]
	v_lshl_add_u64 v[6:7], v[6:7], 0, v[30:31]
	v_mov_b32_e32 v37, s7
	v_cndmask_b32_e64 v32, 0, 1, vcc
	v_cmp_gt_i64_e32 vcc, v[2:3], v[18:19]
	v_lshl_add_u64 v[6:7], v[6:7], 0, v[32:33]
	s_add_u32 s16, s16, 8
	v_cndmask_b32_e64 v34, 0, 1, vcc
	s_waitcnt lgkmcnt(0)
	v_cmp_gt_i64_e32 vcc, v[2:3], v[20:21]
	v_lshl_add_u64 v[6:7], v[6:7], 0, v[34:35]
	v_mov_b32_e32 v39, s7
	v_cndmask_b32_e64 v36, 0, 1, vcc
	v_cmp_gt_i64_e32 vcc, v[2:3], v[22:23]
	s_addc_u32 s17, s17, 0
	s_add_i32 s18, s18, 64
	v_cndmask_b32_e64 v38, 0, 1, vcc
	v_lshl_add_u64 v[6:7], v[6:7], 0, v[36:37]
	s_cmp_eq_u64 s[10:11], s[16:17]
	v_lshl_add_u64 v[6:7], v[6:7], 0, v[38:39]
	s_cbranch_scc0 .LBB106_84
; %bb.85:                               ;   in Loop: Header=BB106_82 Depth=1
	s_mov_b64 s[16:17], s[10:11]
.LBB106_86:                             ;   in Loop: Header=BB106_82 Depth=1
	s_and_b64 vcc, exec, s[2:3]
	s_cbranch_vccnz .LBB106_81
; %bb.87:                               ;   in Loop: Header=BB106_82 Depth=1
	s_lshl_b32 s16, s16, 3
	s_add_i32 s18, s16, 0
	s_mov_b64 s[16:17], s[6:7]
.LBB106_88:                             ;   Parent Loop BB106_82 Depth=1
                                        ; =>  This Inner Loop Header: Depth=2
	v_mov_b32_e32 v8, s18
	ds_read_b64 v[10:11], v8
	s_add_i32 s18, s18, 8
	s_add_u32 s16, s16, -1
	v_mov_b32_e32 v9, s7
	s_addc_u32 s17, s17, -1
	s_waitcnt lgkmcnt(0)
	v_cmp_gt_i64_e32 vcc, v[2:3], v[10:11]
	s_cmp_lg_u64 s[16:17], 0
	s_nop 0
	v_cndmask_b32_e64 v8, 0, 1, vcc
	v_lshl_add_u64 v[6:7], v[6:7], 0, v[8:9]
	s_cbranch_scc1 .LBB106_88
	s_branch .LBB106_81
.LBB106_89:
	s_endpgm
	.section	.rodata,"a",@progbits
	.p2align	6, 0x0
	.amdhsa_kernel _ZN9rocsparseL41csrgemm_numeric_fill_block_per_row_kernelILj512ELj32ELj1024ELj137ELj32ElldEEvT5_PKS1_S3_NS_24const_host_device_scalarIT6_EEPKT4_S3_PKS5_S9_S3_SB_S6_S9_S3_SB_S9_S3_PS5_21rocsparse_index_base_SD_SD_SD_bbb
		.amdhsa_group_segment_fixed_size 0
		.amdhsa_private_segment_fixed_size 0
		.amdhsa_kernarg_size 156
		.amdhsa_user_sgpr_count 2
		.amdhsa_user_sgpr_dispatch_ptr 0
		.amdhsa_user_sgpr_queue_ptr 0
		.amdhsa_user_sgpr_kernarg_segment_ptr 1
		.amdhsa_user_sgpr_dispatch_id 0
		.amdhsa_user_sgpr_kernarg_preload_length 0
		.amdhsa_user_sgpr_kernarg_preload_offset 0
		.amdhsa_user_sgpr_private_segment_size 0
		.amdhsa_uses_dynamic_stack 0
		.amdhsa_enable_private_segment 0
		.amdhsa_system_sgpr_workgroup_id_x 1
		.amdhsa_system_sgpr_workgroup_id_y 0
		.amdhsa_system_sgpr_workgroup_id_z 0
		.amdhsa_system_sgpr_workgroup_info 0
		.amdhsa_system_vgpr_workitem_id 0
		.amdhsa_next_free_vgpr 40
		.amdhsa_next_free_sgpr 56
		.amdhsa_accum_offset 40
		.amdhsa_reserve_vcc 1
		.amdhsa_float_round_mode_32 0
		.amdhsa_float_round_mode_16_64 0
		.amdhsa_float_denorm_mode_32 3
		.amdhsa_float_denorm_mode_16_64 3
		.amdhsa_dx10_clamp 1
		.amdhsa_ieee_mode 1
		.amdhsa_fp16_overflow 0
		.amdhsa_tg_split 0
		.amdhsa_exception_fp_ieee_invalid_op 0
		.amdhsa_exception_fp_denorm_src 0
		.amdhsa_exception_fp_ieee_div_zero 0
		.amdhsa_exception_fp_ieee_overflow 0
		.amdhsa_exception_fp_ieee_underflow 0
		.amdhsa_exception_fp_ieee_inexact 0
		.amdhsa_exception_int_div_zero 0
	.end_amdhsa_kernel
	.section	.text._ZN9rocsparseL41csrgemm_numeric_fill_block_per_row_kernelILj512ELj32ELj1024ELj137ELj32ElldEEvT5_PKS1_S3_NS_24const_host_device_scalarIT6_EEPKT4_S3_PKS5_S9_S3_SB_S6_S9_S3_SB_S9_S3_PS5_21rocsparse_index_base_SD_SD_SD_bbb,"axG",@progbits,_ZN9rocsparseL41csrgemm_numeric_fill_block_per_row_kernelILj512ELj32ELj1024ELj137ELj32ElldEEvT5_PKS1_S3_NS_24const_host_device_scalarIT6_EEPKT4_S3_PKS5_S9_S3_SB_S6_S9_S3_SB_S9_S3_PS5_21rocsparse_index_base_SD_SD_SD_bbb,comdat
.Lfunc_end106:
	.size	_ZN9rocsparseL41csrgemm_numeric_fill_block_per_row_kernelILj512ELj32ELj1024ELj137ELj32ElldEEvT5_PKS1_S3_NS_24const_host_device_scalarIT6_EEPKT4_S3_PKS5_S9_S3_SB_S6_S9_S3_SB_S9_S3_PS5_21rocsparse_index_base_SD_SD_SD_bbb, .Lfunc_end106-_ZN9rocsparseL41csrgemm_numeric_fill_block_per_row_kernelILj512ELj32ELj1024ELj137ELj32ElldEEvT5_PKS1_S3_NS_24const_host_device_scalarIT6_EEPKT4_S3_PKS5_S9_S3_SB_S6_S9_S3_SB_S9_S3_PS5_21rocsparse_index_base_SD_SD_SD_bbb
                                        ; -- End function
	.set _ZN9rocsparseL41csrgemm_numeric_fill_block_per_row_kernelILj512ELj32ELj1024ELj137ELj32ElldEEvT5_PKS1_S3_NS_24const_host_device_scalarIT6_EEPKT4_S3_PKS5_S9_S3_SB_S6_S9_S3_SB_S9_S3_PS5_21rocsparse_index_base_SD_SD_SD_bbb.num_vgpr, 40
	.set _ZN9rocsparseL41csrgemm_numeric_fill_block_per_row_kernelILj512ELj32ELj1024ELj137ELj32ElldEEvT5_PKS1_S3_NS_24const_host_device_scalarIT6_EEPKT4_S3_PKS5_S9_S3_SB_S6_S9_S3_SB_S9_S3_PS5_21rocsparse_index_base_SD_SD_SD_bbb.num_agpr, 0
	.set _ZN9rocsparseL41csrgemm_numeric_fill_block_per_row_kernelILj512ELj32ELj1024ELj137ELj32ElldEEvT5_PKS1_S3_NS_24const_host_device_scalarIT6_EEPKT4_S3_PKS5_S9_S3_SB_S6_S9_S3_SB_S9_S3_PS5_21rocsparse_index_base_SD_SD_SD_bbb.numbered_sgpr, 56
	.set _ZN9rocsparseL41csrgemm_numeric_fill_block_per_row_kernelILj512ELj32ELj1024ELj137ELj32ElldEEvT5_PKS1_S3_NS_24const_host_device_scalarIT6_EEPKT4_S3_PKS5_S9_S3_SB_S6_S9_S3_SB_S9_S3_PS5_21rocsparse_index_base_SD_SD_SD_bbb.num_named_barrier, 0
	.set _ZN9rocsparseL41csrgemm_numeric_fill_block_per_row_kernelILj512ELj32ELj1024ELj137ELj32ElldEEvT5_PKS1_S3_NS_24const_host_device_scalarIT6_EEPKT4_S3_PKS5_S9_S3_SB_S6_S9_S3_SB_S9_S3_PS5_21rocsparse_index_base_SD_SD_SD_bbb.private_seg_size, 0
	.set _ZN9rocsparseL41csrgemm_numeric_fill_block_per_row_kernelILj512ELj32ELj1024ELj137ELj32ElldEEvT5_PKS1_S3_NS_24const_host_device_scalarIT6_EEPKT4_S3_PKS5_S9_S3_SB_S6_S9_S3_SB_S9_S3_PS5_21rocsparse_index_base_SD_SD_SD_bbb.uses_vcc, 1
	.set _ZN9rocsparseL41csrgemm_numeric_fill_block_per_row_kernelILj512ELj32ELj1024ELj137ELj32ElldEEvT5_PKS1_S3_NS_24const_host_device_scalarIT6_EEPKT4_S3_PKS5_S9_S3_SB_S6_S9_S3_SB_S9_S3_PS5_21rocsparse_index_base_SD_SD_SD_bbb.uses_flat_scratch, 0
	.set _ZN9rocsparseL41csrgemm_numeric_fill_block_per_row_kernelILj512ELj32ELj1024ELj137ELj32ElldEEvT5_PKS1_S3_NS_24const_host_device_scalarIT6_EEPKT4_S3_PKS5_S9_S3_SB_S6_S9_S3_SB_S9_S3_PS5_21rocsparse_index_base_SD_SD_SD_bbb.has_dyn_sized_stack, 0
	.set _ZN9rocsparseL41csrgemm_numeric_fill_block_per_row_kernelILj512ELj32ELj1024ELj137ELj32ElldEEvT5_PKS1_S3_NS_24const_host_device_scalarIT6_EEPKT4_S3_PKS5_S9_S3_SB_S6_S9_S3_SB_S9_S3_PS5_21rocsparse_index_base_SD_SD_SD_bbb.has_recursion, 0
	.set _ZN9rocsparseL41csrgemm_numeric_fill_block_per_row_kernelILj512ELj32ELj1024ELj137ELj32ElldEEvT5_PKS1_S3_NS_24const_host_device_scalarIT6_EEPKT4_S3_PKS5_S9_S3_SB_S6_S9_S3_SB_S9_S3_PS5_21rocsparse_index_base_SD_SD_SD_bbb.has_indirect_call, 0
	.section	.AMDGPU.csdata,"",@progbits
; Kernel info:
; codeLenInByte = 3140
; TotalNumSgprs: 62
; NumVgprs: 40
; NumAgprs: 0
; TotalNumVgprs: 40
; ScratchSize: 0
; MemoryBound: 0
; FloatMode: 240
; IeeeMode: 1
; LDSByteSize: 0 bytes/workgroup (compile time only)
; SGPRBlocks: 7
; VGPRBlocks: 4
; NumSGPRsForWavesPerEU: 62
; NumVGPRsForWavesPerEU: 40
; AccumOffset: 40
; Occupancy: 8
; WaveLimiterHint : 1
; COMPUTE_PGM_RSRC2:SCRATCH_EN: 0
; COMPUTE_PGM_RSRC2:USER_SGPR: 2
; COMPUTE_PGM_RSRC2:TRAP_HANDLER: 0
; COMPUTE_PGM_RSRC2:TGID_X_EN: 1
; COMPUTE_PGM_RSRC2:TGID_Y_EN: 0
; COMPUTE_PGM_RSRC2:TGID_Z_EN: 0
; COMPUTE_PGM_RSRC2:TIDIG_COMP_CNT: 0
; COMPUTE_PGM_RSRC3_GFX90A:ACCUM_OFFSET: 9
; COMPUTE_PGM_RSRC3_GFX90A:TG_SPLIT: 0
	.section	.text._ZN9rocsparseL41csrgemm_numeric_fill_block_per_row_kernelILj512ELj32ELj1024ELj137ELj64ElldEEvT5_PKS1_S3_NS_24const_host_device_scalarIT6_EEPKT4_S3_PKS5_S9_S3_SB_S6_S9_S3_SB_S9_S3_PS5_21rocsparse_index_base_SD_SD_SD_bbb,"axG",@progbits,_ZN9rocsparseL41csrgemm_numeric_fill_block_per_row_kernelILj512ELj32ELj1024ELj137ELj64ElldEEvT5_PKS1_S3_NS_24const_host_device_scalarIT6_EEPKT4_S3_PKS5_S9_S3_SB_S6_S9_S3_SB_S9_S3_PS5_21rocsparse_index_base_SD_SD_SD_bbb,comdat
	.globl	_ZN9rocsparseL41csrgemm_numeric_fill_block_per_row_kernelILj512ELj32ELj1024ELj137ELj64ElldEEvT5_PKS1_S3_NS_24const_host_device_scalarIT6_EEPKT4_S3_PKS5_S9_S3_SB_S6_S9_S3_SB_S9_S3_PS5_21rocsparse_index_base_SD_SD_SD_bbb ; -- Begin function _ZN9rocsparseL41csrgemm_numeric_fill_block_per_row_kernelILj512ELj32ELj1024ELj137ELj64ElldEEvT5_PKS1_S3_NS_24const_host_device_scalarIT6_EEPKT4_S3_PKS5_S9_S3_SB_S6_S9_S3_SB_S9_S3_PS5_21rocsparse_index_base_SD_SD_SD_bbb
	.p2align	8
	.type	_ZN9rocsparseL41csrgemm_numeric_fill_block_per_row_kernelILj512ELj32ELj1024ELj137ELj64ElldEEvT5_PKS1_S3_NS_24const_host_device_scalarIT6_EEPKT4_S3_PKS5_S9_S3_SB_S6_S9_S3_SB_S9_S3_PS5_21rocsparse_index_base_SD_SD_SD_bbb,@function
_ZN9rocsparseL41csrgemm_numeric_fill_block_per_row_kernelILj512ELj32ELj1024ELj137ELj64ElldEEvT5_PKS1_S3_NS_24const_host_device_scalarIT6_EEPKT4_S3_PKS5_S9_S3_SB_S6_S9_S3_SB_S9_S3_PS5_21rocsparse_index_base_SD_SD_SD_bbb: ; @_ZN9rocsparseL41csrgemm_numeric_fill_block_per_row_kernelILj512ELj32ELj1024ELj137ELj64ElldEEvT5_PKS1_S3_NS_24const_host_device_scalarIT6_EEPKT4_S3_PKS5_S9_S3_SB_S6_S9_S3_SB_S9_S3_PS5_21rocsparse_index_base_SD_SD_SD_bbb
; %bb.0:
	s_load_dword s3, s[0:1], 0x98
	s_load_dwordx4 s[16:19], s[0:1], 0x88
	s_load_dwordx2 s[4:5], s[0:1], 0x18
	s_load_dwordx2 s[12:13], s[0:1], 0x50
	s_waitcnt lgkmcnt(0)
	s_bitcmp1_b32 s3, 0
	s_cselect_b64 s[40:41], -1, 0
	s_bitcmp1_b32 s3, 16
	s_cselect_b64 s[14:15], -1, 0
	s_xor_b64 s[6:7], s[40:41], -1
	s_or_b64 s[6:7], s[14:15], s[6:7]
	s_and_b64 s[8:9], s[40:41], exec
	s_cselect_b32 s9, s5, 0
	s_cselect_b32 s8, s4, 0
	s_and_b64 vcc, exec, s[6:7]
	v_mov_b64_e32 v[4:5], s[8:9]
	s_cbranch_vccnz .LBB107_2
; %bb.1:
	v_mov_b64_e32 v[2:3], s[4:5]
	flat_load_dwordx2 v[4:5], v[2:3]
.LBB107_2:
	s_load_dwordx2 s[28:29], s[0:1], 0x80
	s_load_dwordx2 s[30:31], s[0:1], 0x70
	;; [unrolled: 1-line block ×3, first 2 shown]
	s_load_dwordx4 s[24:27], s[0:1], 0x8
	s_load_dwordx8 s[4:11], s[0:1], 0x20
	s_bitcmp1_b32 s3, 8
	s_cselect_b64 s[38:39], -1, 0
	s_xor_b64 s[20:21], s[38:39], -1
	s_or_b64 s[14:15], s[14:15], s[20:21]
	s_and_b64 s[20:21], s[38:39], exec
	s_cselect_b32 s21, s13, 0
	s_cselect_b32 s20, s12, 0
	s_and_b64 vcc, exec, s[14:15]
	v_mov_b64_e32 v[2:3], s[20:21]
	s_cbranch_vccnz .LBB107_4
; %bb.3:
	v_mov_b64_e32 v[2:3], s[12:13]
	flat_load_dwordx2 v[2:3], v[2:3]
.LBB107_4:
	s_load_dwordx4 s[12:15], s[0:1], 0x60
	s_load_dwordx4 s[20:23], s[0:1], 0x40
	s_load_dwordx2 s[34:35], s[0:1], 0x0
	v_or_b32_e32 v1, 0xfffffe00, v0
	v_mov_b32_e32 v6, 0
	v_lshl_add_u32 v26, v0, 3, 0
	s_mov_b64 s[0:1], 0
	s_waitcnt lgkmcnt(0)
	v_mov_b64_e32 v[8:9], s[34:35]
	v_mov_b32_e32 v7, v6
	v_mov_b32_e32 v10, v26
	;; [unrolled: 1-line block ×3, first 2 shown]
.LBB107_5:                              ; =>This Inner Loop Header: Depth=1
	v_add_co_u32_e32 v11, vcc, 0x200, v11
	s_xor_b64 s[42:43], vcc, -1
	s_and_b64 s[42:43], exec, s[42:43]
	ds_write2st64_b64 v10, v[8:9], v[6:7] offset1:16
	s_or_b64 s[0:1], s[42:43], s[0:1]
	v_add_u32_e32 v10, 0x1000, v10
	s_andn2_b64 exec, exec, s[0:1]
	s_cbranch_execnz .LBB107_5
; %bb.6:
	s_or_b64 exec, exec, s[0:1]
	s_waitcnt lgkmcnt(0)
	s_barrier
	s_load_dwordx2 s[0:1], s[24:25], 0x0
	s_mov_b32 s3, 0
	s_waitcnt lgkmcnt(0)
	s_lshl_b64 s[0:1], s[0:1], 3
	s_add_u32 s24, s26, s0
	s_addc_u32 s25, s27, s1
	s_lshl_b64 s[0:1], s[2:3], 3
	s_add_u32 s0, s24, s0
	s_addc_u32 s1, s25, s1
	s_load_dwordx2 s[24:25], s[0:1], 0x0
	s_and_b64 vcc, exec, s[40:41]
	s_cbranch_vccz .LBB107_26
; %bb.7:
	s_waitcnt lgkmcnt(0)
	s_lshl_b64 s[0:1], s[24:25], 3
	s_add_u32 s0, s4, s0
	s_addc_u32 s1, s5, s1
	s_load_dwordx4 s[40:43], s[0:1], 0x0
	v_lshrrev_b32_e32 v6, 5, v0
	v_subrev_co_u32_e32 v6, vcc, s16, v6
	s_waitcnt lgkmcnt(0)
	s_sub_u32 s0, s42, s16
	v_subb_co_u32_e64 v7, s[2:3], 0, 0, vcc
	s_subb_u32 s1, s43, 0
	v_lshl_add_u64 v[6:7], s[40:41], 0, v[6:7]
	v_cmp_gt_i64_e32 vcc, s[0:1], v[6:7]
	s_and_saveexec_b64 s[2:3], vcc
	s_cbranch_execz .LBB107_25
; %bb.8:
	v_and_b32_e32 v8, 31, v0
	v_subrev_co_u32_e32 v8, vcc, s17, v8
	s_mov_b32 s33, s17
	s_nop 0
	v_subb_co_u32_e64 v9, s[4:5], 0, 0, vcc
	s_mov_b64 s[4:5], 0
	s_movk_i32 s17, 0x89
	s_branch .LBB107_10
.LBB107_9:                              ;   in Loop: Header=BB107_10 Depth=1
	s_or_b64 exec, exec, s[26:27]
	v_lshl_add_u64 v[6:7], v[6:7], 0, 16
	v_cmp_le_i64_e32 vcc, s[0:1], v[6:7]
	s_or_b64 s[4:5], vcc, s[4:5]
	s_andn2_b64 exec, exec, s[4:5]
	s_cbranch_execz .LBB107_25
.LBB107_10:                             ; =>This Loop Header: Depth=1
                                        ;     Child Loop BB107_14 Depth 2
                                        ;       Child Loop BB107_17 Depth 3
	v_lshl_add_u64 v[10:11], v[6:7], 3, s[6:7]
	global_load_dwordx2 v[10:11], v[10:11], off
	s_waitcnt vmcnt(0)
	v_subrev_co_u32_e32 v10, vcc, s16, v10
	s_nop 1
	v_subbrev_co_u32_e32 v11, vcc, 0, v11, vcc
	v_lshl_add_u64 v[10:11], v[10:11], 3, s[10:11]
	global_load_dwordx4 v[12:15], v[10:11], off
	s_waitcnt vmcnt(0)
	v_subrev_co_u32_e32 v10, vcc, s33, v14
	s_nop 1
	v_subbrev_co_u32_e32 v11, vcc, 0, v15, vcc
	v_lshl_add_u64 v[12:13], v[12:13], 0, v[8:9]
	v_cmp_lt_i64_e32 vcc, v[12:13], v[10:11]
	s_and_saveexec_b64 s[26:27], vcc
	s_cbranch_execz .LBB107_9
; %bb.11:                               ;   in Loop: Header=BB107_10 Depth=1
	v_lshl_add_u64 v[14:15], v[6:7], 3, s[8:9]
	global_load_dwordx2 v[14:15], v[14:15], off
	s_mov_b64 s[40:41], 0
	s_waitcnt vmcnt(0)
	v_mul_f64 v[14:15], v[4:5], v[14:15]
	s_branch .LBB107_14
.LBB107_12:                             ;   in Loop: Header=BB107_14 Depth=2
	s_or_b64 exec, exec, s[44:45]
.LBB107_13:                             ;   in Loop: Header=BB107_14 Depth=2
	s_or_b64 exec, exec, s[42:43]
	s_waitcnt vmcnt(0)
	v_mul_f64 v[16:17], v[14:15], v[16:17]
	v_lshl_add_u32 v18, v20, 3, 0
	ds_add_f64 v18, v[16:17] offset:8192
	v_lshl_add_u64 v[12:13], v[12:13], 0, 32
	v_cmp_ge_i64_e32 vcc, v[12:13], v[10:11]
	s_or_b64 s[40:41], vcc, s[40:41]
	s_andn2_b64 exec, exec, s[40:41]
	s_cbranch_execz .LBB107_9
.LBB107_14:                             ;   Parent Loop BB107_10 Depth=1
                                        ; =>  This Loop Header: Depth=2
                                        ;       Child Loop BB107_17 Depth 3
	v_lshlrev_b64 v[16:17], 3, v[12:13]
	v_lshl_add_u64 v[18:19], s[20:21], 0, v[16:17]
	global_load_dwordx2 v[18:19], v[18:19], off
	v_lshl_add_u64 v[16:17], s[22:23], 0, v[16:17]
	global_load_dwordx2 v[16:17], v[16:17], off
	s_waitcnt vmcnt(1)
	v_subrev_co_u32_e32 v18, vcc, s33, v18
	v_mul_lo_u32 v20, v18, s17
	v_and_b32_e32 v20, 0x3ff, v20
	v_lshl_add_u32 v27, v20, 3, 0
	ds_read_b64 v[24:25], v27
	v_subbrev_co_u32_e32 v19, vcc, 0, v19, vcc
	s_waitcnt lgkmcnt(0)
	v_cmp_ne_u64_e32 vcc, v[24:25], v[18:19]
	s_and_saveexec_b64 s[42:43], vcc
	s_cbranch_execz .LBB107_13
; %bb.15:                               ;   in Loop: Header=BB107_14 Depth=2
	s_mov_b64 s[44:45], 0
                                        ; implicit-def: $sgpr46_sgpr47
                                        ; implicit-def: $sgpr48_sgpr49
	s_branch .LBB107_17
.LBB107_16:                             ;   in Loop: Header=BB107_17 Depth=3
	s_or_b64 exec, exec, s[54:55]
	s_and_b64 s[50:51], exec, s[52:53]
	s_or_b64 s[44:45], s[50:51], s[44:45]
	s_andn2_b64 s[46:47], s[46:47], exec
	s_and_b64 s[50:51], s[48:49], exec
	s_or_b64 s[46:47], s[46:47], s[50:51]
	s_andn2_b64 exec, exec, s[44:45]
	s_cbranch_execz .LBB107_23
.LBB107_17:                             ;   Parent Loop BB107_10 Depth=1
                                        ;     Parent Loop BB107_14 Depth=2
                                        ; =>    This Inner Loop Header: Depth=3
	v_mov_b64_e32 v[22:23], v[20:21]
	v_cmp_ne_u64_e32 vcc, s[34:35], v[24:25]
	s_mov_b64 s[50:51], 0
                                        ; implicit-def: $vgpr20_vgpr21
	s_and_saveexec_b64 s[52:53], vcc
	s_xor_b64 s[52:53], exec, s[52:53]
; %bb.18:                               ;   in Loop: Header=BB107_17 Depth=3
	v_add_u32_e32 v20, 1, v22
	s_mov_b64 s[50:51], exec
	v_and_b32_e32 v20, 0x3ff, v20
                                        ; implicit-def: $vgpr27
; %bb.19:                               ;   in Loop: Header=BB107_17 Depth=3
	s_andn2_saveexec_b64 s[52:53], s[52:53]
	s_cbranch_execz .LBB107_21
; %bb.20:                               ;   in Loop: Header=BB107_17 Depth=3
	v_mov_b64_e32 v[20:21], s[34:35]
	ds_cmpst_rtn_b64 v[20:21], v27, v[20:21], v[18:19]
	s_andn2_b64 s[50:51], s[50:51], exec
	s_waitcnt lgkmcnt(0)
	v_cmp_ne_u64_e32 vcc, s[34:35], v[20:21]
	s_and_b64 s[54:55], vcc, exec
	s_or_b64 s[50:51], s[50:51], s[54:55]
	v_mov_b64_e32 v[20:21], v[22:23]
.LBB107_21:                             ;   in Loop: Header=BB107_17 Depth=3
	s_or_b64 exec, exec, s[52:53]
	s_mov_b64 s[52:53], -1
	s_or_b64 s[48:49], s[48:49], exec
                                        ; implicit-def: $vgpr27
                                        ; implicit-def: $vgpr24_vgpr25
	s_and_saveexec_b64 s[54:55], s[50:51]
	s_cbranch_execz .LBB107_16
; %bb.22:                               ;   in Loop: Header=BB107_17 Depth=3
	v_lshl_add_u32 v27, v20, 3, 0
	ds_read_b64 v[24:25], v27
	s_andn2_b64 s[48:49], s[48:49], exec
	s_waitcnt lgkmcnt(0)
	v_cmp_eq_u64_e32 vcc, v[24:25], v[18:19]
	s_orn2_b64 s[52:53], vcc, exec
	s_branch .LBB107_16
.LBB107_23:                             ;   in Loop: Header=BB107_14 Depth=2
	s_or_b64 exec, exec, s[44:45]
	s_and_saveexec_b64 s[44:45], s[46:47]
	s_xor_b64 s[44:45], exec, s[44:45]
	s_cbranch_execz .LBB107_12
; %bb.24:                               ;   in Loop: Header=BB107_14 Depth=2
	v_mov_b32_e32 v20, v22
	s_branch .LBB107_12
.LBB107_25:
	s_or_b64 exec, exec, s[2:3]
.LBB107_26:
	s_andn2_b64 vcc, exec, s[38:39]
	s_cbranch_vccnz .LBB107_43
; %bb.27:
	s_waitcnt lgkmcnt(0)
	s_lshl_b64 s[0:1], s[24:25], 3
	s_add_u32 s0, s36, s0
	s_addc_u32 s1, s37, s1
	s_load_dwordx4 s[4:7], s[0:1], 0x0
	s_waitcnt vmcnt(0)
	v_subrev_co_u32_e32 v4, vcc, s19, v0
	s_waitcnt lgkmcnt(0)
	s_sub_u32 s0, s6, s19
	v_subb_co_u32_e64 v5, s[2:3], 0, 0, vcc
	s_subb_u32 s1, s7, 0
	v_lshl_add_u64 v[4:5], s[4:5], 0, v[4:5]
	v_cmp_gt_i64_e32 vcc, s[0:1], v[4:5]
	s_and_saveexec_b64 s[2:3], vcc
	s_cbranch_execz .LBB107_42
; %bb.28:
	s_mov_b32 s33, s19
	s_mov_b64 s[4:5], 0
	s_movk_i32 s19, 0x89
	s_mov_b64 s[6:7], 0x200
	s_branch .LBB107_31
.LBB107_29:                             ;   in Loop: Header=BB107_31 Depth=1
	s_or_b64 exec, exec, s[10:11]
.LBB107_30:                             ;   in Loop: Header=BB107_31 Depth=1
	s_or_b64 exec, exec, s[8:9]
	s_waitcnt vmcnt(0)
	v_mul_f64 v[6:7], v[2:3], v[6:7]
	v_lshl_add_u32 v8, v10, 3, 0
	ds_add_f64 v8, v[6:7] offset:8192
	v_lshl_add_u64 v[4:5], v[4:5], 0, s[6:7]
	v_cmp_le_i64_e32 vcc, s[0:1], v[4:5]
	s_or_b64 s[4:5], vcc, s[4:5]
	s_andn2_b64 exec, exec, s[4:5]
	s_cbranch_execz .LBB107_42
.LBB107_31:                             ; =>This Loop Header: Depth=1
                                        ;     Child Loop BB107_34 Depth 2
	v_lshlrev_b64 v[6:7], 3, v[4:5]
	v_lshl_add_u64 v[8:9], s[12:13], 0, v[6:7]
	global_load_dwordx2 v[8:9], v[8:9], off
	v_lshl_add_u64 v[6:7], s[14:15], 0, v[6:7]
	global_load_dwordx2 v[6:7], v[6:7], off
	s_waitcnt vmcnt(1)
	v_subrev_co_u32_e32 v8, vcc, s33, v8
	v_mul_lo_u32 v10, v8, s19
	v_and_b32_e32 v10, 0x3ff, v10
	v_lshl_add_u32 v16, v10, 3, 0
	ds_read_b64 v[14:15], v16
	v_subbrev_co_u32_e32 v9, vcc, 0, v9, vcc
	s_waitcnt lgkmcnt(0)
	v_cmp_ne_u64_e32 vcc, v[14:15], v[8:9]
	s_and_saveexec_b64 s[8:9], vcc
	s_cbranch_execz .LBB107_30
; %bb.32:                               ;   in Loop: Header=BB107_31 Depth=1
	s_mov_b64 s[10:11], 0
                                        ; implicit-def: $sgpr16_sgpr17
                                        ; implicit-def: $sgpr20_sgpr21
	s_branch .LBB107_34
.LBB107_33:                             ;   in Loop: Header=BB107_34 Depth=2
	s_or_b64 exec, exec, s[36:37]
	s_and_b64 s[22:23], exec, s[26:27]
	s_or_b64 s[10:11], s[22:23], s[10:11]
	s_andn2_b64 s[16:17], s[16:17], exec
	s_and_b64 s[22:23], s[20:21], exec
	s_or_b64 s[16:17], s[16:17], s[22:23]
	s_andn2_b64 exec, exec, s[10:11]
	s_cbranch_execz .LBB107_40
.LBB107_34:                             ;   Parent Loop BB107_31 Depth=1
                                        ; =>  This Inner Loop Header: Depth=2
	v_mov_b64_e32 v[12:13], v[10:11]
	v_cmp_ne_u64_e32 vcc, s[34:35], v[14:15]
	s_mov_b64 s[22:23], 0
                                        ; implicit-def: $vgpr10_vgpr11
	s_and_saveexec_b64 s[26:27], vcc
	s_xor_b64 s[26:27], exec, s[26:27]
; %bb.35:                               ;   in Loop: Header=BB107_34 Depth=2
	v_add_u32_e32 v10, 1, v12
	s_mov_b64 s[22:23], exec
	v_and_b32_e32 v10, 0x3ff, v10
                                        ; implicit-def: $vgpr16
; %bb.36:                               ;   in Loop: Header=BB107_34 Depth=2
	s_andn2_saveexec_b64 s[26:27], s[26:27]
	s_cbranch_execz .LBB107_38
; %bb.37:                               ;   in Loop: Header=BB107_34 Depth=2
	v_mov_b64_e32 v[10:11], s[34:35]
	ds_cmpst_rtn_b64 v[10:11], v16, v[10:11], v[8:9]
	s_andn2_b64 s[22:23], s[22:23], exec
	s_waitcnt lgkmcnt(0)
	v_cmp_ne_u64_e32 vcc, s[34:35], v[10:11]
	s_and_b64 s[36:37], vcc, exec
	s_or_b64 s[22:23], s[22:23], s[36:37]
	v_mov_b64_e32 v[10:11], v[12:13]
.LBB107_38:                             ;   in Loop: Header=BB107_34 Depth=2
	s_or_b64 exec, exec, s[26:27]
	s_mov_b64 s[26:27], -1
	s_or_b64 s[20:21], s[20:21], exec
                                        ; implicit-def: $vgpr16
                                        ; implicit-def: $vgpr14_vgpr15
	s_and_saveexec_b64 s[36:37], s[22:23]
	s_cbranch_execz .LBB107_33
; %bb.39:                               ;   in Loop: Header=BB107_34 Depth=2
	v_lshl_add_u32 v16, v10, 3, 0
	ds_read_b64 v[14:15], v16
	s_andn2_b64 s[20:21], s[20:21], exec
	s_waitcnt lgkmcnt(0)
	v_cmp_eq_u64_e32 vcc, v[14:15], v[8:9]
	s_orn2_b64 s[26:27], vcc, exec
	s_branch .LBB107_33
.LBB107_40:                             ;   in Loop: Header=BB107_31 Depth=1
	s_or_b64 exec, exec, s[10:11]
	s_and_saveexec_b64 s[10:11], s[16:17]
	s_xor_b64 s[10:11], exec, s[10:11]
	s_cbranch_execz .LBB107_29
; %bb.41:                               ;   in Loop: Header=BB107_31 Depth=1
	v_mov_b32_e32 v10, v12
	s_branch .LBB107_29
.LBB107_42:
	s_or_b64 exec, exec, s[2:3]
.LBB107_43:
	s_waitcnt vmcnt(0)
	v_mbcnt_lo_u32_b32 v2, -1, 0
	v_mbcnt_hi_u32_b32 v2, -1, v2
	v_sub_u32_e32 v2, 63, v2
	v_lshrrev_b64 v[8:9], v2, -1
	v_lshrrev_b32_e32 v2, 3, v0
	v_and_b32_e32 v2, 56, v2
	s_movk_i32 s0, 0x1ff
	s_movk_i32 s4, 0x7f
	;; [unrolled: 1-line block ×7, first 2 shown]
	v_mov_b32_e32 v7, 0
	v_add_u32_e32 v14, 0, v2
	v_cmp_eq_u32_e64 s[0:1], s0, v0
	v_cmp_lt_u32_e64 s[2:3], 63, v0
	v_cmp_lt_u32_e64 s[4:5], s4, v0
	;; [unrolled: 1-line block ×7, first 2 shown]
	s_mov_b64 s[16:17], 0
	v_mov_b64_e32 v[10:11], 0
	s_waitcnt lgkmcnt(0)
	s_barrier
	s_branch .LBB107_45
.LBB107_44:                             ;   in Loop: Header=BB107_45 Depth=1
	s_or_b64 exec, exec, s[20:21]
	s_waitcnt lgkmcnt(0)
	s_barrier
	ds_read_b64 v[2:3], v7 offset:16440
	v_add_co_u32_e32 v1, vcc, 0x200, v1
	s_xor_b64 s[20:21], vcc, -1
	s_and_b64 s[20:21], exec, s[20:21]
	s_waitcnt lgkmcnt(0)
	v_lshl_add_u64 v[10:11], v[2:3], 0, v[10:11]
	s_or_b64 s[16:17], s[20:21], s[16:17]
	v_add_u32_e32 v26, 0x1000, v26
	s_andn2_b64 exec, exec, s[16:17]
	s_cbranch_execz .LBB107_63
.LBB107_45:                             ; =>This Inner Loop Header: Depth=1
	ds_read2st64_b64 v[2:5], v26 offset1:16
	s_waitcnt lgkmcnt(0)
	s_barrier
	v_cmp_gt_i64_e32 vcc, s[34:35], v[2:3]
	s_bcnt1_i32_b64 s19, vcc
	s_nop 0
	v_and_b32_e32 v13, vcc_lo, v8
	v_and_b32_e32 v12, vcc_hi, v9
	v_bcnt_u32_b32 v13, v13, 0
	v_mov_b32_e32 v6, s19
	v_bcnt_u32_b32 v12, v12, v13
	ds_write_b64 v14, v[6:7] offset:16384
	s_waitcnt lgkmcnt(0)
	s_barrier
	s_and_saveexec_b64 s[20:21], s[2:3]
	s_cbranch_execnz .LBB107_54
; %bb.46:                               ;   in Loop: Header=BB107_45 Depth=1
	s_or_b64 exec, exec, s[20:21]
	s_and_saveexec_b64 s[20:21], s[4:5]
	s_cbranch_execnz .LBB107_55
.LBB107_47:                             ;   in Loop: Header=BB107_45 Depth=1
	s_or_b64 exec, exec, s[20:21]
	s_and_saveexec_b64 s[20:21], s[6:7]
	s_cbranch_execnz .LBB107_56
.LBB107_48:                             ;   in Loop: Header=BB107_45 Depth=1
	s_or_b64 exec, exec, s[20:21]
	s_and_saveexec_b64 s[20:21], s[8:9]
	s_cbranch_execnz .LBB107_57
.LBB107_49:                             ;   in Loop: Header=BB107_45 Depth=1
	s_or_b64 exec, exec, s[20:21]
	s_and_saveexec_b64 s[20:21], s[10:11]
	s_cbranch_execnz .LBB107_58
.LBB107_50:                             ;   in Loop: Header=BB107_45 Depth=1
	s_or_b64 exec, exec, s[20:21]
	s_and_saveexec_b64 s[20:21], s[12:13]
	s_cbranch_execnz .LBB107_59
.LBB107_51:                             ;   in Loop: Header=BB107_45 Depth=1
	s_or_b64 exec, exec, s[20:21]
	s_and_saveexec_b64 s[20:21], s[14:15]
	s_cbranch_execnz .LBB107_60
.LBB107_52:                             ;   in Loop: Header=BB107_45 Depth=1
	s_or_b64 exec, exec, s[20:21]
	v_ashrrev_i32_e32 v13, 31, v12
	s_and_saveexec_b64 s[20:21], vcc
	s_cbranch_execnz .LBB107_61
.LBB107_53:                             ;   in Loop: Header=BB107_45 Depth=1
	s_or_b64 exec, exec, s[20:21]
	s_and_saveexec_b64 s[20:21], s[0:1]
	s_cbranch_execz .LBB107_44
	s_branch .LBB107_62
.LBB107_54:                             ;   in Loop: Header=BB107_45 Depth=1
	ds_read_b32 v6, v7 offset:16384
	s_waitcnt lgkmcnt(0)
	v_add_u32_e32 v12, v6, v12
	s_or_b64 exec, exec, s[20:21]
	s_and_saveexec_b64 s[20:21], s[4:5]
	s_cbranch_execz .LBB107_47
.LBB107_55:                             ;   in Loop: Header=BB107_45 Depth=1
	ds_read_b32 v6, v7 offset:16392
	s_waitcnt lgkmcnt(0)
	v_add_u32_e32 v12, v12, v6
	s_or_b64 exec, exec, s[20:21]
	s_and_saveexec_b64 s[20:21], s[6:7]
	s_cbranch_execz .LBB107_48
.LBB107_56:                             ;   in Loop: Header=BB107_45 Depth=1
	ds_read_b32 v6, v7 offset:16400
	s_waitcnt lgkmcnt(0)
	v_add_u32_e32 v12, v12, v6
	s_or_b64 exec, exec, s[20:21]
	s_and_saveexec_b64 s[20:21], s[8:9]
	s_cbranch_execz .LBB107_49
.LBB107_57:                             ;   in Loop: Header=BB107_45 Depth=1
	ds_read_b32 v6, v7 offset:16408
	s_waitcnt lgkmcnt(0)
	v_add_u32_e32 v12, v12, v6
	s_or_b64 exec, exec, s[20:21]
	s_and_saveexec_b64 s[20:21], s[10:11]
	s_cbranch_execz .LBB107_50
.LBB107_58:                             ;   in Loop: Header=BB107_45 Depth=1
	ds_read_b32 v6, v7 offset:16416
	s_waitcnt lgkmcnt(0)
	v_add_u32_e32 v12, v12, v6
	s_or_b64 exec, exec, s[20:21]
	s_and_saveexec_b64 s[20:21], s[12:13]
	s_cbranch_execz .LBB107_51
.LBB107_59:                             ;   in Loop: Header=BB107_45 Depth=1
	ds_read_b32 v6, v7 offset:16424
	s_waitcnt lgkmcnt(0)
	v_add_u32_e32 v12, v12, v6
	s_or_b64 exec, exec, s[20:21]
	s_and_saveexec_b64 s[20:21], s[14:15]
	s_cbranch_execz .LBB107_52
.LBB107_60:                             ;   in Loop: Header=BB107_45 Depth=1
	ds_read_b32 v6, v7 offset:16432
	s_waitcnt lgkmcnt(0)
	v_add_u32_e32 v12, v12, v6
	s_or_b64 exec, exec, s[20:21]
	v_ashrrev_i32_e32 v13, 31, v12
	s_and_saveexec_b64 s[20:21], vcc
	s_cbranch_execz .LBB107_53
.LBB107_61:                             ;   in Loop: Header=BB107_45 Depth=1
	v_add3_u32 v6, v10, -1, v12
	v_lshl_add_u32 v6, v6, 3, 0
	v_add_u32_e32 v15, v10, v12
	v_lshl_add_u32 v15, v15, 3, 0
	ds_write_b64 v6, v[2:3]
	ds_write_b64 v15, v[4:5] offset:8184
	s_or_b64 exec, exec, s[20:21]
	s_and_saveexec_b64 s[20:21], s[0:1]
	s_cbranch_execz .LBB107_44
.LBB107_62:                             ;   in Loop: Header=BB107_45 Depth=1
	ds_write_b64 v7, v[12:13] offset:16440
	s_branch .LBB107_44
.LBB107_63:
	s_or_b64 exec, exec, s[16:17]
	s_lshl_b64 s[0:1], s[24:25], 3
	s_add_u32 s4, s30, s0
	s_addc_u32 s5, s31, s1
	s_load_dwordx4 s[0:3], s[4:5], 0x0
	v_mov_b32_e32 v1, 0
	s_waitcnt lgkmcnt(0)
	s_sub_u32 s4, s2, s0
	s_subb_u32 s5, s3, s1
	v_cmp_gt_i64_e32 vcc, s[4:5], v[0:1]
	s_and_saveexec_b64 s[6:7], vcc
	s_cbranch_execz .LBB107_73
; %bb.64:
	s_sub_u32 s8, s0, s18
	s_subb_u32 s9, s1, 0
	s_and_b32 s6, s4, 7
	s_sub_u32 s0, s0, s2
	s_mov_b32 s7, 0
	s_subb_u32 s1, s1, s3
	s_and_b32 s10, s4, -8
	s_cmp_lg_u64 s[6:7], 0
	v_cmp_lt_u64_e64 s[0:1], s[0:1], -7
	s_cselect_b64 s[2:3], -1, 0
	s_mov_b32 s11, s5
	v_cndmask_b32_e64 v2, 0, 1, s[0:1]
	v_cmp_ne_u32_e64 s[0:1], 1, v2
	v_cndmask_b32_e64 v2, 0, 1, s[2:3]
	s_mov_b64 s[12:13], 0
	v_cmp_ne_u32_e64 s[2:3], 1, v2
	s_mov_b64 s[14:15], 0x200
	s_branch .LBB107_66
.LBB107_65:                             ;   in Loop: Header=BB107_66 Depth=1
	v_lshl_add_u64 v[0:1], v[0:1], 0, s[14:15]
	v_cmp_le_i64_e32 vcc, s[4:5], v[0:1]
	s_waitcnt lgkmcnt(0)
	v_lshl_add_u64 v[2:3], v[6:7], 3, s[28:29]
	s_or_b64 s[12:13], vcc, s[12:13]
	global_store_dwordx2 v[2:3], v[4:5], off
	s_andn2_b64 exec, exec, s[12:13]
	s_cbranch_execz .LBB107_73
.LBB107_66:                             ; =>This Loop Header: Depth=1
                                        ;     Child Loop BB107_68 Depth 2
                                        ;     Child Loop BB107_72 Depth 2
	v_lshl_add_u32 v2, v0, 3, 0
	ds_read2st64_b64 v[2:5], v2 offset1:16
	s_and_b64 vcc, exec, s[0:1]
	v_mov_b64_e32 v[6:7], s[8:9]
	s_mov_b64 s[16:17], 0
	s_cbranch_vccnz .LBB107_70
; %bb.67:                               ;   in Loop: Header=BB107_66 Depth=1
	s_mov_b32 s18, 0
	v_mov_b64_e32 v[6:7], s[8:9]
.LBB107_68:                             ;   Parent Loop BB107_66 Depth=1
                                        ; =>  This Inner Loop Header: Depth=2
	v_mov_b32_e32 v20, s18
	ds_read2_b64 v[8:11], v20 offset1:1
	ds_read2_b64 v[12:15], v20 offset0:2 offset1:3
	ds_read2_b64 v[16:19], v20 offset0:4 offset1:5
	;; [unrolled: 1-line block ×3, first 2 shown]
	v_mov_b32_e32 v25, s7
	s_waitcnt lgkmcnt(3)
	v_cmp_gt_i64_e32 vcc, v[2:3], v[8:9]
	v_mov_b32_e32 v27, s7
	v_mov_b32_e32 v29, s7
	v_cndmask_b32_e64 v24, 0, 1, vcc
	v_cmp_gt_i64_e32 vcc, v[2:3], v[10:11]
	v_lshl_add_u64 v[6:7], v[6:7], 0, v[24:25]
	v_mov_b32_e32 v31, s7
	v_cndmask_b32_e64 v26, 0, 1, vcc
	s_waitcnt lgkmcnt(2)
	v_cmp_gt_i64_e32 vcc, v[2:3], v[12:13]
	v_lshl_add_u64 v[6:7], v[6:7], 0, v[26:27]
	v_mov_b32_e32 v33, s7
	v_cndmask_b32_e64 v28, 0, 1, vcc
	v_cmp_gt_i64_e32 vcc, v[2:3], v[14:15]
	v_lshl_add_u64 v[6:7], v[6:7], 0, v[28:29]
	v_mov_b32_e32 v35, s7
	v_cndmask_b32_e64 v30, 0, 1, vcc
	s_waitcnt lgkmcnt(1)
	v_cmp_gt_i64_e32 vcc, v[2:3], v[16:17]
	v_lshl_add_u64 v[6:7], v[6:7], 0, v[30:31]
	v_mov_b32_e32 v37, s7
	v_cndmask_b32_e64 v32, 0, 1, vcc
	v_cmp_gt_i64_e32 vcc, v[2:3], v[18:19]
	v_lshl_add_u64 v[6:7], v[6:7], 0, v[32:33]
	s_add_u32 s16, s16, 8
	v_cndmask_b32_e64 v34, 0, 1, vcc
	s_waitcnt lgkmcnt(0)
	v_cmp_gt_i64_e32 vcc, v[2:3], v[20:21]
	v_lshl_add_u64 v[6:7], v[6:7], 0, v[34:35]
	v_mov_b32_e32 v39, s7
	v_cndmask_b32_e64 v36, 0, 1, vcc
	v_cmp_gt_i64_e32 vcc, v[2:3], v[22:23]
	s_addc_u32 s17, s17, 0
	s_add_i32 s18, s18, 64
	v_cndmask_b32_e64 v38, 0, 1, vcc
	v_lshl_add_u64 v[6:7], v[6:7], 0, v[36:37]
	s_cmp_eq_u64 s[10:11], s[16:17]
	v_lshl_add_u64 v[6:7], v[6:7], 0, v[38:39]
	s_cbranch_scc0 .LBB107_68
; %bb.69:                               ;   in Loop: Header=BB107_66 Depth=1
	s_mov_b64 s[16:17], s[10:11]
.LBB107_70:                             ;   in Loop: Header=BB107_66 Depth=1
	s_and_b64 vcc, exec, s[2:3]
	s_cbranch_vccnz .LBB107_65
; %bb.71:                               ;   in Loop: Header=BB107_66 Depth=1
	s_lshl_b32 s16, s16, 3
	s_add_i32 s18, s16, 0
	s_mov_b64 s[16:17], s[6:7]
.LBB107_72:                             ;   Parent Loop BB107_66 Depth=1
                                        ; =>  This Inner Loop Header: Depth=2
	v_mov_b32_e32 v8, s18
	ds_read_b64 v[10:11], v8
	s_add_i32 s18, s18, 8
	s_add_u32 s16, s16, -1
	v_mov_b32_e32 v9, s7
	s_addc_u32 s17, s17, -1
	s_waitcnt lgkmcnt(0)
	v_cmp_gt_i64_e32 vcc, v[2:3], v[10:11]
	s_cmp_lg_u64 s[16:17], 0
	s_nop 0
	v_cndmask_b32_e64 v8, 0, 1, vcc
	v_lshl_add_u64 v[6:7], v[6:7], 0, v[8:9]
	s_cbranch_scc1 .LBB107_72
	s_branch .LBB107_65
.LBB107_73:
	s_endpgm
	.section	.rodata,"a",@progbits
	.p2align	6, 0x0
	.amdhsa_kernel _ZN9rocsparseL41csrgemm_numeric_fill_block_per_row_kernelILj512ELj32ELj1024ELj137ELj64ElldEEvT5_PKS1_S3_NS_24const_host_device_scalarIT6_EEPKT4_S3_PKS5_S9_S3_SB_S6_S9_S3_SB_S9_S3_PS5_21rocsparse_index_base_SD_SD_SD_bbb
		.amdhsa_group_segment_fixed_size 0
		.amdhsa_private_segment_fixed_size 0
		.amdhsa_kernarg_size 156
		.amdhsa_user_sgpr_count 2
		.amdhsa_user_sgpr_dispatch_ptr 0
		.amdhsa_user_sgpr_queue_ptr 0
		.amdhsa_user_sgpr_kernarg_segment_ptr 1
		.amdhsa_user_sgpr_dispatch_id 0
		.amdhsa_user_sgpr_kernarg_preload_length 0
		.amdhsa_user_sgpr_kernarg_preload_offset 0
		.amdhsa_user_sgpr_private_segment_size 0
		.amdhsa_uses_dynamic_stack 0
		.amdhsa_enable_private_segment 0
		.amdhsa_system_sgpr_workgroup_id_x 1
		.amdhsa_system_sgpr_workgroup_id_y 0
		.amdhsa_system_sgpr_workgroup_id_z 0
		.amdhsa_system_sgpr_workgroup_info 0
		.amdhsa_system_vgpr_workitem_id 0
		.amdhsa_next_free_vgpr 40
		.amdhsa_next_free_sgpr 56
		.amdhsa_accum_offset 40
		.amdhsa_reserve_vcc 1
		.amdhsa_float_round_mode_32 0
		.amdhsa_float_round_mode_16_64 0
		.amdhsa_float_denorm_mode_32 3
		.amdhsa_float_denorm_mode_16_64 3
		.amdhsa_dx10_clamp 1
		.amdhsa_ieee_mode 1
		.amdhsa_fp16_overflow 0
		.amdhsa_tg_split 0
		.amdhsa_exception_fp_ieee_invalid_op 0
		.amdhsa_exception_fp_denorm_src 0
		.amdhsa_exception_fp_ieee_div_zero 0
		.amdhsa_exception_fp_ieee_overflow 0
		.amdhsa_exception_fp_ieee_underflow 0
		.amdhsa_exception_fp_ieee_inexact 0
		.amdhsa_exception_int_div_zero 0
	.end_amdhsa_kernel
	.section	.text._ZN9rocsparseL41csrgemm_numeric_fill_block_per_row_kernelILj512ELj32ELj1024ELj137ELj64ElldEEvT5_PKS1_S3_NS_24const_host_device_scalarIT6_EEPKT4_S3_PKS5_S9_S3_SB_S6_S9_S3_SB_S9_S3_PS5_21rocsparse_index_base_SD_SD_SD_bbb,"axG",@progbits,_ZN9rocsparseL41csrgemm_numeric_fill_block_per_row_kernelILj512ELj32ELj1024ELj137ELj64ElldEEvT5_PKS1_S3_NS_24const_host_device_scalarIT6_EEPKT4_S3_PKS5_S9_S3_SB_S6_S9_S3_SB_S9_S3_PS5_21rocsparse_index_base_SD_SD_SD_bbb,comdat
.Lfunc_end107:
	.size	_ZN9rocsparseL41csrgemm_numeric_fill_block_per_row_kernelILj512ELj32ELj1024ELj137ELj64ElldEEvT5_PKS1_S3_NS_24const_host_device_scalarIT6_EEPKT4_S3_PKS5_S9_S3_SB_S6_S9_S3_SB_S9_S3_PS5_21rocsparse_index_base_SD_SD_SD_bbb, .Lfunc_end107-_ZN9rocsparseL41csrgemm_numeric_fill_block_per_row_kernelILj512ELj32ELj1024ELj137ELj64ElldEEvT5_PKS1_S3_NS_24const_host_device_scalarIT6_EEPKT4_S3_PKS5_S9_S3_SB_S6_S9_S3_SB_S9_S3_PS5_21rocsparse_index_base_SD_SD_SD_bbb
                                        ; -- End function
	.set _ZN9rocsparseL41csrgemm_numeric_fill_block_per_row_kernelILj512ELj32ELj1024ELj137ELj64ElldEEvT5_PKS1_S3_NS_24const_host_device_scalarIT6_EEPKT4_S3_PKS5_S9_S3_SB_S6_S9_S3_SB_S9_S3_PS5_21rocsparse_index_base_SD_SD_SD_bbb.num_vgpr, 40
	.set _ZN9rocsparseL41csrgemm_numeric_fill_block_per_row_kernelILj512ELj32ELj1024ELj137ELj64ElldEEvT5_PKS1_S3_NS_24const_host_device_scalarIT6_EEPKT4_S3_PKS5_S9_S3_SB_S6_S9_S3_SB_S9_S3_PS5_21rocsparse_index_base_SD_SD_SD_bbb.num_agpr, 0
	.set _ZN9rocsparseL41csrgemm_numeric_fill_block_per_row_kernelILj512ELj32ELj1024ELj137ELj64ElldEEvT5_PKS1_S3_NS_24const_host_device_scalarIT6_EEPKT4_S3_PKS5_S9_S3_SB_S6_S9_S3_SB_S9_S3_PS5_21rocsparse_index_base_SD_SD_SD_bbb.numbered_sgpr, 56
	.set _ZN9rocsparseL41csrgemm_numeric_fill_block_per_row_kernelILj512ELj32ELj1024ELj137ELj64ElldEEvT5_PKS1_S3_NS_24const_host_device_scalarIT6_EEPKT4_S3_PKS5_S9_S3_SB_S6_S9_S3_SB_S9_S3_PS5_21rocsparse_index_base_SD_SD_SD_bbb.num_named_barrier, 0
	.set _ZN9rocsparseL41csrgemm_numeric_fill_block_per_row_kernelILj512ELj32ELj1024ELj137ELj64ElldEEvT5_PKS1_S3_NS_24const_host_device_scalarIT6_EEPKT4_S3_PKS5_S9_S3_SB_S6_S9_S3_SB_S9_S3_PS5_21rocsparse_index_base_SD_SD_SD_bbb.private_seg_size, 0
	.set _ZN9rocsparseL41csrgemm_numeric_fill_block_per_row_kernelILj512ELj32ELj1024ELj137ELj64ElldEEvT5_PKS1_S3_NS_24const_host_device_scalarIT6_EEPKT4_S3_PKS5_S9_S3_SB_S6_S9_S3_SB_S9_S3_PS5_21rocsparse_index_base_SD_SD_SD_bbb.uses_vcc, 1
	.set _ZN9rocsparseL41csrgemm_numeric_fill_block_per_row_kernelILj512ELj32ELj1024ELj137ELj64ElldEEvT5_PKS1_S3_NS_24const_host_device_scalarIT6_EEPKT4_S3_PKS5_S9_S3_SB_S6_S9_S3_SB_S9_S3_PS5_21rocsparse_index_base_SD_SD_SD_bbb.uses_flat_scratch, 0
	.set _ZN9rocsparseL41csrgemm_numeric_fill_block_per_row_kernelILj512ELj32ELj1024ELj137ELj64ElldEEvT5_PKS1_S3_NS_24const_host_device_scalarIT6_EEPKT4_S3_PKS5_S9_S3_SB_S6_S9_S3_SB_S9_S3_PS5_21rocsparse_index_base_SD_SD_SD_bbb.has_dyn_sized_stack, 0
	.set _ZN9rocsparseL41csrgemm_numeric_fill_block_per_row_kernelILj512ELj32ELj1024ELj137ELj64ElldEEvT5_PKS1_S3_NS_24const_host_device_scalarIT6_EEPKT4_S3_PKS5_S9_S3_SB_S6_S9_S3_SB_S9_S3_PS5_21rocsparse_index_base_SD_SD_SD_bbb.has_recursion, 0
	.set _ZN9rocsparseL41csrgemm_numeric_fill_block_per_row_kernelILj512ELj32ELj1024ELj137ELj64ElldEEvT5_PKS1_S3_NS_24const_host_device_scalarIT6_EEPKT4_S3_PKS5_S9_S3_SB_S6_S9_S3_SB_S9_S3_PS5_21rocsparse_index_base_SD_SD_SD_bbb.has_indirect_call, 0
	.section	.AMDGPU.csdata,"",@progbits
; Kernel info:
; codeLenInByte = 2728
; TotalNumSgprs: 62
; NumVgprs: 40
; NumAgprs: 0
; TotalNumVgprs: 40
; ScratchSize: 0
; MemoryBound: 0
; FloatMode: 240
; IeeeMode: 1
; LDSByteSize: 0 bytes/workgroup (compile time only)
; SGPRBlocks: 7
; VGPRBlocks: 4
; NumSGPRsForWavesPerEU: 62
; NumVGPRsForWavesPerEU: 40
; AccumOffset: 40
; Occupancy: 8
; WaveLimiterHint : 1
; COMPUTE_PGM_RSRC2:SCRATCH_EN: 0
; COMPUTE_PGM_RSRC2:USER_SGPR: 2
; COMPUTE_PGM_RSRC2:TRAP_HANDLER: 0
; COMPUTE_PGM_RSRC2:TGID_X_EN: 1
; COMPUTE_PGM_RSRC2:TGID_Y_EN: 0
; COMPUTE_PGM_RSRC2:TGID_Z_EN: 0
; COMPUTE_PGM_RSRC2:TIDIG_COMP_CNT: 0
; COMPUTE_PGM_RSRC3_GFX90A:ACCUM_OFFSET: 9
; COMPUTE_PGM_RSRC3_GFX90A:TG_SPLIT: 0
	.section	.text._ZN9rocsparseL41csrgemm_numeric_fill_block_per_row_kernelILj1024ELj32ELj2048ELj137ELj32ElldEEvT5_PKS1_S3_NS_24const_host_device_scalarIT6_EEPKT4_S3_PKS5_S9_S3_SB_S6_S9_S3_SB_S9_S3_PS5_21rocsparse_index_base_SD_SD_SD_bbb,"axG",@progbits,_ZN9rocsparseL41csrgemm_numeric_fill_block_per_row_kernelILj1024ELj32ELj2048ELj137ELj32ElldEEvT5_PKS1_S3_NS_24const_host_device_scalarIT6_EEPKT4_S3_PKS5_S9_S3_SB_S6_S9_S3_SB_S9_S3_PS5_21rocsparse_index_base_SD_SD_SD_bbb,comdat
	.globl	_ZN9rocsparseL41csrgemm_numeric_fill_block_per_row_kernelILj1024ELj32ELj2048ELj137ELj32ElldEEvT5_PKS1_S3_NS_24const_host_device_scalarIT6_EEPKT4_S3_PKS5_S9_S3_SB_S6_S9_S3_SB_S9_S3_PS5_21rocsparse_index_base_SD_SD_SD_bbb ; -- Begin function _ZN9rocsparseL41csrgemm_numeric_fill_block_per_row_kernelILj1024ELj32ELj2048ELj137ELj32ElldEEvT5_PKS1_S3_NS_24const_host_device_scalarIT6_EEPKT4_S3_PKS5_S9_S3_SB_S6_S9_S3_SB_S9_S3_PS5_21rocsparse_index_base_SD_SD_SD_bbb
	.p2align	8
	.type	_ZN9rocsparseL41csrgemm_numeric_fill_block_per_row_kernelILj1024ELj32ELj2048ELj137ELj32ElldEEvT5_PKS1_S3_NS_24const_host_device_scalarIT6_EEPKT4_S3_PKS5_S9_S3_SB_S6_S9_S3_SB_S9_S3_PS5_21rocsparse_index_base_SD_SD_SD_bbb,@function
_ZN9rocsparseL41csrgemm_numeric_fill_block_per_row_kernelILj1024ELj32ELj2048ELj137ELj32ElldEEvT5_PKS1_S3_NS_24const_host_device_scalarIT6_EEPKT4_S3_PKS5_S9_S3_SB_S6_S9_S3_SB_S9_S3_PS5_21rocsparse_index_base_SD_SD_SD_bbb: ; @_ZN9rocsparseL41csrgemm_numeric_fill_block_per_row_kernelILj1024ELj32ELj2048ELj137ELj32ElldEEvT5_PKS1_S3_NS_24const_host_device_scalarIT6_EEPKT4_S3_PKS5_S9_S3_SB_S6_S9_S3_SB_S9_S3_PS5_21rocsparse_index_base_SD_SD_SD_bbb
; %bb.0:
	s_load_dword s3, s[0:1], 0x98
	s_load_dwordx4 s[64:67], s[0:1], 0x88
	s_load_dwordx2 s[4:5], s[0:1], 0x18
	s_load_dwordx2 s[12:13], s[0:1], 0x50
	s_waitcnt lgkmcnt(0)
	s_bitcmp1_b32 s3, 0
	s_cselect_b64 s[28:29], -1, 0
	s_bitcmp1_b32 s3, 16
	s_cselect_b64 s[14:15], -1, 0
	s_xor_b64 s[6:7], s[28:29], -1
	s_or_b64 s[6:7], s[14:15], s[6:7]
	s_and_b64 s[8:9], s[28:29], exec
	s_cselect_b32 s9, s5, 0
	s_cselect_b32 s8, s4, 0
	s_and_b64 vcc, exec, s[6:7]
	v_mov_b64_e32 v[4:5], s[8:9]
	s_cbranch_vccnz .LBB108_2
; %bb.1:
	v_mov_b64_e32 v[2:3], s[4:5]
	flat_load_dwordx2 v[4:5], v[2:3]
.LBB108_2:
	s_load_dwordx2 s[68:69], s[0:1], 0x80
	s_load_dwordx2 s[70:71], s[0:1], 0x70
	;; [unrolled: 1-line block ×3, first 2 shown]
	s_load_dwordx4 s[20:23], s[0:1], 0x8
	s_load_dwordx8 s[4:11], s[0:1], 0x20
	s_bitcmp1_b32 s3, 8
	s_cselect_b64 s[26:27], -1, 0
	s_xor_b64 s[16:17], s[26:27], -1
	s_or_b64 s[14:15], s[14:15], s[16:17]
	s_and_b64 s[16:17], s[26:27], exec
	s_cselect_b32 s17, s13, 0
	s_cselect_b32 s16, s12, 0
	s_and_b64 vcc, exec, s[14:15]
	v_mov_b64_e32 v[2:3], s[16:17]
	s_cbranch_vccnz .LBB108_4
; %bb.3:
	v_mov_b64_e32 v[2:3], s[12:13]
	flat_load_dwordx2 v[2:3], v[2:3]
.LBB108_4:
	s_load_dwordx4 s[12:15], s[0:1], 0x60
	s_load_dwordx4 s[16:19], s[0:1], 0x40
	s_load_dwordx2 s[72:73], s[0:1], 0x0
	v_or_b32_e32 v1, 0xfffffc00, v0
	v_mov_b32_e32 v6, 0
	v_lshl_add_u32 v26, v0, 3, 0
	s_mov_b64 s[0:1], 0
	s_waitcnt lgkmcnt(0)
	v_mov_b64_e32 v[8:9], s[72:73]
	v_mov_b32_e32 v7, v6
	v_mov_b32_e32 v10, v26
	;; [unrolled: 1-line block ×3, first 2 shown]
.LBB108_5:                              ; =>This Inner Loop Header: Depth=1
	v_add_co_u32_e32 v11, vcc, 0x400, v11
	s_xor_b64 s[30:31], vcc, -1
	s_and_b64 s[30:31], exec, s[30:31]
	ds_write2st64_b64 v10, v[8:9], v[6:7] offset1:32
	s_or_b64 s[0:1], s[30:31], s[0:1]
	v_add_u32_e32 v10, 0x2000, v10
	s_andn2_b64 exec, exec, s[0:1]
	s_cbranch_execnz .LBB108_5
; %bb.6:
	s_or_b64 exec, exec, s[0:1]
	s_waitcnt lgkmcnt(0)
	s_barrier
	s_load_dwordx2 s[0:1], s[20:21], 0x0
	s_mov_b32 s3, 0
	v_lshrrev_b32_e32 v27, 5, v0
	s_waitcnt lgkmcnt(0)
	s_lshl_b64 s[0:1], s[0:1], 3
	s_add_u32 s20, s22, s0
	s_addc_u32 s21, s23, s1
	s_lshl_b64 s[0:1], s[2:3], 3
	s_add_u32 s0, s20, s0
	s_addc_u32 s1, s21, s1
	s_load_dwordx2 s[74:75], s[0:1], 0x0
	s_and_b64 vcc, exec, s[28:29]
	s_cbranch_vccz .LBB108_26
; %bb.7:
	s_waitcnt lgkmcnt(0)
	s_lshl_b64 s[0:1], s[74:75], 3
	s_add_u32 s0, s4, s0
	s_addc_u32 s1, s5, s1
	s_load_dwordx4 s[20:23], s[0:1], 0x0
	v_subrev_co_u32_e32 v6, vcc, s64, v27
	s_nop 1
	v_subb_co_u32_e64 v7, s[0:1], 0, 0, vcc
	s_waitcnt lgkmcnt(0)
	s_sub_u32 s0, s22, s64
	s_subb_u32 s1, s23, 0
	v_lshl_add_u64 v[6:7], s[20:21], 0, v[6:7]
	v_cmp_gt_i64_e32 vcc, s[0:1], v[6:7]
	s_and_saveexec_b64 s[2:3], vcc
	s_cbranch_execz .LBB108_25
; %bb.8:
	v_and_b32_e32 v8, 31, v0
	v_subrev_co_u32_e32 v8, vcc, s65, v8
	s_mov_b32 s33, s65
	s_nop 0
	v_subb_co_u32_e64 v9, s[4:5], 0, 0, vcc
	s_mov_b64 s[4:5], 0
	s_movk_i32 s44, 0x89
	s_branch .LBB108_10
.LBB108_9:                              ;   in Loop: Header=BB108_10 Depth=1
	s_or_b64 exec, exec, s[20:21]
	v_lshl_add_u64 v[6:7], v[6:7], 0, 32
	v_cmp_le_i64_e32 vcc, s[0:1], v[6:7]
	s_or_b64 s[4:5], vcc, s[4:5]
	s_andn2_b64 exec, exec, s[4:5]
	s_cbranch_execz .LBB108_25
.LBB108_10:                             ; =>This Loop Header: Depth=1
                                        ;     Child Loop BB108_14 Depth 2
                                        ;       Child Loop BB108_17 Depth 3
	v_lshl_add_u64 v[10:11], v[6:7], 3, s[6:7]
	global_load_dwordx2 v[10:11], v[10:11], off
	s_waitcnt vmcnt(0)
	v_subrev_co_u32_e32 v10, vcc, s64, v10
	s_nop 1
	v_subbrev_co_u32_e32 v11, vcc, 0, v11, vcc
	v_lshl_add_u64 v[10:11], v[10:11], 3, s[10:11]
	global_load_dwordx4 v[12:15], v[10:11], off
	s_waitcnt vmcnt(0)
	v_subrev_co_u32_e32 v10, vcc, s33, v14
	s_nop 1
	v_subbrev_co_u32_e32 v11, vcc, 0, v15, vcc
	v_lshl_add_u64 v[12:13], v[12:13], 0, v[8:9]
	v_cmp_lt_i64_e32 vcc, v[12:13], v[10:11]
	s_and_saveexec_b64 s[20:21], vcc
	s_cbranch_execz .LBB108_9
; %bb.11:                               ;   in Loop: Header=BB108_10 Depth=1
	v_lshl_add_u64 v[14:15], v[6:7], 3, s[8:9]
	global_load_dwordx2 v[14:15], v[14:15], off
	s_mov_b64 s[22:23], 0
	s_waitcnt vmcnt(0)
	v_mul_f64 v[14:15], v[4:5], v[14:15]
	s_branch .LBB108_14
.LBB108_12:                             ;   in Loop: Header=BB108_14 Depth=2
	s_or_b64 exec, exec, s[30:31]
.LBB108_13:                             ;   in Loop: Header=BB108_14 Depth=2
	s_or_b64 exec, exec, s[28:29]
	s_waitcnt vmcnt(0)
	v_mul_f64 v[16:17], v[14:15], v[16:17]
	v_lshl_add_u32 v18, v20, 3, 0
	ds_add_f64 v18, v[16:17] offset:16384
	v_lshl_add_u64 v[12:13], v[12:13], 0, 32
	v_cmp_ge_i64_e32 vcc, v[12:13], v[10:11]
	s_or_b64 s[22:23], vcc, s[22:23]
	s_andn2_b64 exec, exec, s[22:23]
	s_cbranch_execz .LBB108_9
.LBB108_14:                             ;   Parent Loop BB108_10 Depth=1
                                        ; =>  This Loop Header: Depth=2
                                        ;       Child Loop BB108_17 Depth 3
	v_lshlrev_b64 v[16:17], 3, v[12:13]
	v_lshl_add_u64 v[18:19], s[16:17], 0, v[16:17]
	global_load_dwordx2 v[18:19], v[18:19], off
	v_lshl_add_u64 v[16:17], s[18:19], 0, v[16:17]
	global_load_dwordx2 v[16:17], v[16:17], off
	s_waitcnt vmcnt(1)
	v_subrev_co_u32_e32 v18, vcc, s33, v18
	v_mul_lo_u32 v20, v18, s44
	v_and_b32_e32 v20, 0x7ff, v20
	v_lshl_add_u32 v28, v20, 3, 0
	ds_read_b64 v[24:25], v28
	v_subbrev_co_u32_e32 v19, vcc, 0, v19, vcc
	s_waitcnt lgkmcnt(0)
	v_cmp_ne_u64_e32 vcc, v[24:25], v[18:19]
	s_and_saveexec_b64 s[28:29], vcc
	s_cbranch_execz .LBB108_13
; %bb.15:                               ;   in Loop: Header=BB108_14 Depth=2
	s_mov_b64 s[30:31], 0
                                        ; implicit-def: $sgpr34_sgpr35
                                        ; implicit-def: $sgpr36_sgpr37
	s_branch .LBB108_17
.LBB108_16:                             ;   in Loop: Header=BB108_17 Depth=3
	s_or_b64 exec, exec, s[42:43]
	s_and_b64 s[38:39], exec, s[40:41]
	s_or_b64 s[30:31], s[38:39], s[30:31]
	s_andn2_b64 s[34:35], s[34:35], exec
	s_and_b64 s[38:39], s[36:37], exec
	s_or_b64 s[34:35], s[34:35], s[38:39]
	s_andn2_b64 exec, exec, s[30:31]
	s_cbranch_execz .LBB108_23
.LBB108_17:                             ;   Parent Loop BB108_10 Depth=1
                                        ;     Parent Loop BB108_14 Depth=2
                                        ; =>    This Inner Loop Header: Depth=3
	v_mov_b64_e32 v[22:23], v[20:21]
	v_cmp_ne_u64_e32 vcc, s[72:73], v[24:25]
	s_mov_b64 s[38:39], 0
                                        ; implicit-def: $vgpr20_vgpr21
	s_and_saveexec_b64 s[40:41], vcc
	s_xor_b64 s[40:41], exec, s[40:41]
; %bb.18:                               ;   in Loop: Header=BB108_17 Depth=3
	v_add_u32_e32 v20, 1, v22
	s_mov_b64 s[38:39], exec
	v_and_b32_e32 v20, 0x7ff, v20
                                        ; implicit-def: $vgpr28
; %bb.19:                               ;   in Loop: Header=BB108_17 Depth=3
	s_andn2_saveexec_b64 s[40:41], s[40:41]
	s_cbranch_execz .LBB108_21
; %bb.20:                               ;   in Loop: Header=BB108_17 Depth=3
	v_mov_b64_e32 v[20:21], s[72:73]
	ds_cmpst_rtn_b64 v[20:21], v28, v[20:21], v[18:19]
	s_andn2_b64 s[38:39], s[38:39], exec
	s_waitcnt lgkmcnt(0)
	v_cmp_ne_u64_e32 vcc, s[72:73], v[20:21]
	s_and_b64 s[42:43], vcc, exec
	s_or_b64 s[38:39], s[38:39], s[42:43]
	v_mov_b64_e32 v[20:21], v[22:23]
.LBB108_21:                             ;   in Loop: Header=BB108_17 Depth=3
	s_or_b64 exec, exec, s[40:41]
	s_mov_b64 s[40:41], -1
	s_or_b64 s[36:37], s[36:37], exec
                                        ; implicit-def: $vgpr28
                                        ; implicit-def: $vgpr24_vgpr25
	s_and_saveexec_b64 s[42:43], s[38:39]
	s_cbranch_execz .LBB108_16
; %bb.22:                               ;   in Loop: Header=BB108_17 Depth=3
	v_lshl_add_u32 v28, v20, 3, 0
	ds_read_b64 v[24:25], v28
	s_andn2_b64 s[36:37], s[36:37], exec
	s_waitcnt lgkmcnt(0)
	v_cmp_eq_u64_e32 vcc, v[24:25], v[18:19]
	s_orn2_b64 s[40:41], vcc, exec
	s_branch .LBB108_16
.LBB108_23:                             ;   in Loop: Header=BB108_14 Depth=2
	s_or_b64 exec, exec, s[30:31]
	s_and_saveexec_b64 s[30:31], s[34:35]
	s_xor_b64 s[30:31], exec, s[30:31]
	s_cbranch_execz .LBB108_12
; %bb.24:                               ;   in Loop: Header=BB108_14 Depth=2
	v_mov_b32_e32 v20, v22
	s_branch .LBB108_12
.LBB108_25:
	s_or_b64 exec, exec, s[2:3]
.LBB108_26:
	s_andn2_b64 vcc, exec, s[26:27]
	s_cbranch_vccnz .LBB108_43
; %bb.27:
	s_waitcnt lgkmcnt(0)
	s_lshl_b64 s[0:1], s[74:75], 3
	s_add_u32 s0, s24, s0
	s_addc_u32 s1, s25, s1
	s_load_dwordx4 s[4:7], s[0:1], 0x0
	s_waitcnt vmcnt(0)
	v_subrev_co_u32_e32 v4, vcc, s67, v0
	s_waitcnt lgkmcnt(0)
	s_sub_u32 s0, s6, s67
	v_subb_co_u32_e64 v5, s[2:3], 0, 0, vcc
	s_subb_u32 s1, s7, 0
	v_lshl_add_u64 v[4:5], s[4:5], 0, v[4:5]
	v_cmp_gt_i64_e32 vcc, s[0:1], v[4:5]
	s_and_saveexec_b64 s[2:3], vcc
	s_cbranch_execz .LBB108_42
; %bb.28:
	s_mov_b32 s26, s67
	s_mov_b64 s[4:5], 0
	s_movk_i32 s27, 0x89
	s_mov_b64 s[6:7], 0x400
	s_branch .LBB108_31
.LBB108_29:                             ;   in Loop: Header=BB108_31 Depth=1
	s_or_b64 exec, exec, s[10:11]
.LBB108_30:                             ;   in Loop: Header=BB108_31 Depth=1
	s_or_b64 exec, exec, s[8:9]
	s_waitcnt vmcnt(0)
	v_mul_f64 v[6:7], v[2:3], v[6:7]
	v_lshl_add_u32 v8, v10, 3, 0
	ds_add_f64 v8, v[6:7] offset:16384
	v_lshl_add_u64 v[4:5], v[4:5], 0, s[6:7]
	v_cmp_le_i64_e32 vcc, s[0:1], v[4:5]
	s_or_b64 s[4:5], vcc, s[4:5]
	s_andn2_b64 exec, exec, s[4:5]
	s_cbranch_execz .LBB108_42
.LBB108_31:                             ; =>This Loop Header: Depth=1
                                        ;     Child Loop BB108_34 Depth 2
	v_lshlrev_b64 v[6:7], 3, v[4:5]
	v_lshl_add_u64 v[8:9], s[12:13], 0, v[6:7]
	global_load_dwordx2 v[8:9], v[8:9], off
	v_lshl_add_u64 v[6:7], s[14:15], 0, v[6:7]
	global_load_dwordx2 v[6:7], v[6:7], off
	s_waitcnt vmcnt(1)
	v_subrev_co_u32_e32 v8, vcc, s26, v8
	v_mul_lo_u32 v10, v8, s27
	v_and_b32_e32 v10, 0x7ff, v10
	v_lshl_add_u32 v16, v10, 3, 0
	ds_read_b64 v[14:15], v16
	v_subbrev_co_u32_e32 v9, vcc, 0, v9, vcc
	s_waitcnt lgkmcnt(0)
	v_cmp_ne_u64_e32 vcc, v[14:15], v[8:9]
	s_and_saveexec_b64 s[8:9], vcc
	s_cbranch_execz .LBB108_30
; %bb.32:                               ;   in Loop: Header=BB108_31 Depth=1
	s_mov_b64 s[10:11], 0
                                        ; implicit-def: $sgpr16_sgpr17
                                        ; implicit-def: $sgpr18_sgpr19
	s_branch .LBB108_34
.LBB108_33:                             ;   in Loop: Header=BB108_34 Depth=2
	s_or_b64 exec, exec, s[24:25]
	s_and_b64 s[20:21], exec, s[22:23]
	s_or_b64 s[10:11], s[20:21], s[10:11]
	s_andn2_b64 s[16:17], s[16:17], exec
	s_and_b64 s[20:21], s[18:19], exec
	s_or_b64 s[16:17], s[16:17], s[20:21]
	s_andn2_b64 exec, exec, s[10:11]
	s_cbranch_execz .LBB108_40
.LBB108_34:                             ;   Parent Loop BB108_31 Depth=1
                                        ; =>  This Inner Loop Header: Depth=2
	v_mov_b64_e32 v[12:13], v[10:11]
	v_cmp_ne_u64_e32 vcc, s[72:73], v[14:15]
	s_mov_b64 s[20:21], 0
                                        ; implicit-def: $vgpr10_vgpr11
	s_and_saveexec_b64 s[22:23], vcc
	s_xor_b64 s[22:23], exec, s[22:23]
; %bb.35:                               ;   in Loop: Header=BB108_34 Depth=2
	v_add_u32_e32 v10, 1, v12
	s_mov_b64 s[20:21], exec
	v_and_b32_e32 v10, 0x7ff, v10
                                        ; implicit-def: $vgpr16
; %bb.36:                               ;   in Loop: Header=BB108_34 Depth=2
	s_andn2_saveexec_b64 s[22:23], s[22:23]
	s_cbranch_execz .LBB108_38
; %bb.37:                               ;   in Loop: Header=BB108_34 Depth=2
	v_mov_b64_e32 v[10:11], s[72:73]
	ds_cmpst_rtn_b64 v[10:11], v16, v[10:11], v[8:9]
	s_andn2_b64 s[20:21], s[20:21], exec
	s_waitcnt lgkmcnt(0)
	v_cmp_ne_u64_e32 vcc, s[72:73], v[10:11]
	s_and_b64 s[24:25], vcc, exec
	s_or_b64 s[20:21], s[20:21], s[24:25]
	v_mov_b64_e32 v[10:11], v[12:13]
.LBB108_38:                             ;   in Loop: Header=BB108_34 Depth=2
	s_or_b64 exec, exec, s[22:23]
	s_mov_b64 s[22:23], -1
	s_or_b64 s[18:19], s[18:19], exec
                                        ; implicit-def: $vgpr16
                                        ; implicit-def: $vgpr14_vgpr15
	s_and_saveexec_b64 s[24:25], s[20:21]
	s_cbranch_execz .LBB108_33
; %bb.39:                               ;   in Loop: Header=BB108_34 Depth=2
	v_lshl_add_u32 v16, v10, 3, 0
	ds_read_b64 v[14:15], v16
	s_andn2_b64 s[18:19], s[18:19], exec
	s_waitcnt lgkmcnt(0)
	v_cmp_eq_u64_e32 vcc, v[14:15], v[8:9]
	s_orn2_b64 s[22:23], vcc, exec
	s_branch .LBB108_33
.LBB108_40:                             ;   in Loop: Header=BB108_31 Depth=1
	s_or_b64 exec, exec, s[10:11]
	s_and_saveexec_b64 s[10:11], s[16:17]
	s_xor_b64 s[10:11], exec, s[10:11]
	s_cbranch_execz .LBB108_29
; %bb.41:                               ;   in Loop: Header=BB108_31 Depth=1
	v_mov_b32_e32 v10, v12
	s_branch .LBB108_29
.LBB108_42:
	s_or_b64 exec, exec, s[2:3]
.LBB108_43:
	s_movk_i32 s33, 0x1ff
	v_cmp_lt_u32_e64 s[34:35], s33, v0
	s_movk_i32 s33, 0x21f
	v_cmp_lt_u32_e64 s[36:37], s33, v0
	s_movk_i32 s33, 0x23f
	v_cmp_lt_u32_e64 s[38:39], s33, v0
	s_movk_i32 s33, 0x25f
	v_cmp_lt_u32_e64 s[40:41], s33, v0
	s_movk_i32 s33, 0x27f
	v_cmp_lt_u32_e64 s[42:43], s33, v0
	s_movk_i32 s33, 0x29f
	v_cmp_lt_u32_e64 s[44:45], s33, v0
	s_movk_i32 s33, 0x2bf
	v_cmp_lt_u32_e64 s[46:47], s33, v0
	s_movk_i32 s33, 0x2df
	v_cmp_lt_u32_e64 s[48:49], s33, v0
	s_movk_i32 s33, 0x2ff
	v_cmp_lt_u32_e64 s[50:51], s33, v0
	s_movk_i32 s33, 0x31f
	v_cmp_lt_u32_e64 s[52:53], s33, v0
	s_movk_i32 s33, 0x33f
	v_cmp_lt_u32_e64 s[54:55], s33, v0
	s_movk_i32 s33, 0x35f
	v_cmp_lt_u32_e64 s[56:57], s33, v0
	s_movk_i32 s33, 0x37f
	s_waitcnt vmcnt(0)
	v_mbcnt_lo_u32_b32 v2, -1, 0
	v_cmp_lt_u32_e64 s[58:59], s33, v0
	s_movk_i32 s33, 0x39f
	v_mbcnt_hi_u32_b32 v2, -1, v2
	v_cmp_lt_u32_e64 s[60:61], s33, v0
	s_movk_i32 s33, 0x3bf
	v_sub_u32_e32 v2, 63, v2
	s_movk_i32 s0, 0x3ff
	s_movk_i32 s6, 0x5f
	;; [unrolled: 1-line block ×14, first 2 shown]
	v_cmp_lt_u32_e64 s[62:63], s33, v0
	s_movk_i32 s33, 0x3df
	v_mov_b32_e32 v7, 0
	v_lshrrev_b64 v[8:9], v2, -1
	v_lshl_add_u32 v14, v27, 3, 0
	v_cmp_eq_u32_e64 s[0:1], s0, v0
	v_cmp_lt_u32_e64 s[2:3], 31, v0
	v_cmp_lt_u32_e64 s[4:5], 63, v0
	v_cmp_lt_u32_e64 s[6:7], s6, v0
	v_cmp_lt_u32_e64 s[8:9], s8, v0
	v_cmp_lt_u32_e64 s[10:11], s10, v0
	v_cmp_lt_u32_e64 s[12:13], s12, v0
	v_cmp_lt_u32_e64 s[14:15], s14, v0
	v_cmp_lt_u32_e64 s[16:17], s16, v0
	v_cmp_lt_u32_e64 s[18:19], s18, v0
	v_cmp_lt_u32_e64 s[20:21], s20, v0
	v_cmp_lt_u32_e64 s[22:23], s22, v0
	v_cmp_lt_u32_e64 s[24:25], s24, v0
	v_cmp_lt_u32_e64 s[26:27], s26, v0
	v_cmp_lt_u32_e64 s[28:29], s28, v0
	v_cmp_lt_u32_e64 s[30:31], s30, v0
	v_cmp_lt_u32_e64 s[64:65], s33, v0
	s_mov_b64 s[76:77], 0
	v_mov_b64_e32 v[10:11], 0
	s_waitcnt lgkmcnt(0)
	s_barrier
	s_branch .LBB108_45
.LBB108_44:                             ;   in Loop: Header=BB108_45 Depth=1
	s_or_b64 exec, exec, s[78:79]
	s_waitcnt lgkmcnt(0)
	s_barrier
	ds_read_b64 v[2:3], v7 offset:33016
	v_add_co_u32_e32 v1, vcc, 0x400, v1
	s_xor_b64 s[78:79], vcc, -1
	s_and_b64 s[78:79], exec, s[78:79]
	s_waitcnt lgkmcnt(0)
	v_lshl_add_u64 v[10:11], v[2:3], 0, v[10:11]
	s_or_b64 s[76:77], s[78:79], s[76:77]
	v_add_u32_e32 v26, 0x2000, v26
	s_andn2_b64 exec, exec, s[76:77]
	s_cbranch_execz .LBB108_111
.LBB108_45:                             ; =>This Inner Loop Header: Depth=1
	ds_read2st64_b64 v[2:5], v26 offset1:32
	s_waitcnt lgkmcnt(0)
	s_barrier
	v_cmp_gt_i64_e32 vcc, s[72:73], v[2:3]
	s_bcnt1_i32_b64 s33, vcc
	s_nop 0
	v_and_b32_e32 v13, vcc_lo, v8
	v_and_b32_e32 v12, vcc_hi, v9
	v_bcnt_u32_b32 v13, v13, 0
	v_mov_b32_e32 v6, s33
	v_bcnt_u32_b32 v12, v12, v13
	ds_write_b64 v14, v[6:7] offset:32768
	s_waitcnt lgkmcnt(0)
	s_barrier
	s_and_saveexec_b64 s[78:79], s[2:3]
	s_cbranch_execnz .LBB108_78
; %bb.46:                               ;   in Loop: Header=BB108_45 Depth=1
	s_or_b64 exec, exec, s[78:79]
	s_and_saveexec_b64 s[78:79], s[4:5]
	s_cbranch_execnz .LBB108_79
.LBB108_47:                             ;   in Loop: Header=BB108_45 Depth=1
	s_or_b64 exec, exec, s[78:79]
	s_and_saveexec_b64 s[78:79], s[6:7]
	s_cbranch_execnz .LBB108_80
.LBB108_48:                             ;   in Loop: Header=BB108_45 Depth=1
	s_or_b64 exec, exec, s[78:79]
	s_and_saveexec_b64 s[78:79], s[8:9]
	s_cbranch_execnz .LBB108_81
.LBB108_49:                             ;   in Loop: Header=BB108_45 Depth=1
	s_or_b64 exec, exec, s[78:79]
	s_and_saveexec_b64 s[78:79], s[10:11]
	s_cbranch_execnz .LBB108_82
.LBB108_50:                             ;   in Loop: Header=BB108_45 Depth=1
	s_or_b64 exec, exec, s[78:79]
	s_and_saveexec_b64 s[78:79], s[12:13]
	s_cbranch_execnz .LBB108_83
.LBB108_51:                             ;   in Loop: Header=BB108_45 Depth=1
	s_or_b64 exec, exec, s[78:79]
	s_and_saveexec_b64 s[78:79], s[14:15]
	s_cbranch_execnz .LBB108_84
.LBB108_52:                             ;   in Loop: Header=BB108_45 Depth=1
	s_or_b64 exec, exec, s[78:79]
	s_and_saveexec_b64 s[78:79], s[16:17]
	s_cbranch_execnz .LBB108_85
.LBB108_53:                             ;   in Loop: Header=BB108_45 Depth=1
	s_or_b64 exec, exec, s[78:79]
	s_and_saveexec_b64 s[78:79], s[18:19]
	s_cbranch_execnz .LBB108_86
.LBB108_54:                             ;   in Loop: Header=BB108_45 Depth=1
	s_or_b64 exec, exec, s[78:79]
	s_and_saveexec_b64 s[78:79], s[20:21]
	s_cbranch_execnz .LBB108_87
.LBB108_55:                             ;   in Loop: Header=BB108_45 Depth=1
	s_or_b64 exec, exec, s[78:79]
	s_and_saveexec_b64 s[78:79], s[22:23]
	s_cbranch_execnz .LBB108_88
.LBB108_56:                             ;   in Loop: Header=BB108_45 Depth=1
	s_or_b64 exec, exec, s[78:79]
	s_and_saveexec_b64 s[78:79], s[24:25]
	s_cbranch_execnz .LBB108_89
.LBB108_57:                             ;   in Loop: Header=BB108_45 Depth=1
	s_or_b64 exec, exec, s[78:79]
	s_and_saveexec_b64 s[78:79], s[26:27]
	s_cbranch_execnz .LBB108_90
.LBB108_58:                             ;   in Loop: Header=BB108_45 Depth=1
	s_or_b64 exec, exec, s[78:79]
	s_and_saveexec_b64 s[78:79], s[28:29]
	s_cbranch_execnz .LBB108_91
.LBB108_59:                             ;   in Loop: Header=BB108_45 Depth=1
	s_or_b64 exec, exec, s[78:79]
	s_and_saveexec_b64 s[78:79], s[30:31]
	s_cbranch_execnz .LBB108_92
.LBB108_60:                             ;   in Loop: Header=BB108_45 Depth=1
	s_or_b64 exec, exec, s[78:79]
	s_and_saveexec_b64 s[78:79], s[34:35]
	s_cbranch_execnz .LBB108_93
.LBB108_61:                             ;   in Loop: Header=BB108_45 Depth=1
	s_or_b64 exec, exec, s[78:79]
	s_and_saveexec_b64 s[78:79], s[36:37]
	s_cbranch_execnz .LBB108_94
.LBB108_62:                             ;   in Loop: Header=BB108_45 Depth=1
	s_or_b64 exec, exec, s[78:79]
	s_and_saveexec_b64 s[78:79], s[38:39]
	s_cbranch_execnz .LBB108_95
.LBB108_63:                             ;   in Loop: Header=BB108_45 Depth=1
	s_or_b64 exec, exec, s[78:79]
	s_and_saveexec_b64 s[78:79], s[40:41]
	s_cbranch_execnz .LBB108_96
.LBB108_64:                             ;   in Loop: Header=BB108_45 Depth=1
	s_or_b64 exec, exec, s[78:79]
	s_and_saveexec_b64 s[78:79], s[42:43]
	s_cbranch_execnz .LBB108_97
.LBB108_65:                             ;   in Loop: Header=BB108_45 Depth=1
	s_or_b64 exec, exec, s[78:79]
	s_and_saveexec_b64 s[78:79], s[44:45]
	s_cbranch_execnz .LBB108_98
.LBB108_66:                             ;   in Loop: Header=BB108_45 Depth=1
	s_or_b64 exec, exec, s[78:79]
	s_and_saveexec_b64 s[78:79], s[46:47]
	s_cbranch_execnz .LBB108_99
.LBB108_67:                             ;   in Loop: Header=BB108_45 Depth=1
	s_or_b64 exec, exec, s[78:79]
	s_and_saveexec_b64 s[78:79], s[48:49]
	s_cbranch_execnz .LBB108_100
.LBB108_68:                             ;   in Loop: Header=BB108_45 Depth=1
	s_or_b64 exec, exec, s[78:79]
	s_and_saveexec_b64 s[78:79], s[50:51]
	s_cbranch_execnz .LBB108_101
.LBB108_69:                             ;   in Loop: Header=BB108_45 Depth=1
	s_or_b64 exec, exec, s[78:79]
	s_and_saveexec_b64 s[78:79], s[52:53]
	s_cbranch_execnz .LBB108_102
.LBB108_70:                             ;   in Loop: Header=BB108_45 Depth=1
	s_or_b64 exec, exec, s[78:79]
	s_and_saveexec_b64 s[78:79], s[54:55]
	s_cbranch_execnz .LBB108_103
.LBB108_71:                             ;   in Loop: Header=BB108_45 Depth=1
	s_or_b64 exec, exec, s[78:79]
	s_and_saveexec_b64 s[78:79], s[56:57]
	s_cbranch_execnz .LBB108_104
.LBB108_72:                             ;   in Loop: Header=BB108_45 Depth=1
	s_or_b64 exec, exec, s[78:79]
	s_and_saveexec_b64 s[78:79], s[58:59]
	s_cbranch_execnz .LBB108_105
.LBB108_73:                             ;   in Loop: Header=BB108_45 Depth=1
	s_or_b64 exec, exec, s[78:79]
	s_and_saveexec_b64 s[78:79], s[60:61]
	s_cbranch_execnz .LBB108_106
.LBB108_74:                             ;   in Loop: Header=BB108_45 Depth=1
	s_or_b64 exec, exec, s[78:79]
	s_and_saveexec_b64 s[78:79], s[62:63]
	s_cbranch_execnz .LBB108_107
.LBB108_75:                             ;   in Loop: Header=BB108_45 Depth=1
	s_or_b64 exec, exec, s[78:79]
	s_and_saveexec_b64 s[78:79], s[64:65]
	s_cbranch_execnz .LBB108_108
.LBB108_76:                             ;   in Loop: Header=BB108_45 Depth=1
	s_or_b64 exec, exec, s[78:79]
	v_ashrrev_i32_e32 v13, 31, v12
	s_and_saveexec_b64 s[78:79], vcc
	s_cbranch_execnz .LBB108_109
.LBB108_77:                             ;   in Loop: Header=BB108_45 Depth=1
	s_or_b64 exec, exec, s[78:79]
	s_and_saveexec_b64 s[78:79], s[0:1]
	s_cbranch_execz .LBB108_44
	s_branch .LBB108_110
.LBB108_78:                             ;   in Loop: Header=BB108_45 Depth=1
	ds_read_b32 v6, v7 offset:32768
	s_waitcnt lgkmcnt(0)
	v_add_u32_e32 v12, v6, v12
	s_or_b64 exec, exec, s[78:79]
	s_and_saveexec_b64 s[78:79], s[4:5]
	s_cbranch_execz .LBB108_47
.LBB108_79:                             ;   in Loop: Header=BB108_45 Depth=1
	ds_read_b32 v6, v7 offset:32776
	s_waitcnt lgkmcnt(0)
	v_add_u32_e32 v12, v12, v6
	s_or_b64 exec, exec, s[78:79]
	s_and_saveexec_b64 s[78:79], s[6:7]
	s_cbranch_execz .LBB108_48
.LBB108_80:                             ;   in Loop: Header=BB108_45 Depth=1
	ds_read_b32 v6, v7 offset:32784
	s_waitcnt lgkmcnt(0)
	v_add_u32_e32 v12, v12, v6
	s_or_b64 exec, exec, s[78:79]
	s_and_saveexec_b64 s[78:79], s[8:9]
	s_cbranch_execz .LBB108_49
.LBB108_81:                             ;   in Loop: Header=BB108_45 Depth=1
	ds_read_b32 v6, v7 offset:32792
	s_waitcnt lgkmcnt(0)
	v_add_u32_e32 v12, v12, v6
	s_or_b64 exec, exec, s[78:79]
	s_and_saveexec_b64 s[78:79], s[10:11]
	s_cbranch_execz .LBB108_50
.LBB108_82:                             ;   in Loop: Header=BB108_45 Depth=1
	ds_read_b32 v6, v7 offset:32800
	s_waitcnt lgkmcnt(0)
	v_add_u32_e32 v12, v12, v6
	s_or_b64 exec, exec, s[78:79]
	s_and_saveexec_b64 s[78:79], s[12:13]
	s_cbranch_execz .LBB108_51
.LBB108_83:                             ;   in Loop: Header=BB108_45 Depth=1
	ds_read_b32 v6, v7 offset:32808
	s_waitcnt lgkmcnt(0)
	v_add_u32_e32 v12, v12, v6
	s_or_b64 exec, exec, s[78:79]
	s_and_saveexec_b64 s[78:79], s[14:15]
	s_cbranch_execz .LBB108_52
.LBB108_84:                             ;   in Loop: Header=BB108_45 Depth=1
	ds_read_b32 v6, v7 offset:32816
	s_waitcnt lgkmcnt(0)
	v_add_u32_e32 v12, v12, v6
	s_or_b64 exec, exec, s[78:79]
	s_and_saveexec_b64 s[78:79], s[16:17]
	s_cbranch_execz .LBB108_53
.LBB108_85:                             ;   in Loop: Header=BB108_45 Depth=1
	ds_read_b32 v6, v7 offset:32824
	s_waitcnt lgkmcnt(0)
	v_add_u32_e32 v12, v12, v6
	s_or_b64 exec, exec, s[78:79]
	s_and_saveexec_b64 s[78:79], s[18:19]
	s_cbranch_execz .LBB108_54
.LBB108_86:                             ;   in Loop: Header=BB108_45 Depth=1
	ds_read_b32 v6, v7 offset:32832
	s_waitcnt lgkmcnt(0)
	v_add_u32_e32 v12, v12, v6
	s_or_b64 exec, exec, s[78:79]
	s_and_saveexec_b64 s[78:79], s[20:21]
	s_cbranch_execz .LBB108_55
.LBB108_87:                             ;   in Loop: Header=BB108_45 Depth=1
	ds_read_b32 v6, v7 offset:32840
	s_waitcnt lgkmcnt(0)
	v_add_u32_e32 v12, v12, v6
	s_or_b64 exec, exec, s[78:79]
	s_and_saveexec_b64 s[78:79], s[22:23]
	s_cbranch_execz .LBB108_56
.LBB108_88:                             ;   in Loop: Header=BB108_45 Depth=1
	ds_read_b32 v6, v7 offset:32848
	s_waitcnt lgkmcnt(0)
	v_add_u32_e32 v12, v12, v6
	s_or_b64 exec, exec, s[78:79]
	s_and_saveexec_b64 s[78:79], s[24:25]
	s_cbranch_execz .LBB108_57
.LBB108_89:                             ;   in Loop: Header=BB108_45 Depth=1
	ds_read_b32 v6, v7 offset:32856
	s_waitcnt lgkmcnt(0)
	v_add_u32_e32 v12, v12, v6
	s_or_b64 exec, exec, s[78:79]
	s_and_saveexec_b64 s[78:79], s[26:27]
	s_cbranch_execz .LBB108_58
.LBB108_90:                             ;   in Loop: Header=BB108_45 Depth=1
	ds_read_b32 v6, v7 offset:32864
	s_waitcnt lgkmcnt(0)
	v_add_u32_e32 v12, v12, v6
	s_or_b64 exec, exec, s[78:79]
	s_and_saveexec_b64 s[78:79], s[28:29]
	s_cbranch_execz .LBB108_59
.LBB108_91:                             ;   in Loop: Header=BB108_45 Depth=1
	ds_read_b32 v6, v7 offset:32872
	s_waitcnt lgkmcnt(0)
	v_add_u32_e32 v12, v12, v6
	s_or_b64 exec, exec, s[78:79]
	s_and_saveexec_b64 s[78:79], s[30:31]
	s_cbranch_execz .LBB108_60
.LBB108_92:                             ;   in Loop: Header=BB108_45 Depth=1
	ds_read_b32 v6, v7 offset:32880
	s_waitcnt lgkmcnt(0)
	v_add_u32_e32 v12, v12, v6
	s_or_b64 exec, exec, s[78:79]
	s_and_saveexec_b64 s[78:79], s[34:35]
	s_cbranch_execz .LBB108_61
.LBB108_93:                             ;   in Loop: Header=BB108_45 Depth=1
	ds_read_b32 v6, v7 offset:32888
	s_waitcnt lgkmcnt(0)
	v_add_u32_e32 v12, v12, v6
	s_or_b64 exec, exec, s[78:79]
	s_and_saveexec_b64 s[78:79], s[36:37]
	s_cbranch_execz .LBB108_62
.LBB108_94:                             ;   in Loop: Header=BB108_45 Depth=1
	ds_read_b32 v6, v7 offset:32896
	s_waitcnt lgkmcnt(0)
	v_add_u32_e32 v12, v12, v6
	s_or_b64 exec, exec, s[78:79]
	s_and_saveexec_b64 s[78:79], s[38:39]
	s_cbranch_execz .LBB108_63
.LBB108_95:                             ;   in Loop: Header=BB108_45 Depth=1
	ds_read_b32 v6, v7 offset:32904
	s_waitcnt lgkmcnt(0)
	v_add_u32_e32 v12, v12, v6
	s_or_b64 exec, exec, s[78:79]
	s_and_saveexec_b64 s[78:79], s[40:41]
	s_cbranch_execz .LBB108_64
.LBB108_96:                             ;   in Loop: Header=BB108_45 Depth=1
	ds_read_b32 v6, v7 offset:32912
	s_waitcnt lgkmcnt(0)
	v_add_u32_e32 v12, v12, v6
	s_or_b64 exec, exec, s[78:79]
	s_and_saveexec_b64 s[78:79], s[42:43]
	s_cbranch_execz .LBB108_65
.LBB108_97:                             ;   in Loop: Header=BB108_45 Depth=1
	ds_read_b32 v6, v7 offset:32920
	s_waitcnt lgkmcnt(0)
	v_add_u32_e32 v12, v12, v6
	s_or_b64 exec, exec, s[78:79]
	s_and_saveexec_b64 s[78:79], s[44:45]
	s_cbranch_execz .LBB108_66
.LBB108_98:                             ;   in Loop: Header=BB108_45 Depth=1
	ds_read_b32 v6, v7 offset:32928
	s_waitcnt lgkmcnt(0)
	v_add_u32_e32 v12, v12, v6
	s_or_b64 exec, exec, s[78:79]
	s_and_saveexec_b64 s[78:79], s[46:47]
	s_cbranch_execz .LBB108_67
.LBB108_99:                             ;   in Loop: Header=BB108_45 Depth=1
	ds_read_b32 v6, v7 offset:32936
	s_waitcnt lgkmcnt(0)
	v_add_u32_e32 v12, v12, v6
	s_or_b64 exec, exec, s[78:79]
	s_and_saveexec_b64 s[78:79], s[48:49]
	s_cbranch_execz .LBB108_68
.LBB108_100:                            ;   in Loop: Header=BB108_45 Depth=1
	ds_read_b32 v6, v7 offset:32944
	s_waitcnt lgkmcnt(0)
	v_add_u32_e32 v12, v12, v6
	s_or_b64 exec, exec, s[78:79]
	s_and_saveexec_b64 s[78:79], s[50:51]
	s_cbranch_execz .LBB108_69
.LBB108_101:                            ;   in Loop: Header=BB108_45 Depth=1
	ds_read_b32 v6, v7 offset:32952
	s_waitcnt lgkmcnt(0)
	v_add_u32_e32 v12, v12, v6
	s_or_b64 exec, exec, s[78:79]
	s_and_saveexec_b64 s[78:79], s[52:53]
	s_cbranch_execz .LBB108_70
.LBB108_102:                            ;   in Loop: Header=BB108_45 Depth=1
	ds_read_b32 v6, v7 offset:32960
	s_waitcnt lgkmcnt(0)
	v_add_u32_e32 v12, v12, v6
	s_or_b64 exec, exec, s[78:79]
	s_and_saveexec_b64 s[78:79], s[54:55]
	s_cbranch_execz .LBB108_71
.LBB108_103:                            ;   in Loop: Header=BB108_45 Depth=1
	ds_read_b32 v6, v7 offset:32968
	s_waitcnt lgkmcnt(0)
	v_add_u32_e32 v12, v12, v6
	s_or_b64 exec, exec, s[78:79]
	s_and_saveexec_b64 s[78:79], s[56:57]
	s_cbranch_execz .LBB108_72
.LBB108_104:                            ;   in Loop: Header=BB108_45 Depth=1
	ds_read_b32 v6, v7 offset:32976
	s_waitcnt lgkmcnt(0)
	v_add_u32_e32 v12, v12, v6
	s_or_b64 exec, exec, s[78:79]
	s_and_saveexec_b64 s[78:79], s[58:59]
	s_cbranch_execz .LBB108_73
.LBB108_105:                            ;   in Loop: Header=BB108_45 Depth=1
	ds_read_b32 v6, v7 offset:32984
	s_waitcnt lgkmcnt(0)
	v_add_u32_e32 v12, v12, v6
	s_or_b64 exec, exec, s[78:79]
	s_and_saveexec_b64 s[78:79], s[60:61]
	s_cbranch_execz .LBB108_74
.LBB108_106:                            ;   in Loop: Header=BB108_45 Depth=1
	ds_read_b32 v6, v7 offset:32992
	s_waitcnt lgkmcnt(0)
	v_add_u32_e32 v12, v12, v6
	s_or_b64 exec, exec, s[78:79]
	s_and_saveexec_b64 s[78:79], s[62:63]
	s_cbranch_execz .LBB108_75
.LBB108_107:                            ;   in Loop: Header=BB108_45 Depth=1
	ds_read_b32 v6, v7 offset:33000
	s_waitcnt lgkmcnt(0)
	v_add_u32_e32 v12, v12, v6
	s_or_b64 exec, exec, s[78:79]
	s_and_saveexec_b64 s[78:79], s[64:65]
	s_cbranch_execz .LBB108_76
.LBB108_108:                            ;   in Loop: Header=BB108_45 Depth=1
	ds_read_b32 v6, v7 offset:33008
	s_waitcnt lgkmcnt(0)
	v_add_u32_e32 v12, v12, v6
	s_or_b64 exec, exec, s[78:79]
	v_ashrrev_i32_e32 v13, 31, v12
	s_and_saveexec_b64 s[78:79], vcc
	s_cbranch_execz .LBB108_77
.LBB108_109:                            ;   in Loop: Header=BB108_45 Depth=1
	v_add3_u32 v6, v10, -1, v12
	v_lshl_add_u32 v6, v6, 3, 0
	v_add_u32_e32 v15, v10, v12
	v_lshl_add_u32 v15, v15, 3, 0
	ds_write_b64 v6, v[2:3]
	ds_write_b64 v15, v[4:5] offset:16376
	s_or_b64 exec, exec, s[78:79]
	s_and_saveexec_b64 s[78:79], s[0:1]
	s_cbranch_execz .LBB108_44
.LBB108_110:                            ;   in Loop: Header=BB108_45 Depth=1
	ds_write_b64 v7, v[12:13] offset:33016
	s_branch .LBB108_44
.LBB108_111:
	s_or_b64 exec, exec, s[76:77]
	s_lshl_b64 s[0:1], s[74:75], 3
	s_add_u32 s4, s70, s0
	s_addc_u32 s5, s71, s1
	s_load_dwordx4 s[0:3], s[4:5], 0x0
	v_mov_b32_e32 v1, 0
	s_waitcnt lgkmcnt(0)
	s_sub_u32 s4, s2, s0
	s_subb_u32 s5, s3, s1
	v_cmp_gt_i64_e32 vcc, s[4:5], v[0:1]
	s_and_saveexec_b64 s[6:7], vcc
	s_cbranch_execz .LBB108_121
; %bb.112:
	s_sub_u32 s8, s0, s66
	s_subb_u32 s9, s1, 0
	s_and_b32 s6, s4, 7
	s_sub_u32 s0, s0, s2
	s_mov_b32 s7, 0
	s_subb_u32 s1, s1, s3
	s_and_b32 s10, s4, -8
	s_cmp_lg_u64 s[6:7], 0
	v_cmp_lt_u64_e64 s[0:1], s[0:1], -7
	s_cselect_b64 s[2:3], -1, 0
	s_mov_b32 s11, s5
	v_cndmask_b32_e64 v2, 0, 1, s[0:1]
	v_cmp_ne_u32_e64 s[0:1], 1, v2
	v_cndmask_b32_e64 v2, 0, 1, s[2:3]
	s_mov_b64 s[12:13], 0
	v_cmp_ne_u32_e64 s[2:3], 1, v2
	s_mov_b64 s[14:15], 0x400
	s_branch .LBB108_114
.LBB108_113:                            ;   in Loop: Header=BB108_114 Depth=1
	v_lshl_add_u64 v[0:1], v[0:1], 0, s[14:15]
	v_cmp_le_i64_e32 vcc, s[4:5], v[0:1]
	s_waitcnt lgkmcnt(0)
	v_lshl_add_u64 v[2:3], v[6:7], 3, s[68:69]
	s_or_b64 s[12:13], vcc, s[12:13]
	global_store_dwordx2 v[2:3], v[4:5], off
	s_andn2_b64 exec, exec, s[12:13]
	s_cbranch_execz .LBB108_121
.LBB108_114:                            ; =>This Loop Header: Depth=1
                                        ;     Child Loop BB108_116 Depth 2
                                        ;     Child Loop BB108_120 Depth 2
	v_lshl_add_u32 v2, v0, 3, 0
	ds_read2st64_b64 v[2:5], v2 offset1:32
	s_and_b64 vcc, exec, s[0:1]
	v_mov_b64_e32 v[6:7], s[8:9]
	s_mov_b64 s[16:17], 0
	s_cbranch_vccnz .LBB108_118
; %bb.115:                              ;   in Loop: Header=BB108_114 Depth=1
	s_mov_b32 s18, 0
	v_mov_b64_e32 v[6:7], s[8:9]
.LBB108_116:                            ;   Parent Loop BB108_114 Depth=1
                                        ; =>  This Inner Loop Header: Depth=2
	v_mov_b32_e32 v20, s18
	ds_read2_b64 v[8:11], v20 offset1:1
	ds_read2_b64 v[12:15], v20 offset0:2 offset1:3
	ds_read2_b64 v[16:19], v20 offset0:4 offset1:5
	;; [unrolled: 1-line block ×3, first 2 shown]
	v_mov_b32_e32 v25, s7
	s_waitcnt lgkmcnt(3)
	v_cmp_gt_i64_e32 vcc, v[2:3], v[8:9]
	v_mov_b32_e32 v27, s7
	v_mov_b32_e32 v29, s7
	v_cndmask_b32_e64 v24, 0, 1, vcc
	v_cmp_gt_i64_e32 vcc, v[2:3], v[10:11]
	v_lshl_add_u64 v[6:7], v[6:7], 0, v[24:25]
	v_mov_b32_e32 v31, s7
	v_cndmask_b32_e64 v26, 0, 1, vcc
	s_waitcnt lgkmcnt(2)
	v_cmp_gt_i64_e32 vcc, v[2:3], v[12:13]
	v_lshl_add_u64 v[6:7], v[6:7], 0, v[26:27]
	v_mov_b32_e32 v33, s7
	v_cndmask_b32_e64 v28, 0, 1, vcc
	v_cmp_gt_i64_e32 vcc, v[2:3], v[14:15]
	v_lshl_add_u64 v[6:7], v[6:7], 0, v[28:29]
	v_mov_b32_e32 v35, s7
	v_cndmask_b32_e64 v30, 0, 1, vcc
	s_waitcnt lgkmcnt(1)
	v_cmp_gt_i64_e32 vcc, v[2:3], v[16:17]
	v_lshl_add_u64 v[6:7], v[6:7], 0, v[30:31]
	v_mov_b32_e32 v37, s7
	v_cndmask_b32_e64 v32, 0, 1, vcc
	v_cmp_gt_i64_e32 vcc, v[2:3], v[18:19]
	v_lshl_add_u64 v[6:7], v[6:7], 0, v[32:33]
	s_add_u32 s16, s16, 8
	v_cndmask_b32_e64 v34, 0, 1, vcc
	s_waitcnt lgkmcnt(0)
	v_cmp_gt_i64_e32 vcc, v[2:3], v[20:21]
	v_lshl_add_u64 v[6:7], v[6:7], 0, v[34:35]
	v_mov_b32_e32 v39, s7
	v_cndmask_b32_e64 v36, 0, 1, vcc
	v_cmp_gt_i64_e32 vcc, v[2:3], v[22:23]
	s_addc_u32 s17, s17, 0
	s_add_i32 s18, s18, 64
	v_cndmask_b32_e64 v38, 0, 1, vcc
	v_lshl_add_u64 v[6:7], v[6:7], 0, v[36:37]
	s_cmp_eq_u64 s[10:11], s[16:17]
	v_lshl_add_u64 v[6:7], v[6:7], 0, v[38:39]
	s_cbranch_scc0 .LBB108_116
; %bb.117:                              ;   in Loop: Header=BB108_114 Depth=1
	s_mov_b64 s[16:17], s[10:11]
.LBB108_118:                            ;   in Loop: Header=BB108_114 Depth=1
	s_and_b64 vcc, exec, s[2:3]
	s_cbranch_vccnz .LBB108_113
; %bb.119:                              ;   in Loop: Header=BB108_114 Depth=1
	s_lshl_b32 s16, s16, 3
	s_add_i32 s18, s16, 0
	s_mov_b64 s[16:17], s[6:7]
.LBB108_120:                            ;   Parent Loop BB108_114 Depth=1
                                        ; =>  This Inner Loop Header: Depth=2
	v_mov_b32_e32 v8, s18
	ds_read_b64 v[10:11], v8
	s_add_i32 s18, s18, 8
	s_add_u32 s16, s16, -1
	v_mov_b32_e32 v9, s7
	s_addc_u32 s17, s17, -1
	s_waitcnt lgkmcnt(0)
	v_cmp_gt_i64_e32 vcc, v[2:3], v[10:11]
	s_cmp_lg_u64 s[16:17], 0
	s_nop 0
	v_cndmask_b32_e64 v8, 0, 1, vcc
	v_lshl_add_u64 v[6:7], v[6:7], 0, v[8:9]
	s_cbranch_scc1 .LBB108_120
	s_branch .LBB108_113
.LBB108_121:
	s_endpgm
	.section	.rodata,"a",@progbits
	.p2align	6, 0x0
	.amdhsa_kernel _ZN9rocsparseL41csrgemm_numeric_fill_block_per_row_kernelILj1024ELj32ELj2048ELj137ELj32ElldEEvT5_PKS1_S3_NS_24const_host_device_scalarIT6_EEPKT4_S3_PKS5_S9_S3_SB_S6_S9_S3_SB_S9_S3_PS5_21rocsparse_index_base_SD_SD_SD_bbb
		.amdhsa_group_segment_fixed_size 0
		.amdhsa_private_segment_fixed_size 0
		.amdhsa_kernarg_size 156
		.amdhsa_user_sgpr_count 2
		.amdhsa_user_sgpr_dispatch_ptr 0
		.amdhsa_user_sgpr_queue_ptr 0
		.amdhsa_user_sgpr_kernarg_segment_ptr 1
		.amdhsa_user_sgpr_dispatch_id 0
		.amdhsa_user_sgpr_kernarg_preload_length 0
		.amdhsa_user_sgpr_kernarg_preload_offset 0
		.amdhsa_user_sgpr_private_segment_size 0
		.amdhsa_uses_dynamic_stack 0
		.amdhsa_enable_private_segment 0
		.amdhsa_system_sgpr_workgroup_id_x 1
		.amdhsa_system_sgpr_workgroup_id_y 0
		.amdhsa_system_sgpr_workgroup_id_z 0
		.amdhsa_system_sgpr_workgroup_info 0
		.amdhsa_system_vgpr_workitem_id 0
		.amdhsa_next_free_vgpr 40
		.amdhsa_next_free_sgpr 80
		.amdhsa_accum_offset 40
		.amdhsa_reserve_vcc 1
		.amdhsa_float_round_mode_32 0
		.amdhsa_float_round_mode_16_64 0
		.amdhsa_float_denorm_mode_32 3
		.amdhsa_float_denorm_mode_16_64 3
		.amdhsa_dx10_clamp 1
		.amdhsa_ieee_mode 1
		.amdhsa_fp16_overflow 0
		.amdhsa_tg_split 0
		.amdhsa_exception_fp_ieee_invalid_op 0
		.amdhsa_exception_fp_denorm_src 0
		.amdhsa_exception_fp_ieee_div_zero 0
		.amdhsa_exception_fp_ieee_overflow 0
		.amdhsa_exception_fp_ieee_underflow 0
		.amdhsa_exception_fp_ieee_inexact 0
		.amdhsa_exception_int_div_zero 0
	.end_amdhsa_kernel
	.section	.text._ZN9rocsparseL41csrgemm_numeric_fill_block_per_row_kernelILj1024ELj32ELj2048ELj137ELj32ElldEEvT5_PKS1_S3_NS_24const_host_device_scalarIT6_EEPKT4_S3_PKS5_S9_S3_SB_S6_S9_S3_SB_S9_S3_PS5_21rocsparse_index_base_SD_SD_SD_bbb,"axG",@progbits,_ZN9rocsparseL41csrgemm_numeric_fill_block_per_row_kernelILj1024ELj32ELj2048ELj137ELj32ElldEEvT5_PKS1_S3_NS_24const_host_device_scalarIT6_EEPKT4_S3_PKS5_S9_S3_SB_S6_S9_S3_SB_S9_S3_PS5_21rocsparse_index_base_SD_SD_SD_bbb,comdat
.Lfunc_end108:
	.size	_ZN9rocsparseL41csrgemm_numeric_fill_block_per_row_kernelILj1024ELj32ELj2048ELj137ELj32ElldEEvT5_PKS1_S3_NS_24const_host_device_scalarIT6_EEPKT4_S3_PKS5_S9_S3_SB_S6_S9_S3_SB_S9_S3_PS5_21rocsparse_index_base_SD_SD_SD_bbb, .Lfunc_end108-_ZN9rocsparseL41csrgemm_numeric_fill_block_per_row_kernelILj1024ELj32ELj2048ELj137ELj32ElldEEvT5_PKS1_S3_NS_24const_host_device_scalarIT6_EEPKT4_S3_PKS5_S9_S3_SB_S6_S9_S3_SB_S9_S3_PS5_21rocsparse_index_base_SD_SD_SD_bbb
                                        ; -- End function
	.set _ZN9rocsparseL41csrgemm_numeric_fill_block_per_row_kernelILj1024ELj32ELj2048ELj137ELj32ElldEEvT5_PKS1_S3_NS_24const_host_device_scalarIT6_EEPKT4_S3_PKS5_S9_S3_SB_S6_S9_S3_SB_S9_S3_PS5_21rocsparse_index_base_SD_SD_SD_bbb.num_vgpr, 40
	.set _ZN9rocsparseL41csrgemm_numeric_fill_block_per_row_kernelILj1024ELj32ELj2048ELj137ELj32ElldEEvT5_PKS1_S3_NS_24const_host_device_scalarIT6_EEPKT4_S3_PKS5_S9_S3_SB_S6_S9_S3_SB_S9_S3_PS5_21rocsparse_index_base_SD_SD_SD_bbb.num_agpr, 0
	.set _ZN9rocsparseL41csrgemm_numeric_fill_block_per_row_kernelILj1024ELj32ELj2048ELj137ELj32ElldEEvT5_PKS1_S3_NS_24const_host_device_scalarIT6_EEPKT4_S3_PKS5_S9_S3_SB_S6_S9_S3_SB_S9_S3_PS5_21rocsparse_index_base_SD_SD_SD_bbb.numbered_sgpr, 80
	.set _ZN9rocsparseL41csrgemm_numeric_fill_block_per_row_kernelILj1024ELj32ELj2048ELj137ELj32ElldEEvT5_PKS1_S3_NS_24const_host_device_scalarIT6_EEPKT4_S3_PKS5_S9_S3_SB_S6_S9_S3_SB_S9_S3_PS5_21rocsparse_index_base_SD_SD_SD_bbb.num_named_barrier, 0
	.set _ZN9rocsparseL41csrgemm_numeric_fill_block_per_row_kernelILj1024ELj32ELj2048ELj137ELj32ElldEEvT5_PKS1_S3_NS_24const_host_device_scalarIT6_EEPKT4_S3_PKS5_S9_S3_SB_S6_S9_S3_SB_S9_S3_PS5_21rocsparse_index_base_SD_SD_SD_bbb.private_seg_size, 0
	.set _ZN9rocsparseL41csrgemm_numeric_fill_block_per_row_kernelILj1024ELj32ELj2048ELj137ELj32ElldEEvT5_PKS1_S3_NS_24const_host_device_scalarIT6_EEPKT4_S3_PKS5_S9_S3_SB_S6_S9_S3_SB_S9_S3_PS5_21rocsparse_index_base_SD_SD_SD_bbb.uses_vcc, 1
	.set _ZN9rocsparseL41csrgemm_numeric_fill_block_per_row_kernelILj1024ELj32ELj2048ELj137ELj32ElldEEvT5_PKS1_S3_NS_24const_host_device_scalarIT6_EEPKT4_S3_PKS5_S9_S3_SB_S6_S9_S3_SB_S9_S3_PS5_21rocsparse_index_base_SD_SD_SD_bbb.uses_flat_scratch, 0
	.set _ZN9rocsparseL41csrgemm_numeric_fill_block_per_row_kernelILj1024ELj32ELj2048ELj137ELj32ElldEEvT5_PKS1_S3_NS_24const_host_device_scalarIT6_EEPKT4_S3_PKS5_S9_S3_SB_S6_S9_S3_SB_S9_S3_PS5_21rocsparse_index_base_SD_SD_SD_bbb.has_dyn_sized_stack, 0
	.set _ZN9rocsparseL41csrgemm_numeric_fill_block_per_row_kernelILj1024ELj32ELj2048ELj137ELj32ElldEEvT5_PKS1_S3_NS_24const_host_device_scalarIT6_EEPKT4_S3_PKS5_S9_S3_SB_S6_S9_S3_SB_S9_S3_PS5_21rocsparse_index_base_SD_SD_SD_bbb.has_recursion, 0
	.set _ZN9rocsparseL41csrgemm_numeric_fill_block_per_row_kernelILj1024ELj32ELj2048ELj137ELj32ElldEEvT5_PKS1_S3_NS_24const_host_device_scalarIT6_EEPKT4_S3_PKS5_S9_S3_SB_S6_S9_S3_SB_S9_S3_PS5_21rocsparse_index_base_SD_SD_SD_bbb.has_indirect_call, 0
	.section	.AMDGPU.csdata,"",@progbits
; Kernel info:
; codeLenInByte = 3972
; TotalNumSgprs: 86
; NumVgprs: 40
; NumAgprs: 0
; TotalNumVgprs: 40
; ScratchSize: 0
; MemoryBound: 0
; FloatMode: 240
; IeeeMode: 1
; LDSByteSize: 0 bytes/workgroup (compile time only)
; SGPRBlocks: 10
; VGPRBlocks: 4
; NumSGPRsForWavesPerEU: 86
; NumVGPRsForWavesPerEU: 40
; AccumOffset: 40
; Occupancy: 8
; WaveLimiterHint : 1
; COMPUTE_PGM_RSRC2:SCRATCH_EN: 0
; COMPUTE_PGM_RSRC2:USER_SGPR: 2
; COMPUTE_PGM_RSRC2:TRAP_HANDLER: 0
; COMPUTE_PGM_RSRC2:TGID_X_EN: 1
; COMPUTE_PGM_RSRC2:TGID_Y_EN: 0
; COMPUTE_PGM_RSRC2:TGID_Z_EN: 0
; COMPUTE_PGM_RSRC2:TIDIG_COMP_CNT: 0
; COMPUTE_PGM_RSRC3_GFX90A:ACCUM_OFFSET: 9
; COMPUTE_PGM_RSRC3_GFX90A:TG_SPLIT: 0
	.section	.text._ZN9rocsparseL41csrgemm_numeric_fill_block_per_row_kernelILj1024ELj32ELj2048ELj137ELj64ElldEEvT5_PKS1_S3_NS_24const_host_device_scalarIT6_EEPKT4_S3_PKS5_S9_S3_SB_S6_S9_S3_SB_S9_S3_PS5_21rocsparse_index_base_SD_SD_SD_bbb,"axG",@progbits,_ZN9rocsparseL41csrgemm_numeric_fill_block_per_row_kernelILj1024ELj32ELj2048ELj137ELj64ElldEEvT5_PKS1_S3_NS_24const_host_device_scalarIT6_EEPKT4_S3_PKS5_S9_S3_SB_S6_S9_S3_SB_S9_S3_PS5_21rocsparse_index_base_SD_SD_SD_bbb,comdat
	.globl	_ZN9rocsparseL41csrgemm_numeric_fill_block_per_row_kernelILj1024ELj32ELj2048ELj137ELj64ElldEEvT5_PKS1_S3_NS_24const_host_device_scalarIT6_EEPKT4_S3_PKS5_S9_S3_SB_S6_S9_S3_SB_S9_S3_PS5_21rocsparse_index_base_SD_SD_SD_bbb ; -- Begin function _ZN9rocsparseL41csrgemm_numeric_fill_block_per_row_kernelILj1024ELj32ELj2048ELj137ELj64ElldEEvT5_PKS1_S3_NS_24const_host_device_scalarIT6_EEPKT4_S3_PKS5_S9_S3_SB_S6_S9_S3_SB_S9_S3_PS5_21rocsparse_index_base_SD_SD_SD_bbb
	.p2align	8
	.type	_ZN9rocsparseL41csrgemm_numeric_fill_block_per_row_kernelILj1024ELj32ELj2048ELj137ELj64ElldEEvT5_PKS1_S3_NS_24const_host_device_scalarIT6_EEPKT4_S3_PKS5_S9_S3_SB_S6_S9_S3_SB_S9_S3_PS5_21rocsparse_index_base_SD_SD_SD_bbb,@function
_ZN9rocsparseL41csrgemm_numeric_fill_block_per_row_kernelILj1024ELj32ELj2048ELj137ELj64ElldEEvT5_PKS1_S3_NS_24const_host_device_scalarIT6_EEPKT4_S3_PKS5_S9_S3_SB_S6_S9_S3_SB_S9_S3_PS5_21rocsparse_index_base_SD_SD_SD_bbb: ; @_ZN9rocsparseL41csrgemm_numeric_fill_block_per_row_kernelILj1024ELj32ELj2048ELj137ELj64ElldEEvT5_PKS1_S3_NS_24const_host_device_scalarIT6_EEPKT4_S3_PKS5_S9_S3_SB_S6_S9_S3_SB_S9_S3_PS5_21rocsparse_index_base_SD_SD_SD_bbb
; %bb.0:
	s_load_dword s3, s[0:1], 0x98
	s_load_dwordx4 s[36:39], s[0:1], 0x88
	s_load_dwordx2 s[4:5], s[0:1], 0x18
	s_load_dwordx2 s[12:13], s[0:1], 0x50
	s_waitcnt lgkmcnt(0)
	s_bitcmp1_b32 s3, 0
	s_cselect_b64 s[28:29], -1, 0
	s_bitcmp1_b32 s3, 16
	s_cselect_b64 s[14:15], -1, 0
	s_xor_b64 s[6:7], s[28:29], -1
	s_or_b64 s[6:7], s[14:15], s[6:7]
	s_and_b64 s[8:9], s[28:29], exec
	s_cselect_b32 s9, s5, 0
	s_cselect_b32 s8, s4, 0
	s_and_b64 vcc, exec, s[6:7]
	v_mov_b64_e32 v[4:5], s[8:9]
	s_cbranch_vccnz .LBB109_2
; %bb.1:
	v_mov_b64_e32 v[2:3], s[4:5]
	flat_load_dwordx2 v[4:5], v[2:3]
.LBB109_2:
	s_load_dwordx2 s[34:35], s[0:1], 0x80
	s_load_dwordx2 s[40:41], s[0:1], 0x70
	;; [unrolled: 1-line block ×3, first 2 shown]
	s_load_dwordx4 s[20:23], s[0:1], 0x8
	s_load_dwordx8 s[4:11], s[0:1], 0x20
	s_bitcmp1_b32 s3, 8
	s_cselect_b64 s[26:27], -1, 0
	s_xor_b64 s[16:17], s[26:27], -1
	s_or_b64 s[14:15], s[14:15], s[16:17]
	s_and_b64 s[16:17], s[26:27], exec
	s_cselect_b32 s17, s13, 0
	s_cselect_b32 s16, s12, 0
	s_and_b64 vcc, exec, s[14:15]
	v_mov_b64_e32 v[2:3], s[16:17]
	s_cbranch_vccnz .LBB109_4
; %bb.3:
	v_mov_b64_e32 v[2:3], s[12:13]
	flat_load_dwordx2 v[2:3], v[2:3]
.LBB109_4:
	s_load_dwordx4 s[12:15], s[0:1], 0x60
	s_load_dwordx4 s[16:19], s[0:1], 0x40
	s_load_dwordx2 s[42:43], s[0:1], 0x0
	v_or_b32_e32 v1, 0xfffffc00, v0
	v_mov_b32_e32 v6, 0
	v_lshl_add_u32 v26, v0, 3, 0
	s_mov_b64 s[0:1], 0
	s_waitcnt lgkmcnt(0)
	v_mov_b64_e32 v[8:9], s[42:43]
	v_mov_b32_e32 v7, v6
	v_mov_b32_e32 v10, v26
	;; [unrolled: 1-line block ×3, first 2 shown]
.LBB109_5:                              ; =>This Inner Loop Header: Depth=1
	v_add_co_u32_e32 v11, vcc, 0x400, v11
	s_xor_b64 s[30:31], vcc, -1
	s_and_b64 s[30:31], exec, s[30:31]
	ds_write2st64_b64 v10, v[8:9], v[6:7] offset1:32
	s_or_b64 s[0:1], s[30:31], s[0:1]
	v_add_u32_e32 v10, 0x2000, v10
	s_andn2_b64 exec, exec, s[0:1]
	s_cbranch_execnz .LBB109_5
; %bb.6:
	s_or_b64 exec, exec, s[0:1]
	s_waitcnt lgkmcnt(0)
	s_barrier
	s_load_dwordx2 s[0:1], s[20:21], 0x0
	s_mov_b32 s3, 0
	s_waitcnt lgkmcnt(0)
	s_lshl_b64 s[0:1], s[0:1], 3
	s_add_u32 s20, s22, s0
	s_addc_u32 s21, s23, s1
	s_lshl_b64 s[0:1], s[2:3], 3
	s_add_u32 s0, s20, s0
	s_addc_u32 s1, s21, s1
	s_load_dwordx2 s[44:45], s[0:1], 0x0
	s_and_b64 vcc, exec, s[28:29]
	s_cbranch_vccz .LBB109_26
; %bb.7:
	s_waitcnt lgkmcnt(0)
	s_lshl_b64 s[0:1], s[44:45], 3
	s_add_u32 s0, s4, s0
	s_addc_u32 s1, s5, s1
	s_load_dwordx4 s[20:23], s[0:1], 0x0
	v_lshrrev_b32_e32 v6, 5, v0
	v_subrev_co_u32_e32 v6, vcc, s36, v6
	s_waitcnt lgkmcnt(0)
	s_sub_u32 s0, s22, s36
	v_subb_co_u32_e64 v7, s[2:3], 0, 0, vcc
	s_subb_u32 s1, s23, 0
	v_lshl_add_u64 v[6:7], s[20:21], 0, v[6:7]
	v_cmp_gt_i64_e32 vcc, s[0:1], v[6:7]
	s_and_saveexec_b64 s[2:3], vcc
	s_cbranch_execz .LBB109_25
; %bb.8:
	v_and_b32_e32 v8, 31, v0
	v_subrev_co_u32_e32 v8, vcc, s37, v8
	s_mov_b32 s33, s37
	s_nop 0
	v_subb_co_u32_e64 v9, s[4:5], 0, 0, vcc
	s_mov_b64 s[4:5], 0
	s_movk_i32 s37, 0x89
	s_branch .LBB109_10
.LBB109_9:                              ;   in Loop: Header=BB109_10 Depth=1
	s_or_b64 exec, exec, s[20:21]
	v_lshl_add_u64 v[6:7], v[6:7], 0, 32
	v_cmp_le_i64_e32 vcc, s[0:1], v[6:7]
	s_or_b64 s[4:5], vcc, s[4:5]
	s_andn2_b64 exec, exec, s[4:5]
	s_cbranch_execz .LBB109_25
.LBB109_10:                             ; =>This Loop Header: Depth=1
                                        ;     Child Loop BB109_14 Depth 2
                                        ;       Child Loop BB109_17 Depth 3
	v_lshl_add_u64 v[10:11], v[6:7], 3, s[6:7]
	global_load_dwordx2 v[10:11], v[10:11], off
	s_waitcnt vmcnt(0)
	v_subrev_co_u32_e32 v10, vcc, s36, v10
	s_nop 1
	v_subbrev_co_u32_e32 v11, vcc, 0, v11, vcc
	v_lshl_add_u64 v[10:11], v[10:11], 3, s[10:11]
	global_load_dwordx4 v[12:15], v[10:11], off
	s_waitcnt vmcnt(0)
	v_subrev_co_u32_e32 v10, vcc, s33, v14
	s_nop 1
	v_subbrev_co_u32_e32 v11, vcc, 0, v15, vcc
	v_lshl_add_u64 v[12:13], v[12:13], 0, v[8:9]
	v_cmp_lt_i64_e32 vcc, v[12:13], v[10:11]
	s_and_saveexec_b64 s[20:21], vcc
	s_cbranch_execz .LBB109_9
; %bb.11:                               ;   in Loop: Header=BB109_10 Depth=1
	v_lshl_add_u64 v[14:15], v[6:7], 3, s[8:9]
	global_load_dwordx2 v[14:15], v[14:15], off
	s_mov_b64 s[22:23], 0
	s_waitcnt vmcnt(0)
	v_mul_f64 v[14:15], v[4:5], v[14:15]
	s_branch .LBB109_14
.LBB109_12:                             ;   in Loop: Header=BB109_14 Depth=2
	s_or_b64 exec, exec, s[30:31]
.LBB109_13:                             ;   in Loop: Header=BB109_14 Depth=2
	s_or_b64 exec, exec, s[28:29]
	s_waitcnt vmcnt(0)
	v_mul_f64 v[16:17], v[14:15], v[16:17]
	v_lshl_add_u32 v18, v20, 3, 0
	ds_add_f64 v18, v[16:17] offset:16384
	v_lshl_add_u64 v[12:13], v[12:13], 0, 32
	v_cmp_ge_i64_e32 vcc, v[12:13], v[10:11]
	s_or_b64 s[22:23], vcc, s[22:23]
	s_andn2_b64 exec, exec, s[22:23]
	s_cbranch_execz .LBB109_9
.LBB109_14:                             ;   Parent Loop BB109_10 Depth=1
                                        ; =>  This Loop Header: Depth=2
                                        ;       Child Loop BB109_17 Depth 3
	v_lshlrev_b64 v[16:17], 3, v[12:13]
	v_lshl_add_u64 v[18:19], s[16:17], 0, v[16:17]
	global_load_dwordx2 v[18:19], v[18:19], off
	v_lshl_add_u64 v[16:17], s[18:19], 0, v[16:17]
	global_load_dwordx2 v[16:17], v[16:17], off
	s_waitcnt vmcnt(1)
	v_subrev_co_u32_e32 v18, vcc, s33, v18
	v_mul_lo_u32 v20, v18, s37
	v_and_b32_e32 v20, 0x7ff, v20
	v_lshl_add_u32 v27, v20, 3, 0
	ds_read_b64 v[24:25], v27
	v_subbrev_co_u32_e32 v19, vcc, 0, v19, vcc
	s_waitcnt lgkmcnt(0)
	v_cmp_ne_u64_e32 vcc, v[24:25], v[18:19]
	s_and_saveexec_b64 s[28:29], vcc
	s_cbranch_execz .LBB109_13
; %bb.15:                               ;   in Loop: Header=BB109_14 Depth=2
	s_mov_b64 s[30:31], 0
                                        ; implicit-def: $sgpr46_sgpr47
                                        ; implicit-def: $sgpr48_sgpr49
	s_branch .LBB109_17
.LBB109_16:                             ;   in Loop: Header=BB109_17 Depth=3
	s_or_b64 exec, exec, s[54:55]
	s_and_b64 s[50:51], exec, s[52:53]
	s_or_b64 s[30:31], s[50:51], s[30:31]
	s_andn2_b64 s[46:47], s[46:47], exec
	s_and_b64 s[50:51], s[48:49], exec
	s_or_b64 s[46:47], s[46:47], s[50:51]
	s_andn2_b64 exec, exec, s[30:31]
	s_cbranch_execz .LBB109_23
.LBB109_17:                             ;   Parent Loop BB109_10 Depth=1
                                        ;     Parent Loop BB109_14 Depth=2
                                        ; =>    This Inner Loop Header: Depth=3
	v_mov_b64_e32 v[22:23], v[20:21]
	v_cmp_ne_u64_e32 vcc, s[42:43], v[24:25]
	s_mov_b64 s[50:51], 0
                                        ; implicit-def: $vgpr20_vgpr21
	s_and_saveexec_b64 s[52:53], vcc
	s_xor_b64 s[52:53], exec, s[52:53]
; %bb.18:                               ;   in Loop: Header=BB109_17 Depth=3
	v_add_u32_e32 v20, 1, v22
	s_mov_b64 s[50:51], exec
	v_and_b32_e32 v20, 0x7ff, v20
                                        ; implicit-def: $vgpr27
; %bb.19:                               ;   in Loop: Header=BB109_17 Depth=3
	s_andn2_saveexec_b64 s[52:53], s[52:53]
	s_cbranch_execz .LBB109_21
; %bb.20:                               ;   in Loop: Header=BB109_17 Depth=3
	v_mov_b64_e32 v[20:21], s[42:43]
	ds_cmpst_rtn_b64 v[20:21], v27, v[20:21], v[18:19]
	s_andn2_b64 s[50:51], s[50:51], exec
	s_waitcnt lgkmcnt(0)
	v_cmp_ne_u64_e32 vcc, s[42:43], v[20:21]
	s_and_b64 s[54:55], vcc, exec
	s_or_b64 s[50:51], s[50:51], s[54:55]
	v_mov_b64_e32 v[20:21], v[22:23]
.LBB109_21:                             ;   in Loop: Header=BB109_17 Depth=3
	s_or_b64 exec, exec, s[52:53]
	s_mov_b64 s[52:53], -1
	s_or_b64 s[48:49], s[48:49], exec
                                        ; implicit-def: $vgpr27
                                        ; implicit-def: $vgpr24_vgpr25
	s_and_saveexec_b64 s[54:55], s[50:51]
	s_cbranch_execz .LBB109_16
; %bb.22:                               ;   in Loop: Header=BB109_17 Depth=3
	v_lshl_add_u32 v27, v20, 3, 0
	ds_read_b64 v[24:25], v27
	s_andn2_b64 s[48:49], s[48:49], exec
	s_waitcnt lgkmcnt(0)
	v_cmp_eq_u64_e32 vcc, v[24:25], v[18:19]
	s_orn2_b64 s[52:53], vcc, exec
	s_branch .LBB109_16
.LBB109_23:                             ;   in Loop: Header=BB109_14 Depth=2
	s_or_b64 exec, exec, s[30:31]
	s_and_saveexec_b64 s[30:31], s[46:47]
	s_xor_b64 s[30:31], exec, s[30:31]
	s_cbranch_execz .LBB109_12
; %bb.24:                               ;   in Loop: Header=BB109_14 Depth=2
	v_mov_b32_e32 v20, v22
	s_branch .LBB109_12
.LBB109_25:
	s_or_b64 exec, exec, s[2:3]
.LBB109_26:
	s_andn2_b64 vcc, exec, s[26:27]
	s_cbranch_vccnz .LBB109_43
; %bb.27:
	s_waitcnt lgkmcnt(0)
	s_lshl_b64 s[0:1], s[44:45], 3
	s_add_u32 s0, s24, s0
	s_addc_u32 s1, s25, s1
	s_load_dwordx4 s[4:7], s[0:1], 0x0
	s_waitcnt vmcnt(0)
	v_subrev_co_u32_e32 v4, vcc, s39, v0
	s_waitcnt lgkmcnt(0)
	s_sub_u32 s0, s6, s39
	v_subb_co_u32_e64 v5, s[2:3], 0, 0, vcc
	s_subb_u32 s1, s7, 0
	v_lshl_add_u64 v[4:5], s[4:5], 0, v[4:5]
	v_cmp_gt_i64_e32 vcc, s[0:1], v[4:5]
	s_and_saveexec_b64 s[2:3], vcc
	s_cbranch_execz .LBB109_42
; %bb.28:
	s_mov_b32 s26, s39
	s_mov_b64 s[4:5], 0
	s_movk_i32 s27, 0x89
	s_mov_b64 s[6:7], 0x400
	s_branch .LBB109_31
.LBB109_29:                             ;   in Loop: Header=BB109_31 Depth=1
	s_or_b64 exec, exec, s[10:11]
.LBB109_30:                             ;   in Loop: Header=BB109_31 Depth=1
	s_or_b64 exec, exec, s[8:9]
	s_waitcnt vmcnt(0)
	v_mul_f64 v[6:7], v[2:3], v[6:7]
	v_lshl_add_u32 v8, v10, 3, 0
	ds_add_f64 v8, v[6:7] offset:16384
	v_lshl_add_u64 v[4:5], v[4:5], 0, s[6:7]
	v_cmp_le_i64_e32 vcc, s[0:1], v[4:5]
	s_or_b64 s[4:5], vcc, s[4:5]
	s_andn2_b64 exec, exec, s[4:5]
	s_cbranch_execz .LBB109_42
.LBB109_31:                             ; =>This Loop Header: Depth=1
                                        ;     Child Loop BB109_34 Depth 2
	v_lshlrev_b64 v[6:7], 3, v[4:5]
	v_lshl_add_u64 v[8:9], s[12:13], 0, v[6:7]
	global_load_dwordx2 v[8:9], v[8:9], off
	v_lshl_add_u64 v[6:7], s[14:15], 0, v[6:7]
	global_load_dwordx2 v[6:7], v[6:7], off
	s_waitcnt vmcnt(1)
	v_subrev_co_u32_e32 v8, vcc, s26, v8
	v_mul_lo_u32 v10, v8, s27
	v_and_b32_e32 v10, 0x7ff, v10
	v_lshl_add_u32 v16, v10, 3, 0
	ds_read_b64 v[14:15], v16
	v_subbrev_co_u32_e32 v9, vcc, 0, v9, vcc
	s_waitcnt lgkmcnt(0)
	v_cmp_ne_u64_e32 vcc, v[14:15], v[8:9]
	s_and_saveexec_b64 s[8:9], vcc
	s_cbranch_execz .LBB109_30
; %bb.32:                               ;   in Loop: Header=BB109_31 Depth=1
	s_mov_b64 s[10:11], 0
                                        ; implicit-def: $sgpr16_sgpr17
                                        ; implicit-def: $sgpr18_sgpr19
	s_branch .LBB109_34
.LBB109_33:                             ;   in Loop: Header=BB109_34 Depth=2
	s_or_b64 exec, exec, s[24:25]
	s_and_b64 s[20:21], exec, s[22:23]
	s_or_b64 s[10:11], s[20:21], s[10:11]
	s_andn2_b64 s[16:17], s[16:17], exec
	s_and_b64 s[20:21], s[18:19], exec
	s_or_b64 s[16:17], s[16:17], s[20:21]
	s_andn2_b64 exec, exec, s[10:11]
	s_cbranch_execz .LBB109_40
.LBB109_34:                             ;   Parent Loop BB109_31 Depth=1
                                        ; =>  This Inner Loop Header: Depth=2
	v_mov_b64_e32 v[12:13], v[10:11]
	v_cmp_ne_u64_e32 vcc, s[42:43], v[14:15]
	s_mov_b64 s[20:21], 0
                                        ; implicit-def: $vgpr10_vgpr11
	s_and_saveexec_b64 s[22:23], vcc
	s_xor_b64 s[22:23], exec, s[22:23]
; %bb.35:                               ;   in Loop: Header=BB109_34 Depth=2
	v_add_u32_e32 v10, 1, v12
	s_mov_b64 s[20:21], exec
	v_and_b32_e32 v10, 0x7ff, v10
                                        ; implicit-def: $vgpr16
; %bb.36:                               ;   in Loop: Header=BB109_34 Depth=2
	s_andn2_saveexec_b64 s[22:23], s[22:23]
	s_cbranch_execz .LBB109_38
; %bb.37:                               ;   in Loop: Header=BB109_34 Depth=2
	v_mov_b64_e32 v[10:11], s[42:43]
	ds_cmpst_rtn_b64 v[10:11], v16, v[10:11], v[8:9]
	s_andn2_b64 s[20:21], s[20:21], exec
	s_waitcnt lgkmcnt(0)
	v_cmp_ne_u64_e32 vcc, s[42:43], v[10:11]
	s_and_b64 s[24:25], vcc, exec
	s_or_b64 s[20:21], s[20:21], s[24:25]
	v_mov_b64_e32 v[10:11], v[12:13]
.LBB109_38:                             ;   in Loop: Header=BB109_34 Depth=2
	s_or_b64 exec, exec, s[22:23]
	s_mov_b64 s[22:23], -1
	s_or_b64 s[18:19], s[18:19], exec
                                        ; implicit-def: $vgpr16
                                        ; implicit-def: $vgpr14_vgpr15
	s_and_saveexec_b64 s[24:25], s[20:21]
	s_cbranch_execz .LBB109_33
; %bb.39:                               ;   in Loop: Header=BB109_34 Depth=2
	v_lshl_add_u32 v16, v10, 3, 0
	ds_read_b64 v[14:15], v16
	s_andn2_b64 s[18:19], s[18:19], exec
	s_waitcnt lgkmcnt(0)
	v_cmp_eq_u64_e32 vcc, v[14:15], v[8:9]
	s_orn2_b64 s[22:23], vcc, exec
	s_branch .LBB109_33
.LBB109_40:                             ;   in Loop: Header=BB109_31 Depth=1
	s_or_b64 exec, exec, s[10:11]
	s_and_saveexec_b64 s[10:11], s[16:17]
	s_xor_b64 s[10:11], exec, s[10:11]
	s_cbranch_execz .LBB109_29
; %bb.41:                               ;   in Loop: Header=BB109_31 Depth=1
	v_mov_b32_e32 v10, v12
	s_branch .LBB109_29
.LBB109_42:
	s_or_b64 exec, exec, s[2:3]
.LBB109_43:
	s_waitcnt vmcnt(0)
	v_mbcnt_lo_u32_b32 v2, -1, 0
	v_mbcnt_hi_u32_b32 v2, -1, v2
	v_sub_u32_e32 v2, 63, v2
	v_lshrrev_b64 v[8:9], v2, -1
	v_lshrrev_b32_e32 v2, 3, v0
	v_and_b32_e32 v2, 0x78, v2
	s_movk_i32 s0, 0x3ff
	s_movk_i32 s4, 0x7f
	;; [unrolled: 1-line block ×15, first 2 shown]
	v_mov_b32_e32 v7, 0
	v_add_u32_e32 v14, 0, v2
	v_cmp_eq_u32_e64 s[0:1], s0, v0
	v_cmp_lt_u32_e64 s[2:3], 63, v0
	v_cmp_lt_u32_e64 s[4:5], s4, v0
	;; [unrolled: 1-line block ×15, first 2 shown]
	s_mov_b64 s[36:37], 0
	v_mov_b64_e32 v[10:11], 0
	s_waitcnt lgkmcnt(0)
	s_barrier
	s_branch .LBB109_45
.LBB109_44:                             ;   in Loop: Header=BB109_45 Depth=1
	s_or_b64 exec, exec, s[46:47]
	s_waitcnt lgkmcnt(0)
	s_barrier
	ds_read_b64 v[2:3], v7 offset:32888
	v_add_co_u32_e32 v1, vcc, 0x400, v1
	s_xor_b64 s[46:47], vcc, -1
	s_and_b64 s[46:47], exec, s[46:47]
	s_waitcnt lgkmcnt(0)
	v_lshl_add_u64 v[10:11], v[2:3], 0, v[10:11]
	s_or_b64 s[36:37], s[46:47], s[36:37]
	v_add_u32_e32 v26, 0x2000, v26
	s_andn2_b64 exec, exec, s[36:37]
	s_cbranch_execz .LBB109_79
.LBB109_45:                             ; =>This Inner Loop Header: Depth=1
	ds_read2st64_b64 v[2:5], v26 offset1:32
	s_waitcnt lgkmcnt(0)
	s_barrier
	v_cmp_gt_i64_e32 vcc, s[42:43], v[2:3]
	s_bcnt1_i32_b64 s33, vcc
	s_nop 0
	v_and_b32_e32 v13, vcc_lo, v8
	v_and_b32_e32 v12, vcc_hi, v9
	v_bcnt_u32_b32 v13, v13, 0
	v_mov_b32_e32 v6, s33
	v_bcnt_u32_b32 v12, v12, v13
	ds_write_b64 v14, v[6:7] offset:32768
	s_waitcnt lgkmcnt(0)
	s_barrier
	s_and_saveexec_b64 s[46:47], s[2:3]
	s_cbranch_execnz .LBB109_62
; %bb.46:                               ;   in Loop: Header=BB109_45 Depth=1
	s_or_b64 exec, exec, s[46:47]
	s_and_saveexec_b64 s[46:47], s[4:5]
	s_cbranch_execnz .LBB109_63
.LBB109_47:                             ;   in Loop: Header=BB109_45 Depth=1
	s_or_b64 exec, exec, s[46:47]
	s_and_saveexec_b64 s[46:47], s[6:7]
	s_cbranch_execnz .LBB109_64
.LBB109_48:                             ;   in Loop: Header=BB109_45 Depth=1
	s_or_b64 exec, exec, s[46:47]
	s_and_saveexec_b64 s[46:47], s[8:9]
	s_cbranch_execnz .LBB109_65
.LBB109_49:                             ;   in Loop: Header=BB109_45 Depth=1
	s_or_b64 exec, exec, s[46:47]
	s_and_saveexec_b64 s[46:47], s[10:11]
	s_cbranch_execnz .LBB109_66
.LBB109_50:                             ;   in Loop: Header=BB109_45 Depth=1
	s_or_b64 exec, exec, s[46:47]
	s_and_saveexec_b64 s[46:47], s[12:13]
	s_cbranch_execnz .LBB109_67
.LBB109_51:                             ;   in Loop: Header=BB109_45 Depth=1
	s_or_b64 exec, exec, s[46:47]
	s_and_saveexec_b64 s[46:47], s[14:15]
	s_cbranch_execnz .LBB109_68
.LBB109_52:                             ;   in Loop: Header=BB109_45 Depth=1
	s_or_b64 exec, exec, s[46:47]
	s_and_saveexec_b64 s[46:47], s[16:17]
	s_cbranch_execnz .LBB109_69
.LBB109_53:                             ;   in Loop: Header=BB109_45 Depth=1
	s_or_b64 exec, exec, s[46:47]
	s_and_saveexec_b64 s[46:47], s[18:19]
	s_cbranch_execnz .LBB109_70
.LBB109_54:                             ;   in Loop: Header=BB109_45 Depth=1
	s_or_b64 exec, exec, s[46:47]
	s_and_saveexec_b64 s[46:47], s[20:21]
	s_cbranch_execnz .LBB109_71
.LBB109_55:                             ;   in Loop: Header=BB109_45 Depth=1
	s_or_b64 exec, exec, s[46:47]
	s_and_saveexec_b64 s[46:47], s[22:23]
	s_cbranch_execnz .LBB109_72
.LBB109_56:                             ;   in Loop: Header=BB109_45 Depth=1
	s_or_b64 exec, exec, s[46:47]
	s_and_saveexec_b64 s[46:47], s[24:25]
	s_cbranch_execnz .LBB109_73
.LBB109_57:                             ;   in Loop: Header=BB109_45 Depth=1
	s_or_b64 exec, exec, s[46:47]
	s_and_saveexec_b64 s[46:47], s[26:27]
	s_cbranch_execnz .LBB109_74
.LBB109_58:                             ;   in Loop: Header=BB109_45 Depth=1
	s_or_b64 exec, exec, s[46:47]
	s_and_saveexec_b64 s[46:47], s[28:29]
	s_cbranch_execnz .LBB109_75
.LBB109_59:                             ;   in Loop: Header=BB109_45 Depth=1
	s_or_b64 exec, exec, s[46:47]
	s_and_saveexec_b64 s[46:47], s[30:31]
	s_cbranch_execnz .LBB109_76
.LBB109_60:                             ;   in Loop: Header=BB109_45 Depth=1
	s_or_b64 exec, exec, s[46:47]
	v_ashrrev_i32_e32 v13, 31, v12
	s_and_saveexec_b64 s[46:47], vcc
	s_cbranch_execnz .LBB109_77
.LBB109_61:                             ;   in Loop: Header=BB109_45 Depth=1
	s_or_b64 exec, exec, s[46:47]
	s_and_saveexec_b64 s[46:47], s[0:1]
	s_cbranch_execz .LBB109_44
	s_branch .LBB109_78
.LBB109_62:                             ;   in Loop: Header=BB109_45 Depth=1
	ds_read_b32 v6, v7 offset:32768
	s_waitcnt lgkmcnt(0)
	v_add_u32_e32 v12, v6, v12
	s_or_b64 exec, exec, s[46:47]
	s_and_saveexec_b64 s[46:47], s[4:5]
	s_cbranch_execz .LBB109_47
.LBB109_63:                             ;   in Loop: Header=BB109_45 Depth=1
	ds_read_b32 v6, v7 offset:32776
	s_waitcnt lgkmcnt(0)
	v_add_u32_e32 v12, v12, v6
	s_or_b64 exec, exec, s[46:47]
	s_and_saveexec_b64 s[46:47], s[6:7]
	s_cbranch_execz .LBB109_48
.LBB109_64:                             ;   in Loop: Header=BB109_45 Depth=1
	ds_read_b32 v6, v7 offset:32784
	s_waitcnt lgkmcnt(0)
	v_add_u32_e32 v12, v12, v6
	s_or_b64 exec, exec, s[46:47]
	s_and_saveexec_b64 s[46:47], s[8:9]
	s_cbranch_execz .LBB109_49
.LBB109_65:                             ;   in Loop: Header=BB109_45 Depth=1
	ds_read_b32 v6, v7 offset:32792
	s_waitcnt lgkmcnt(0)
	v_add_u32_e32 v12, v12, v6
	s_or_b64 exec, exec, s[46:47]
	s_and_saveexec_b64 s[46:47], s[10:11]
	s_cbranch_execz .LBB109_50
.LBB109_66:                             ;   in Loop: Header=BB109_45 Depth=1
	ds_read_b32 v6, v7 offset:32800
	s_waitcnt lgkmcnt(0)
	v_add_u32_e32 v12, v12, v6
	s_or_b64 exec, exec, s[46:47]
	s_and_saveexec_b64 s[46:47], s[12:13]
	s_cbranch_execz .LBB109_51
.LBB109_67:                             ;   in Loop: Header=BB109_45 Depth=1
	ds_read_b32 v6, v7 offset:32808
	s_waitcnt lgkmcnt(0)
	v_add_u32_e32 v12, v12, v6
	s_or_b64 exec, exec, s[46:47]
	s_and_saveexec_b64 s[46:47], s[14:15]
	s_cbranch_execz .LBB109_52
.LBB109_68:                             ;   in Loop: Header=BB109_45 Depth=1
	ds_read_b32 v6, v7 offset:32816
	s_waitcnt lgkmcnt(0)
	v_add_u32_e32 v12, v12, v6
	s_or_b64 exec, exec, s[46:47]
	s_and_saveexec_b64 s[46:47], s[16:17]
	s_cbranch_execz .LBB109_53
.LBB109_69:                             ;   in Loop: Header=BB109_45 Depth=1
	ds_read_b32 v6, v7 offset:32824
	s_waitcnt lgkmcnt(0)
	v_add_u32_e32 v12, v12, v6
	s_or_b64 exec, exec, s[46:47]
	s_and_saveexec_b64 s[46:47], s[18:19]
	s_cbranch_execz .LBB109_54
.LBB109_70:                             ;   in Loop: Header=BB109_45 Depth=1
	ds_read_b32 v6, v7 offset:32832
	s_waitcnt lgkmcnt(0)
	v_add_u32_e32 v12, v12, v6
	s_or_b64 exec, exec, s[46:47]
	s_and_saveexec_b64 s[46:47], s[20:21]
	s_cbranch_execz .LBB109_55
.LBB109_71:                             ;   in Loop: Header=BB109_45 Depth=1
	ds_read_b32 v6, v7 offset:32840
	s_waitcnt lgkmcnt(0)
	v_add_u32_e32 v12, v12, v6
	s_or_b64 exec, exec, s[46:47]
	s_and_saveexec_b64 s[46:47], s[22:23]
	s_cbranch_execz .LBB109_56
.LBB109_72:                             ;   in Loop: Header=BB109_45 Depth=1
	ds_read_b32 v6, v7 offset:32848
	s_waitcnt lgkmcnt(0)
	v_add_u32_e32 v12, v12, v6
	s_or_b64 exec, exec, s[46:47]
	s_and_saveexec_b64 s[46:47], s[24:25]
	s_cbranch_execz .LBB109_57
.LBB109_73:                             ;   in Loop: Header=BB109_45 Depth=1
	ds_read_b32 v6, v7 offset:32856
	s_waitcnt lgkmcnt(0)
	v_add_u32_e32 v12, v12, v6
	s_or_b64 exec, exec, s[46:47]
	s_and_saveexec_b64 s[46:47], s[26:27]
	s_cbranch_execz .LBB109_58
.LBB109_74:                             ;   in Loop: Header=BB109_45 Depth=1
	ds_read_b32 v6, v7 offset:32864
	s_waitcnt lgkmcnt(0)
	v_add_u32_e32 v12, v12, v6
	s_or_b64 exec, exec, s[46:47]
	s_and_saveexec_b64 s[46:47], s[28:29]
	s_cbranch_execz .LBB109_59
.LBB109_75:                             ;   in Loop: Header=BB109_45 Depth=1
	ds_read_b32 v6, v7 offset:32872
	s_waitcnt lgkmcnt(0)
	v_add_u32_e32 v12, v12, v6
	s_or_b64 exec, exec, s[46:47]
	s_and_saveexec_b64 s[46:47], s[30:31]
	s_cbranch_execz .LBB109_60
.LBB109_76:                             ;   in Loop: Header=BB109_45 Depth=1
	ds_read_b32 v6, v7 offset:32880
	s_waitcnt lgkmcnt(0)
	v_add_u32_e32 v12, v12, v6
	s_or_b64 exec, exec, s[46:47]
	v_ashrrev_i32_e32 v13, 31, v12
	s_and_saveexec_b64 s[46:47], vcc
	s_cbranch_execz .LBB109_61
.LBB109_77:                             ;   in Loop: Header=BB109_45 Depth=1
	v_add3_u32 v6, v10, -1, v12
	v_lshl_add_u32 v6, v6, 3, 0
	v_add_u32_e32 v15, v10, v12
	v_lshl_add_u32 v15, v15, 3, 0
	ds_write_b64 v6, v[2:3]
	ds_write_b64 v15, v[4:5] offset:16376
	s_or_b64 exec, exec, s[46:47]
	s_and_saveexec_b64 s[46:47], s[0:1]
	s_cbranch_execz .LBB109_44
.LBB109_78:                             ;   in Loop: Header=BB109_45 Depth=1
	ds_write_b64 v7, v[12:13] offset:32888
	s_branch .LBB109_44
.LBB109_79:
	s_or_b64 exec, exec, s[36:37]
	s_lshl_b64 s[0:1], s[44:45], 3
	s_add_u32 s4, s40, s0
	s_addc_u32 s5, s41, s1
	s_load_dwordx4 s[0:3], s[4:5], 0x0
	v_mov_b32_e32 v1, 0
	s_waitcnt lgkmcnt(0)
	s_sub_u32 s4, s2, s0
	s_subb_u32 s5, s3, s1
	v_cmp_gt_i64_e32 vcc, s[4:5], v[0:1]
	s_and_saveexec_b64 s[6:7], vcc
	s_cbranch_execz .LBB109_89
; %bb.80:
	s_sub_u32 s8, s0, s38
	s_subb_u32 s9, s1, 0
	s_and_b32 s6, s4, 7
	s_sub_u32 s0, s0, s2
	s_mov_b32 s7, 0
	s_subb_u32 s1, s1, s3
	s_and_b32 s10, s4, -8
	s_cmp_lg_u64 s[6:7], 0
	v_cmp_lt_u64_e64 s[0:1], s[0:1], -7
	s_cselect_b64 s[2:3], -1, 0
	s_mov_b32 s11, s5
	v_cndmask_b32_e64 v2, 0, 1, s[0:1]
	v_cmp_ne_u32_e64 s[0:1], 1, v2
	v_cndmask_b32_e64 v2, 0, 1, s[2:3]
	s_mov_b64 s[12:13], 0
	v_cmp_ne_u32_e64 s[2:3], 1, v2
	s_mov_b64 s[14:15], 0x400
	s_branch .LBB109_82
.LBB109_81:                             ;   in Loop: Header=BB109_82 Depth=1
	v_lshl_add_u64 v[0:1], v[0:1], 0, s[14:15]
	v_cmp_le_i64_e32 vcc, s[4:5], v[0:1]
	s_waitcnt lgkmcnt(0)
	v_lshl_add_u64 v[2:3], v[6:7], 3, s[34:35]
	s_or_b64 s[12:13], vcc, s[12:13]
	global_store_dwordx2 v[2:3], v[4:5], off
	s_andn2_b64 exec, exec, s[12:13]
	s_cbranch_execz .LBB109_89
.LBB109_82:                             ; =>This Loop Header: Depth=1
                                        ;     Child Loop BB109_84 Depth 2
                                        ;     Child Loop BB109_88 Depth 2
	v_lshl_add_u32 v2, v0, 3, 0
	ds_read2st64_b64 v[2:5], v2 offset1:32
	s_and_b64 vcc, exec, s[0:1]
	v_mov_b64_e32 v[6:7], s[8:9]
	s_mov_b64 s[16:17], 0
	s_cbranch_vccnz .LBB109_86
; %bb.83:                               ;   in Loop: Header=BB109_82 Depth=1
	s_mov_b32 s18, 0
	v_mov_b64_e32 v[6:7], s[8:9]
.LBB109_84:                             ;   Parent Loop BB109_82 Depth=1
                                        ; =>  This Inner Loop Header: Depth=2
	v_mov_b32_e32 v20, s18
	ds_read2_b64 v[8:11], v20 offset1:1
	ds_read2_b64 v[12:15], v20 offset0:2 offset1:3
	ds_read2_b64 v[16:19], v20 offset0:4 offset1:5
	;; [unrolled: 1-line block ×3, first 2 shown]
	v_mov_b32_e32 v25, s7
	s_waitcnt lgkmcnt(3)
	v_cmp_gt_i64_e32 vcc, v[2:3], v[8:9]
	v_mov_b32_e32 v27, s7
	v_mov_b32_e32 v29, s7
	v_cndmask_b32_e64 v24, 0, 1, vcc
	v_cmp_gt_i64_e32 vcc, v[2:3], v[10:11]
	v_lshl_add_u64 v[6:7], v[6:7], 0, v[24:25]
	v_mov_b32_e32 v31, s7
	v_cndmask_b32_e64 v26, 0, 1, vcc
	s_waitcnt lgkmcnt(2)
	v_cmp_gt_i64_e32 vcc, v[2:3], v[12:13]
	v_lshl_add_u64 v[6:7], v[6:7], 0, v[26:27]
	v_mov_b32_e32 v33, s7
	v_cndmask_b32_e64 v28, 0, 1, vcc
	v_cmp_gt_i64_e32 vcc, v[2:3], v[14:15]
	v_lshl_add_u64 v[6:7], v[6:7], 0, v[28:29]
	v_mov_b32_e32 v35, s7
	v_cndmask_b32_e64 v30, 0, 1, vcc
	s_waitcnt lgkmcnt(1)
	v_cmp_gt_i64_e32 vcc, v[2:3], v[16:17]
	v_lshl_add_u64 v[6:7], v[6:7], 0, v[30:31]
	v_mov_b32_e32 v37, s7
	v_cndmask_b32_e64 v32, 0, 1, vcc
	v_cmp_gt_i64_e32 vcc, v[2:3], v[18:19]
	v_lshl_add_u64 v[6:7], v[6:7], 0, v[32:33]
	s_add_u32 s16, s16, 8
	v_cndmask_b32_e64 v34, 0, 1, vcc
	s_waitcnt lgkmcnt(0)
	v_cmp_gt_i64_e32 vcc, v[2:3], v[20:21]
	v_lshl_add_u64 v[6:7], v[6:7], 0, v[34:35]
	v_mov_b32_e32 v39, s7
	v_cndmask_b32_e64 v36, 0, 1, vcc
	v_cmp_gt_i64_e32 vcc, v[2:3], v[22:23]
	s_addc_u32 s17, s17, 0
	s_add_i32 s18, s18, 64
	v_cndmask_b32_e64 v38, 0, 1, vcc
	v_lshl_add_u64 v[6:7], v[6:7], 0, v[36:37]
	s_cmp_eq_u64 s[10:11], s[16:17]
	v_lshl_add_u64 v[6:7], v[6:7], 0, v[38:39]
	s_cbranch_scc0 .LBB109_84
; %bb.85:                               ;   in Loop: Header=BB109_82 Depth=1
	s_mov_b64 s[16:17], s[10:11]
.LBB109_86:                             ;   in Loop: Header=BB109_82 Depth=1
	s_and_b64 vcc, exec, s[2:3]
	s_cbranch_vccnz .LBB109_81
; %bb.87:                               ;   in Loop: Header=BB109_82 Depth=1
	s_lshl_b32 s16, s16, 3
	s_add_i32 s18, s16, 0
	s_mov_b64 s[16:17], s[6:7]
.LBB109_88:                             ;   Parent Loop BB109_82 Depth=1
                                        ; =>  This Inner Loop Header: Depth=2
	v_mov_b32_e32 v8, s18
	ds_read_b64 v[10:11], v8
	s_add_i32 s18, s18, 8
	s_add_u32 s16, s16, -1
	v_mov_b32_e32 v9, s7
	s_addc_u32 s17, s17, -1
	s_waitcnt lgkmcnt(0)
	v_cmp_gt_i64_e32 vcc, v[2:3], v[10:11]
	s_cmp_lg_u64 s[16:17], 0
	s_nop 0
	v_cndmask_b32_e64 v8, 0, 1, vcc
	v_lshl_add_u64 v[6:7], v[6:7], 0, v[8:9]
	s_cbranch_scc1 .LBB109_88
	s_branch .LBB109_81
.LBB109_89:
	s_endpgm
	.section	.rodata,"a",@progbits
	.p2align	6, 0x0
	.amdhsa_kernel _ZN9rocsparseL41csrgemm_numeric_fill_block_per_row_kernelILj1024ELj32ELj2048ELj137ELj64ElldEEvT5_PKS1_S3_NS_24const_host_device_scalarIT6_EEPKT4_S3_PKS5_S9_S3_SB_S6_S9_S3_SB_S9_S3_PS5_21rocsparse_index_base_SD_SD_SD_bbb
		.amdhsa_group_segment_fixed_size 0
		.amdhsa_private_segment_fixed_size 0
		.amdhsa_kernarg_size 156
		.amdhsa_user_sgpr_count 2
		.amdhsa_user_sgpr_dispatch_ptr 0
		.amdhsa_user_sgpr_queue_ptr 0
		.amdhsa_user_sgpr_kernarg_segment_ptr 1
		.amdhsa_user_sgpr_dispatch_id 0
		.amdhsa_user_sgpr_kernarg_preload_length 0
		.amdhsa_user_sgpr_kernarg_preload_offset 0
		.amdhsa_user_sgpr_private_segment_size 0
		.amdhsa_uses_dynamic_stack 0
		.amdhsa_enable_private_segment 0
		.amdhsa_system_sgpr_workgroup_id_x 1
		.amdhsa_system_sgpr_workgroup_id_y 0
		.amdhsa_system_sgpr_workgroup_id_z 0
		.amdhsa_system_sgpr_workgroup_info 0
		.amdhsa_system_vgpr_workitem_id 0
		.amdhsa_next_free_vgpr 40
		.amdhsa_next_free_sgpr 56
		.amdhsa_accum_offset 40
		.amdhsa_reserve_vcc 1
		.amdhsa_float_round_mode_32 0
		.amdhsa_float_round_mode_16_64 0
		.amdhsa_float_denorm_mode_32 3
		.amdhsa_float_denorm_mode_16_64 3
		.amdhsa_dx10_clamp 1
		.amdhsa_ieee_mode 1
		.amdhsa_fp16_overflow 0
		.amdhsa_tg_split 0
		.amdhsa_exception_fp_ieee_invalid_op 0
		.amdhsa_exception_fp_denorm_src 0
		.amdhsa_exception_fp_ieee_div_zero 0
		.amdhsa_exception_fp_ieee_overflow 0
		.amdhsa_exception_fp_ieee_underflow 0
		.amdhsa_exception_fp_ieee_inexact 0
		.amdhsa_exception_int_div_zero 0
	.end_amdhsa_kernel
	.section	.text._ZN9rocsparseL41csrgemm_numeric_fill_block_per_row_kernelILj1024ELj32ELj2048ELj137ELj64ElldEEvT5_PKS1_S3_NS_24const_host_device_scalarIT6_EEPKT4_S3_PKS5_S9_S3_SB_S6_S9_S3_SB_S9_S3_PS5_21rocsparse_index_base_SD_SD_SD_bbb,"axG",@progbits,_ZN9rocsparseL41csrgemm_numeric_fill_block_per_row_kernelILj1024ELj32ELj2048ELj137ELj64ElldEEvT5_PKS1_S3_NS_24const_host_device_scalarIT6_EEPKT4_S3_PKS5_S9_S3_SB_S6_S9_S3_SB_S9_S3_PS5_21rocsparse_index_base_SD_SD_SD_bbb,comdat
.Lfunc_end109:
	.size	_ZN9rocsparseL41csrgemm_numeric_fill_block_per_row_kernelILj1024ELj32ELj2048ELj137ELj64ElldEEvT5_PKS1_S3_NS_24const_host_device_scalarIT6_EEPKT4_S3_PKS5_S9_S3_SB_S6_S9_S3_SB_S9_S3_PS5_21rocsparse_index_base_SD_SD_SD_bbb, .Lfunc_end109-_ZN9rocsparseL41csrgemm_numeric_fill_block_per_row_kernelILj1024ELj32ELj2048ELj137ELj64ElldEEvT5_PKS1_S3_NS_24const_host_device_scalarIT6_EEPKT4_S3_PKS5_S9_S3_SB_S6_S9_S3_SB_S9_S3_PS5_21rocsparse_index_base_SD_SD_SD_bbb
                                        ; -- End function
	.set _ZN9rocsparseL41csrgemm_numeric_fill_block_per_row_kernelILj1024ELj32ELj2048ELj137ELj64ElldEEvT5_PKS1_S3_NS_24const_host_device_scalarIT6_EEPKT4_S3_PKS5_S9_S3_SB_S6_S9_S3_SB_S9_S3_PS5_21rocsparse_index_base_SD_SD_SD_bbb.num_vgpr, 40
	.set _ZN9rocsparseL41csrgemm_numeric_fill_block_per_row_kernelILj1024ELj32ELj2048ELj137ELj64ElldEEvT5_PKS1_S3_NS_24const_host_device_scalarIT6_EEPKT4_S3_PKS5_S9_S3_SB_S6_S9_S3_SB_S9_S3_PS5_21rocsparse_index_base_SD_SD_SD_bbb.num_agpr, 0
	.set _ZN9rocsparseL41csrgemm_numeric_fill_block_per_row_kernelILj1024ELj32ELj2048ELj137ELj64ElldEEvT5_PKS1_S3_NS_24const_host_device_scalarIT6_EEPKT4_S3_PKS5_S9_S3_SB_S6_S9_S3_SB_S9_S3_PS5_21rocsparse_index_base_SD_SD_SD_bbb.numbered_sgpr, 56
	.set _ZN9rocsparseL41csrgemm_numeric_fill_block_per_row_kernelILj1024ELj32ELj2048ELj137ELj64ElldEEvT5_PKS1_S3_NS_24const_host_device_scalarIT6_EEPKT4_S3_PKS5_S9_S3_SB_S6_S9_S3_SB_S9_S3_PS5_21rocsparse_index_base_SD_SD_SD_bbb.num_named_barrier, 0
	.set _ZN9rocsparseL41csrgemm_numeric_fill_block_per_row_kernelILj1024ELj32ELj2048ELj137ELj64ElldEEvT5_PKS1_S3_NS_24const_host_device_scalarIT6_EEPKT4_S3_PKS5_S9_S3_SB_S6_S9_S3_SB_S9_S3_PS5_21rocsparse_index_base_SD_SD_SD_bbb.private_seg_size, 0
	.set _ZN9rocsparseL41csrgemm_numeric_fill_block_per_row_kernelILj1024ELj32ELj2048ELj137ELj64ElldEEvT5_PKS1_S3_NS_24const_host_device_scalarIT6_EEPKT4_S3_PKS5_S9_S3_SB_S6_S9_S3_SB_S9_S3_PS5_21rocsparse_index_base_SD_SD_SD_bbb.uses_vcc, 1
	.set _ZN9rocsparseL41csrgemm_numeric_fill_block_per_row_kernelILj1024ELj32ELj2048ELj137ELj64ElldEEvT5_PKS1_S3_NS_24const_host_device_scalarIT6_EEPKT4_S3_PKS5_S9_S3_SB_S6_S9_S3_SB_S9_S3_PS5_21rocsparse_index_base_SD_SD_SD_bbb.uses_flat_scratch, 0
	.set _ZN9rocsparseL41csrgemm_numeric_fill_block_per_row_kernelILj1024ELj32ELj2048ELj137ELj64ElldEEvT5_PKS1_S3_NS_24const_host_device_scalarIT6_EEPKT4_S3_PKS5_S9_S3_SB_S6_S9_S3_SB_S9_S3_PS5_21rocsparse_index_base_SD_SD_SD_bbb.has_dyn_sized_stack, 0
	.set _ZN9rocsparseL41csrgemm_numeric_fill_block_per_row_kernelILj1024ELj32ELj2048ELj137ELj64ElldEEvT5_PKS1_S3_NS_24const_host_device_scalarIT6_EEPKT4_S3_PKS5_S9_S3_SB_S6_S9_S3_SB_S9_S3_PS5_21rocsparse_index_base_SD_SD_SD_bbb.has_recursion, 0
	.set _ZN9rocsparseL41csrgemm_numeric_fill_block_per_row_kernelILj1024ELj32ELj2048ELj137ELj64ElldEEvT5_PKS1_S3_NS_24const_host_device_scalarIT6_EEPKT4_S3_PKS5_S9_S3_SB_S6_S9_S3_SB_S9_S3_PS5_21rocsparse_index_base_SD_SD_SD_bbb.has_indirect_call, 0
	.section	.AMDGPU.csdata,"",@progbits
; Kernel info:
; codeLenInByte = 3148
; TotalNumSgprs: 62
; NumVgprs: 40
; NumAgprs: 0
; TotalNumVgprs: 40
; ScratchSize: 0
; MemoryBound: 0
; FloatMode: 240
; IeeeMode: 1
; LDSByteSize: 0 bytes/workgroup (compile time only)
; SGPRBlocks: 7
; VGPRBlocks: 4
; NumSGPRsForWavesPerEU: 62
; NumVGPRsForWavesPerEU: 40
; AccumOffset: 40
; Occupancy: 8
; WaveLimiterHint : 1
; COMPUTE_PGM_RSRC2:SCRATCH_EN: 0
; COMPUTE_PGM_RSRC2:USER_SGPR: 2
; COMPUTE_PGM_RSRC2:TRAP_HANDLER: 0
; COMPUTE_PGM_RSRC2:TGID_X_EN: 1
; COMPUTE_PGM_RSRC2:TGID_Y_EN: 0
; COMPUTE_PGM_RSRC2:TGID_Z_EN: 0
; COMPUTE_PGM_RSRC2:TIDIG_COMP_CNT: 0
; COMPUTE_PGM_RSRC3_GFX90A:ACCUM_OFFSET: 9
; COMPUTE_PGM_RSRC3_GFX90A:TG_SPLIT: 0
	.section	.text._ZN9rocsparseL41csrgemm_numeric_fill_block_per_row_kernelILj1024ELj64ELj4096ELj137ELj32ElldEEvT5_PKS1_S3_NS_24const_host_device_scalarIT6_EEPKT4_S3_PKS5_S9_S3_SB_S6_S9_S3_SB_S9_S3_PS5_21rocsparse_index_base_SD_SD_SD_bbb,"axG",@progbits,_ZN9rocsparseL41csrgemm_numeric_fill_block_per_row_kernelILj1024ELj64ELj4096ELj137ELj32ElldEEvT5_PKS1_S3_NS_24const_host_device_scalarIT6_EEPKT4_S3_PKS5_S9_S3_SB_S6_S9_S3_SB_S9_S3_PS5_21rocsparse_index_base_SD_SD_SD_bbb,comdat
	.globl	_ZN9rocsparseL41csrgemm_numeric_fill_block_per_row_kernelILj1024ELj64ELj4096ELj137ELj32ElldEEvT5_PKS1_S3_NS_24const_host_device_scalarIT6_EEPKT4_S3_PKS5_S9_S3_SB_S6_S9_S3_SB_S9_S3_PS5_21rocsparse_index_base_SD_SD_SD_bbb ; -- Begin function _ZN9rocsparseL41csrgemm_numeric_fill_block_per_row_kernelILj1024ELj64ELj4096ELj137ELj32ElldEEvT5_PKS1_S3_NS_24const_host_device_scalarIT6_EEPKT4_S3_PKS5_S9_S3_SB_S6_S9_S3_SB_S9_S3_PS5_21rocsparse_index_base_SD_SD_SD_bbb
	.p2align	8
	.type	_ZN9rocsparseL41csrgemm_numeric_fill_block_per_row_kernelILj1024ELj64ELj4096ELj137ELj32ElldEEvT5_PKS1_S3_NS_24const_host_device_scalarIT6_EEPKT4_S3_PKS5_S9_S3_SB_S6_S9_S3_SB_S9_S3_PS5_21rocsparse_index_base_SD_SD_SD_bbb,@function
_ZN9rocsparseL41csrgemm_numeric_fill_block_per_row_kernelILj1024ELj64ELj4096ELj137ELj32ElldEEvT5_PKS1_S3_NS_24const_host_device_scalarIT6_EEPKT4_S3_PKS5_S9_S3_SB_S6_S9_S3_SB_S9_S3_PS5_21rocsparse_index_base_SD_SD_SD_bbb: ; @_ZN9rocsparseL41csrgemm_numeric_fill_block_per_row_kernelILj1024ELj64ELj4096ELj137ELj32ElldEEvT5_PKS1_S3_NS_24const_host_device_scalarIT6_EEPKT4_S3_PKS5_S9_S3_SB_S6_S9_S3_SB_S9_S3_PS5_21rocsparse_index_base_SD_SD_SD_bbb
; %bb.0:
	s_load_dword s3, s[0:1], 0x98
	s_load_dwordx4 s[48:51], s[0:1], 0x88
	s_load_dwordx2 s[4:5], s[0:1], 0x18
	s_load_dwordx2 s[12:13], s[0:1], 0x50
	s_waitcnt lgkmcnt(0)
	s_bitcmp1_b32 s3, 0
	s_cselect_b64 s[28:29], -1, 0
	s_bitcmp1_b32 s3, 16
	s_cselect_b64 s[14:15], -1, 0
	s_xor_b64 s[6:7], s[28:29], -1
	s_or_b64 s[6:7], s[14:15], s[6:7]
	s_and_b64 s[8:9], s[28:29], exec
	s_cselect_b32 s9, s5, 0
	s_cselect_b32 s8, s4, 0
	s_and_b64 vcc, exec, s[6:7]
	v_mov_b64_e32 v[4:5], s[8:9]
	s_cbranch_vccnz .LBB110_2
; %bb.1:
	v_mov_b64_e32 v[2:3], s[4:5]
	flat_load_dwordx2 v[4:5], v[2:3]
.LBB110_2:
	s_load_dwordx2 s[4:5], s[0:1], 0x80
                                        ; implicit-def: $vgpr40 : SGPR spill to VGPR lane
	s_bitcmp1_b32 s3, 8
	s_cselect_b64 s[26:27], -1, 0
	s_xor_b64 s[16:17], s[26:27], -1
	s_or_b64 s[14:15], s[14:15], s[16:17]
	s_waitcnt lgkmcnt(0)
	v_writelane_b32 v40, s4, 0
	s_and_b64 s[16:17], s[26:27], exec
	s_cselect_b32 s17, s13, 0
	v_writelane_b32 v40, s5, 1
	s_load_dwordx2 s[4:5], s[0:1], 0x70
	s_cselect_b32 s16, s12, 0
	s_and_b64 vcc, exec, s[14:15]
	v_mov_b64_e32 v[2:3], s[16:17]
	s_waitcnt lgkmcnt(0)
	v_writelane_b32 v40, s4, 2
	s_nop 1
	v_writelane_b32 v40, s5, 3
	s_load_dwordx2 s[24:25], s[0:1], 0x58
	s_load_dwordx4 s[20:23], s[0:1], 0x8
	s_load_dwordx8 s[4:11], s[0:1], 0x20
	s_cbranch_vccnz .LBB110_4
; %bb.3:
	v_mov_b64_e32 v[2:3], s[12:13]
	flat_load_dwordx2 v[2:3], v[2:3]
.LBB110_4:
	s_load_dwordx4 s[12:15], s[0:1], 0x60
	s_load_dwordx4 s[16:19], s[0:1], 0x40
	s_load_dwordx2 s[72:73], s[0:1], 0x0
	v_or_b32_e32 v1, 0xfffffc00, v0
	v_mov_b32_e32 v6, 0
	v_lshl_add_u32 v26, v0, 3, 0
	s_mov_b64 s[0:1], 0
	s_waitcnt lgkmcnt(0)
	v_mov_b64_e32 v[8:9], s[72:73]
	v_mov_b32_e32 v7, v6
	s_movk_i32 s3, 0xbff
	v_mov_b32_e32 v10, v26
	v_mov_b32_e32 v11, v1
.LBB110_5:                              ; =>This Inner Loop Header: Depth=1
	v_add_u32_e32 v11, 0x400, v11
	v_cmp_lt_u32_e32 vcc, s3, v11
	ds_write2st64_b64 v10, v[8:9], v[6:7] offset1:64
	s_or_b64 s[0:1], vcc, s[0:1]
	v_add_u32_e32 v10, 0x2000, v10
	s_andn2_b64 exec, exec, s[0:1]
	s_cbranch_execnz .LBB110_5
; %bb.6:
	s_or_b64 exec, exec, s[0:1]
	s_waitcnt lgkmcnt(0)
	s_barrier
	s_load_dwordx2 s[0:1], s[20:21], 0x0
	s_mov_b32 s3, 0
	s_waitcnt lgkmcnt(0)
	s_lshl_b64 s[0:1], s[0:1], 3
	s_add_u32 s20, s22, s0
	s_addc_u32 s21, s23, s1
	s_lshl_b64 s[0:1], s[2:3], 3
	s_add_u32 s0, s20, s0
	s_addc_u32 s1, s21, s1
	s_load_dwordx2 s[46:47], s[0:1], 0x0
	s_and_b64 vcc, exec, s[28:29]
	s_cbranch_vccz .LBB110_26
; %bb.7:
	s_waitcnt lgkmcnt(0)
	s_lshl_b64 s[0:1], s[46:47], 3
	s_add_u32 s0, s4, s0
	s_addc_u32 s1, s5, s1
	s_load_dwordx4 s[20:23], s[0:1], 0x0
	v_lshrrev_b32_e32 v6, 6, v0
	v_subrev_co_u32_e32 v6, vcc, s48, v6
	s_waitcnt lgkmcnt(0)
	s_sub_u32 s0, s22, s48
	v_subb_co_u32_e64 v7, s[2:3], 0, 0, vcc
	s_subb_u32 s1, s23, 0
	v_lshl_add_u64 v[6:7], s[20:21], 0, v[6:7]
	v_cmp_gt_i64_e32 vcc, s[0:1], v[6:7]
	s_and_saveexec_b64 s[2:3], vcc
	s_cbranch_execz .LBB110_25
; %bb.8:
	v_and_b32_e32 v8, 63, v0
	v_subrev_co_u32_e32 v8, vcc, s49, v8
	s_mov_b32 s33, s49
	s_nop 0
	v_subb_co_u32_e64 v9, s[4:5], 0, 0, vcc
	s_mov_b64 s[4:5], 0
	s_movk_i32 s44, 0x89
	s_branch .LBB110_10
.LBB110_9:                              ;   in Loop: Header=BB110_10 Depth=1
	s_or_b64 exec, exec, s[20:21]
	v_lshl_add_u64 v[6:7], v[6:7], 0, 16
	v_cmp_le_i64_e32 vcc, s[0:1], v[6:7]
	s_or_b64 s[4:5], vcc, s[4:5]
	s_andn2_b64 exec, exec, s[4:5]
	s_cbranch_execz .LBB110_25
.LBB110_10:                             ; =>This Loop Header: Depth=1
                                        ;     Child Loop BB110_14 Depth 2
                                        ;       Child Loop BB110_17 Depth 3
	v_lshl_add_u64 v[10:11], v[6:7], 3, s[6:7]
	global_load_dwordx2 v[10:11], v[10:11], off
	s_waitcnt vmcnt(0)
	v_subrev_co_u32_e32 v10, vcc, s48, v10
	s_nop 1
	v_subbrev_co_u32_e32 v11, vcc, 0, v11, vcc
	v_lshl_add_u64 v[10:11], v[10:11], 3, s[10:11]
	global_load_dwordx4 v[12:15], v[10:11], off
	s_waitcnt vmcnt(0)
	v_subrev_co_u32_e32 v10, vcc, s33, v14
	s_nop 1
	v_subbrev_co_u32_e32 v11, vcc, 0, v15, vcc
	v_lshl_add_u64 v[12:13], v[12:13], 0, v[8:9]
	v_cmp_lt_i64_e32 vcc, v[12:13], v[10:11]
	s_and_saveexec_b64 s[20:21], vcc
	s_cbranch_execz .LBB110_9
; %bb.11:                               ;   in Loop: Header=BB110_10 Depth=1
	v_lshl_add_u64 v[14:15], v[6:7], 3, s[8:9]
	global_load_dwordx2 v[14:15], v[14:15], off
	s_mov_b64 s[22:23], 0
	s_waitcnt vmcnt(0)
	v_mul_f64 v[14:15], v[4:5], v[14:15]
	s_branch .LBB110_14
.LBB110_12:                             ;   in Loop: Header=BB110_14 Depth=2
	s_or_b64 exec, exec, s[30:31]
.LBB110_13:                             ;   in Loop: Header=BB110_14 Depth=2
	s_or_b64 exec, exec, s[28:29]
	s_waitcnt vmcnt(0)
	v_mul_f64 v[16:17], v[14:15], v[16:17]
	v_lshl_add_u32 v18, v20, 3, 0
	ds_add_f64 v18, v[16:17] offset:32768
	v_lshl_add_u64 v[12:13], v[12:13], 0, 64
	v_cmp_ge_i64_e32 vcc, v[12:13], v[10:11]
	s_or_b64 s[22:23], vcc, s[22:23]
	s_andn2_b64 exec, exec, s[22:23]
	s_cbranch_execz .LBB110_9
.LBB110_14:                             ;   Parent Loop BB110_10 Depth=1
                                        ; =>  This Loop Header: Depth=2
                                        ;       Child Loop BB110_17 Depth 3
	v_lshlrev_b64 v[16:17], 3, v[12:13]
	v_lshl_add_u64 v[18:19], s[16:17], 0, v[16:17]
	global_load_dwordx2 v[18:19], v[18:19], off
	v_lshl_add_u64 v[16:17], s[18:19], 0, v[16:17]
	global_load_dwordx2 v[16:17], v[16:17], off
	s_waitcnt vmcnt(1)
	v_subrev_co_u32_e32 v18, vcc, s33, v18
	v_mul_lo_u32 v20, v18, s44
	v_and_b32_e32 v20, 0xfff, v20
	v_lshl_add_u32 v27, v20, 3, 0
	ds_read_b64 v[24:25], v27
	v_subbrev_co_u32_e32 v19, vcc, 0, v19, vcc
	s_waitcnt lgkmcnt(0)
	v_cmp_ne_u64_e32 vcc, v[24:25], v[18:19]
	s_and_saveexec_b64 s[28:29], vcc
	s_cbranch_execz .LBB110_13
; %bb.15:                               ;   in Loop: Header=BB110_14 Depth=2
	s_mov_b64 s[30:31], 0
                                        ; implicit-def: $sgpr34_sgpr35
                                        ; implicit-def: $sgpr36_sgpr37
	s_branch .LBB110_17
.LBB110_16:                             ;   in Loop: Header=BB110_17 Depth=3
	s_or_b64 exec, exec, s[42:43]
	s_and_b64 s[38:39], exec, s[40:41]
	s_or_b64 s[30:31], s[38:39], s[30:31]
	s_andn2_b64 s[34:35], s[34:35], exec
	s_and_b64 s[38:39], s[36:37], exec
	s_or_b64 s[34:35], s[34:35], s[38:39]
	s_andn2_b64 exec, exec, s[30:31]
	s_cbranch_execz .LBB110_23
.LBB110_17:                             ;   Parent Loop BB110_10 Depth=1
                                        ;     Parent Loop BB110_14 Depth=2
                                        ; =>    This Inner Loop Header: Depth=3
	v_mov_b64_e32 v[22:23], v[20:21]
	v_cmp_ne_u64_e32 vcc, s[72:73], v[24:25]
	s_mov_b64 s[38:39], 0
                                        ; implicit-def: $vgpr20_vgpr21
	s_and_saveexec_b64 s[40:41], vcc
	s_xor_b64 s[40:41], exec, s[40:41]
; %bb.18:                               ;   in Loop: Header=BB110_17 Depth=3
	v_add_u32_e32 v20, 1, v22
	s_mov_b64 s[38:39], exec
	v_and_b32_e32 v20, 0xfff, v20
                                        ; implicit-def: $vgpr27
; %bb.19:                               ;   in Loop: Header=BB110_17 Depth=3
	s_andn2_saveexec_b64 s[40:41], s[40:41]
	s_cbranch_execz .LBB110_21
; %bb.20:                               ;   in Loop: Header=BB110_17 Depth=3
	v_mov_b64_e32 v[20:21], s[72:73]
	ds_cmpst_rtn_b64 v[20:21], v27, v[20:21], v[18:19]
	s_andn2_b64 s[38:39], s[38:39], exec
	s_waitcnt lgkmcnt(0)
	v_cmp_ne_u64_e32 vcc, s[72:73], v[20:21]
	s_and_b64 s[42:43], vcc, exec
	s_or_b64 s[38:39], s[38:39], s[42:43]
	v_mov_b64_e32 v[20:21], v[22:23]
.LBB110_21:                             ;   in Loop: Header=BB110_17 Depth=3
	s_or_b64 exec, exec, s[40:41]
	s_mov_b64 s[40:41], -1
	s_or_b64 s[36:37], s[36:37], exec
                                        ; implicit-def: $vgpr27
                                        ; implicit-def: $vgpr24_vgpr25
	s_and_saveexec_b64 s[42:43], s[38:39]
	s_cbranch_execz .LBB110_16
; %bb.22:                               ;   in Loop: Header=BB110_17 Depth=3
	v_lshl_add_u32 v27, v20, 3, 0
	ds_read_b64 v[24:25], v27
	s_andn2_b64 s[36:37], s[36:37], exec
	s_waitcnt lgkmcnt(0)
	v_cmp_eq_u64_e32 vcc, v[24:25], v[18:19]
	s_orn2_b64 s[40:41], vcc, exec
	s_branch .LBB110_16
.LBB110_23:                             ;   in Loop: Header=BB110_14 Depth=2
	s_or_b64 exec, exec, s[30:31]
	s_and_saveexec_b64 s[30:31], s[34:35]
	s_xor_b64 s[30:31], exec, s[30:31]
	s_cbranch_execz .LBB110_12
; %bb.24:                               ;   in Loop: Header=BB110_14 Depth=2
	v_mov_b32_e32 v20, v22
	s_branch .LBB110_12
.LBB110_25:
	s_or_b64 exec, exec, s[2:3]
.LBB110_26:
	s_andn2_b64 vcc, exec, s[26:27]
	s_cbranch_vccnz .LBB110_43
; %bb.27:
	s_waitcnt lgkmcnt(0)
	s_lshl_b64 s[0:1], s[46:47], 3
	s_add_u32 s0, s24, s0
	s_addc_u32 s1, s25, s1
	s_load_dwordx4 s[4:7], s[0:1], 0x0
	s_waitcnt vmcnt(0)
	v_subrev_co_u32_e32 v4, vcc, s51, v0
	s_waitcnt lgkmcnt(0)
	s_sub_u32 s0, s6, s51
	v_subb_co_u32_e64 v5, s[2:3], 0, 0, vcc
	s_subb_u32 s1, s7, 0
	v_lshl_add_u64 v[4:5], s[4:5], 0, v[4:5]
	v_cmp_gt_i64_e32 vcc, s[0:1], v[4:5]
	s_and_saveexec_b64 s[2:3], vcc
	s_cbranch_execz .LBB110_42
; %bb.28:
	s_mov_b32 s26, s51
	s_mov_b64 s[4:5], 0
	s_movk_i32 s27, 0x89
	s_mov_b64 s[6:7], 0x400
	s_branch .LBB110_31
.LBB110_29:                             ;   in Loop: Header=BB110_31 Depth=1
	s_or_b64 exec, exec, s[10:11]
.LBB110_30:                             ;   in Loop: Header=BB110_31 Depth=1
	s_or_b64 exec, exec, s[8:9]
	s_waitcnt vmcnt(0)
	v_mul_f64 v[6:7], v[2:3], v[6:7]
	v_lshl_add_u32 v8, v10, 3, 0
	ds_add_f64 v8, v[6:7] offset:32768
	v_lshl_add_u64 v[4:5], v[4:5], 0, s[6:7]
	v_cmp_le_i64_e32 vcc, s[0:1], v[4:5]
	s_or_b64 s[4:5], vcc, s[4:5]
	s_andn2_b64 exec, exec, s[4:5]
	s_cbranch_execz .LBB110_42
.LBB110_31:                             ; =>This Loop Header: Depth=1
                                        ;     Child Loop BB110_34 Depth 2
	v_lshlrev_b64 v[6:7], 3, v[4:5]
	v_lshl_add_u64 v[8:9], s[12:13], 0, v[6:7]
	global_load_dwordx2 v[8:9], v[8:9], off
	v_lshl_add_u64 v[6:7], s[14:15], 0, v[6:7]
	global_load_dwordx2 v[6:7], v[6:7], off
	s_waitcnt vmcnt(1)
	v_subrev_co_u32_e32 v8, vcc, s26, v8
	v_mul_lo_u32 v10, v8, s27
	v_and_b32_e32 v10, 0xfff, v10
	v_lshl_add_u32 v16, v10, 3, 0
	ds_read_b64 v[14:15], v16
	v_subbrev_co_u32_e32 v9, vcc, 0, v9, vcc
	s_waitcnt lgkmcnt(0)
	v_cmp_ne_u64_e32 vcc, v[14:15], v[8:9]
	s_and_saveexec_b64 s[8:9], vcc
	s_cbranch_execz .LBB110_30
; %bb.32:                               ;   in Loop: Header=BB110_31 Depth=1
	s_mov_b64 s[10:11], 0
                                        ; implicit-def: $sgpr16_sgpr17
                                        ; implicit-def: $sgpr18_sgpr19
	s_branch .LBB110_34
.LBB110_33:                             ;   in Loop: Header=BB110_34 Depth=2
	s_or_b64 exec, exec, s[24:25]
	s_and_b64 s[20:21], exec, s[22:23]
	s_or_b64 s[10:11], s[20:21], s[10:11]
	s_andn2_b64 s[16:17], s[16:17], exec
	s_and_b64 s[20:21], s[18:19], exec
	s_or_b64 s[16:17], s[16:17], s[20:21]
	s_andn2_b64 exec, exec, s[10:11]
	s_cbranch_execz .LBB110_40
.LBB110_34:                             ;   Parent Loop BB110_31 Depth=1
                                        ; =>  This Inner Loop Header: Depth=2
	v_mov_b64_e32 v[12:13], v[10:11]
	v_cmp_ne_u64_e32 vcc, s[72:73], v[14:15]
	s_mov_b64 s[20:21], 0
                                        ; implicit-def: $vgpr10_vgpr11
	s_and_saveexec_b64 s[22:23], vcc
	s_xor_b64 s[22:23], exec, s[22:23]
; %bb.35:                               ;   in Loop: Header=BB110_34 Depth=2
	v_add_u32_e32 v10, 1, v12
	s_mov_b64 s[20:21], exec
	v_and_b32_e32 v10, 0xfff, v10
                                        ; implicit-def: $vgpr16
; %bb.36:                               ;   in Loop: Header=BB110_34 Depth=2
	s_andn2_saveexec_b64 s[22:23], s[22:23]
	s_cbranch_execz .LBB110_38
; %bb.37:                               ;   in Loop: Header=BB110_34 Depth=2
	v_mov_b64_e32 v[10:11], s[72:73]
	ds_cmpst_rtn_b64 v[10:11], v16, v[10:11], v[8:9]
	s_andn2_b64 s[20:21], s[20:21], exec
	s_waitcnt lgkmcnt(0)
	v_cmp_ne_u64_e32 vcc, s[72:73], v[10:11]
	s_and_b64 s[24:25], vcc, exec
	s_or_b64 s[20:21], s[20:21], s[24:25]
	v_mov_b64_e32 v[10:11], v[12:13]
.LBB110_38:                             ;   in Loop: Header=BB110_34 Depth=2
	s_or_b64 exec, exec, s[22:23]
	s_mov_b64 s[22:23], -1
	s_or_b64 s[18:19], s[18:19], exec
                                        ; implicit-def: $vgpr16
                                        ; implicit-def: $vgpr14_vgpr15
	s_and_saveexec_b64 s[24:25], s[20:21]
	s_cbranch_execz .LBB110_33
; %bb.39:                               ;   in Loop: Header=BB110_34 Depth=2
	v_lshl_add_u32 v16, v10, 3, 0
	ds_read_b64 v[14:15], v16
	s_andn2_b64 s[18:19], s[18:19], exec
	s_waitcnt lgkmcnt(0)
	v_cmp_eq_u64_e32 vcc, v[14:15], v[8:9]
	s_orn2_b64 s[22:23], vcc, exec
	s_branch .LBB110_33
.LBB110_40:                             ;   in Loop: Header=BB110_31 Depth=1
	s_or_b64 exec, exec, s[10:11]
	s_and_saveexec_b64 s[10:11], s[16:17]
	s_xor_b64 s[10:11], exec, s[10:11]
	s_cbranch_execz .LBB110_29
; %bb.41:                               ;   in Loop: Header=BB110_31 Depth=1
	v_mov_b32_e32 v10, v12
	s_branch .LBB110_29
.LBB110_42:
	s_or_b64 exec, exec, s[2:3]
.LBB110_43:
	s_movk_i32 s33, 0x25f
	v_cmp_lt_u32_e64 s[34:35], s33, v0
	s_movk_i32 s33, 0x27f
	v_cmp_lt_u32_e64 s[36:37], s33, v0
	s_movk_i32 s33, 0x29f
	s_waitcnt lgkmcnt(0)
	v_writelane_b32 v40, s46, 4
	v_cmp_lt_u32_e64 s[38:39], s33, v0
	s_movk_i32 s33, 0x2bf
	v_writelane_b32 v40, s47, 5
	v_cmp_lt_u32_e64 s[40:41], s33, v0
	s_movk_i32 s33, 0x2df
	;; [unrolled: 3-line block ×6, first 2 shown]
	v_cmp_lt_u32_e64 s[50:51], s33, v0
	s_movk_i32 s33, 0x37f
	s_waitcnt vmcnt(0)
	v_mbcnt_lo_u32_b32 v2, -1, 0
	v_cmp_lt_u32_e64 s[52:53], s33, v0
	s_movk_i32 s33, 0x39f
	v_mbcnt_hi_u32_b32 v2, -1, v2
	v_cmp_lt_u32_e64 s[54:55], s33, v0
	s_movk_i32 s33, 0x3bf
	v_sub_u32_e32 v2, 63, v2
	s_add_i32 s0, 0, 0x10000
	v_cmp_lt_u32_e64 s[56:57], s33, v0
	s_movk_i32 s33, 0x3df
	v_lshrrev_b64 v[8:9], v2, -1
	v_lshrrev_b32_e32 v2, 2, v0
	v_writelane_b32 v40, s0, 10
	v_cmp_lt_u32_e64 s[58:59], s33, v0
	s_add_i32 s33, 0, 0x10008
	v_and_b32_e32 v2, 0xf8, v2
	v_writelane_b32 v40, s33, 11
	s_add_i32 s33, 0, 0x10010
	v_add_u32_e32 v14, s0, v2
	s_movk_i32 s0, 0x3ff
	v_writelane_b32 v40, s33, 12
	s_add_i32 s33, 0, 0x10018
	v_cmp_eq_u32_e32 vcc, s0, v0
	s_movk_i32 s0, 0x5f
	s_movk_i32 s2, 0x7f
	;; [unrolled: 1-line block ×16, first 2 shown]
	v_writelane_b32 v40, s33, 13
	s_add_i32 s33, 0, 0x10028
	v_mov_b32_e32 v7, 0
	v_cmp_lt_u32_e64 s[0:1], s0, v0
	v_cmp_lt_u32_e64 s[2:3], s2, v0
	;; [unrolled: 1-line block ×16, first 2 shown]
	v_mov_b64_e32 v[10:11], 0
	s_add_i32 s81, 0, 0x10020
	v_writelane_b32 v40, s33, 14
	s_add_i32 s84, 0, 0x10030
	s_add_i32 s85, 0, 0x10038
	;; [unrolled: 1-line block ×26, first 2 shown]
	v_cmp_lt_u32_e64 s[60:61], 31, v0
	v_cmp_lt_u32_e64 s[62:63], 63, v0
	s_mov_b64 s[76:77], 0
	s_barrier
	s_branch .LBB110_45
.LBB110_44:                             ;   in Loop: Header=BB110_45 Depth=1
	s_or_b64 exec, exec, s[64:65]
	v_mov_b32_e32 v2, s80
	s_waitcnt lgkmcnt(0)
	s_barrier
	ds_read_b64 v[2:3], v2
	v_add_u32_e32 v1, 0x400, v1
	s_movk_i32 s64, 0xbff
	v_cmp_lt_u32_e64 s[64:65], s64, v1
	s_or_b64 s[76:77], s[64:65], s[76:77]
	s_waitcnt lgkmcnt(0)
	v_lshl_add_u64 v[10:11], v[2:3], 0, v[10:11]
	v_add_u32_e32 v26, 0x2000, v26
	s_andn2_b64 exec, exec, s[76:77]
	s_cbranch_execz .LBB110_111
.LBB110_45:                             ; =>This Inner Loop Header: Depth=1
	ds_read2st64_b64 v[2:5], v26 offset1:64
	s_waitcnt lgkmcnt(0)
	s_barrier
	v_cmp_gt_i64_e64 s[64:65], s[72:73], v[2:3]
	s_bcnt1_i32_b64 s78, s[64:65]
	s_nop 0
	v_and_b32_e32 v13, s64, v8
	v_and_b32_e32 v12, s65, v9
	v_bcnt_u32_b32 v13, v13, 0
	v_mov_b32_e32 v6, s78
	v_bcnt_u32_b32 v12, v12, v13
	ds_write_b64 v14, v[6:7]
	s_waitcnt lgkmcnt(0)
	s_barrier
	s_and_saveexec_b64 s[78:79], s[60:61]
	s_cbranch_execnz .LBB110_78
; %bb.46:                               ;   in Loop: Header=BB110_45 Depth=1
	s_or_b64 exec, exec, s[78:79]
	s_and_saveexec_b64 s[78:79], s[62:63]
	s_cbranch_execnz .LBB110_79
.LBB110_47:                             ;   in Loop: Header=BB110_45 Depth=1
	s_or_b64 exec, exec, s[78:79]
	s_and_saveexec_b64 s[78:79], s[0:1]
	s_cbranch_execnz .LBB110_80
.LBB110_48:                             ;   in Loop: Header=BB110_45 Depth=1
	s_or_b64 exec, exec, s[78:79]
	s_and_saveexec_b64 s[78:79], s[2:3]
	s_cbranch_execnz .LBB110_81
.LBB110_49:                             ;   in Loop: Header=BB110_45 Depth=1
	s_or_b64 exec, exec, s[78:79]
	s_and_saveexec_b64 s[78:79], s[4:5]
	s_cbranch_execnz .LBB110_82
.LBB110_50:                             ;   in Loop: Header=BB110_45 Depth=1
	s_or_b64 exec, exec, s[78:79]
	s_and_saveexec_b64 s[78:79], s[6:7]
	s_cbranch_execnz .LBB110_83
.LBB110_51:                             ;   in Loop: Header=BB110_45 Depth=1
	s_or_b64 exec, exec, s[78:79]
	s_and_saveexec_b64 s[78:79], s[8:9]
	s_cbranch_execnz .LBB110_84
.LBB110_52:                             ;   in Loop: Header=BB110_45 Depth=1
	s_or_b64 exec, exec, s[78:79]
	s_and_saveexec_b64 s[78:79], s[10:11]
	s_cbranch_execnz .LBB110_85
.LBB110_53:                             ;   in Loop: Header=BB110_45 Depth=1
	s_or_b64 exec, exec, s[78:79]
	s_and_saveexec_b64 s[78:79], s[12:13]
	s_cbranch_execnz .LBB110_86
.LBB110_54:                             ;   in Loop: Header=BB110_45 Depth=1
	s_or_b64 exec, exec, s[78:79]
	s_and_saveexec_b64 s[78:79], s[14:15]
	s_cbranch_execnz .LBB110_87
.LBB110_55:                             ;   in Loop: Header=BB110_45 Depth=1
	s_or_b64 exec, exec, s[78:79]
	s_and_saveexec_b64 s[78:79], s[16:17]
	s_cbranch_execnz .LBB110_88
.LBB110_56:                             ;   in Loop: Header=BB110_45 Depth=1
	s_or_b64 exec, exec, s[78:79]
	s_and_saveexec_b64 s[78:79], s[18:19]
	s_cbranch_execnz .LBB110_89
.LBB110_57:                             ;   in Loop: Header=BB110_45 Depth=1
	s_or_b64 exec, exec, s[78:79]
	s_and_saveexec_b64 s[78:79], s[20:21]
	s_cbranch_execnz .LBB110_90
.LBB110_58:                             ;   in Loop: Header=BB110_45 Depth=1
	s_or_b64 exec, exec, s[78:79]
	s_and_saveexec_b64 s[78:79], s[22:23]
	s_cbranch_execnz .LBB110_91
.LBB110_59:                             ;   in Loop: Header=BB110_45 Depth=1
	s_or_b64 exec, exec, s[78:79]
	s_and_saveexec_b64 s[78:79], s[24:25]
	s_cbranch_execnz .LBB110_92
.LBB110_60:                             ;   in Loop: Header=BB110_45 Depth=1
	s_or_b64 exec, exec, s[78:79]
	s_and_saveexec_b64 s[78:79], s[26:27]
	s_cbranch_execnz .LBB110_93
.LBB110_61:                             ;   in Loop: Header=BB110_45 Depth=1
	s_or_b64 exec, exec, s[78:79]
	s_and_saveexec_b64 s[78:79], s[28:29]
	s_cbranch_execnz .LBB110_94
.LBB110_62:                             ;   in Loop: Header=BB110_45 Depth=1
	s_or_b64 exec, exec, s[78:79]
	s_and_saveexec_b64 s[78:79], s[30:31]
	s_cbranch_execnz .LBB110_95
.LBB110_63:                             ;   in Loop: Header=BB110_45 Depth=1
	s_or_b64 exec, exec, s[78:79]
	s_and_saveexec_b64 s[78:79], s[34:35]
	s_cbranch_execnz .LBB110_96
.LBB110_64:                             ;   in Loop: Header=BB110_45 Depth=1
	s_or_b64 exec, exec, s[78:79]
	s_and_saveexec_b64 s[78:79], s[36:37]
	s_cbranch_execnz .LBB110_97
.LBB110_65:                             ;   in Loop: Header=BB110_45 Depth=1
	s_or_b64 exec, exec, s[78:79]
	s_and_saveexec_b64 s[78:79], s[38:39]
	s_cbranch_execnz .LBB110_98
.LBB110_66:                             ;   in Loop: Header=BB110_45 Depth=1
	s_or_b64 exec, exec, s[78:79]
	s_and_saveexec_b64 s[78:79], s[40:41]
	s_cbranch_execnz .LBB110_99
.LBB110_67:                             ;   in Loop: Header=BB110_45 Depth=1
	s_or_b64 exec, exec, s[78:79]
	s_and_saveexec_b64 s[78:79], s[42:43]
	s_cbranch_execnz .LBB110_100
.LBB110_68:                             ;   in Loop: Header=BB110_45 Depth=1
	s_or_b64 exec, exec, s[78:79]
	s_and_saveexec_b64 s[78:79], s[44:45]
	s_cbranch_execnz .LBB110_101
.LBB110_69:                             ;   in Loop: Header=BB110_45 Depth=1
	s_or_b64 exec, exec, s[78:79]
	s_and_saveexec_b64 s[78:79], s[46:47]
	s_cbranch_execnz .LBB110_102
.LBB110_70:                             ;   in Loop: Header=BB110_45 Depth=1
	s_or_b64 exec, exec, s[78:79]
	s_and_saveexec_b64 s[78:79], s[48:49]
	s_cbranch_execnz .LBB110_103
.LBB110_71:                             ;   in Loop: Header=BB110_45 Depth=1
	s_or_b64 exec, exec, s[78:79]
	s_and_saveexec_b64 s[78:79], s[50:51]
	s_cbranch_execnz .LBB110_104
.LBB110_72:                             ;   in Loop: Header=BB110_45 Depth=1
	s_or_b64 exec, exec, s[78:79]
	s_and_saveexec_b64 s[78:79], s[52:53]
	s_cbranch_execnz .LBB110_105
.LBB110_73:                             ;   in Loop: Header=BB110_45 Depth=1
	s_or_b64 exec, exec, s[78:79]
	s_and_saveexec_b64 s[78:79], s[54:55]
	s_cbranch_execnz .LBB110_106
.LBB110_74:                             ;   in Loop: Header=BB110_45 Depth=1
	s_or_b64 exec, exec, s[78:79]
	s_and_saveexec_b64 s[78:79], s[56:57]
	s_cbranch_execnz .LBB110_107
.LBB110_75:                             ;   in Loop: Header=BB110_45 Depth=1
	s_or_b64 exec, exec, s[78:79]
	s_and_saveexec_b64 s[78:79], s[58:59]
	s_cbranch_execnz .LBB110_108
.LBB110_76:                             ;   in Loop: Header=BB110_45 Depth=1
	s_or_b64 exec, exec, s[78:79]
	v_ashrrev_i32_e32 v13, 31, v12
	s_and_saveexec_b64 s[78:79], s[64:65]
	s_cbranch_execnz .LBB110_109
.LBB110_77:                             ;   in Loop: Header=BB110_45 Depth=1
	s_or_b64 exec, exec, s[78:79]
	s_and_saveexec_b64 s[64:65], vcc
	s_cbranch_execz .LBB110_44
	s_branch .LBB110_110
.LBB110_78:                             ;   in Loop: Header=BB110_45 Depth=1
	v_readlane_b32 s82, v40, 10
	s_nop 1
	v_mov_b32_e32 v6, s82
	ds_read_b32 v6, v6
	s_waitcnt lgkmcnt(0)
	v_add_u32_e32 v12, v6, v12
	s_or_b64 exec, exec, s[78:79]
	s_and_saveexec_b64 s[78:79], s[62:63]
	s_cbranch_execz .LBB110_47
.LBB110_79:                             ;   in Loop: Header=BB110_45 Depth=1
	v_readlane_b32 s82, v40, 11
	s_nop 1
	v_mov_b32_e32 v6, s82
	ds_read_b32 v6, v6
	s_waitcnt lgkmcnt(0)
	v_add_u32_e32 v12, v12, v6
	s_or_b64 exec, exec, s[78:79]
	s_and_saveexec_b64 s[78:79], s[0:1]
	s_cbranch_execz .LBB110_48
.LBB110_80:                             ;   in Loop: Header=BB110_45 Depth=1
	v_readlane_b32 s82, v40, 12
	s_nop 1
	v_mov_b32_e32 v6, s82
	ds_read_b32 v6, v6
	s_waitcnt lgkmcnt(0)
	v_add_u32_e32 v12, v12, v6
	s_or_b64 exec, exec, s[78:79]
	s_and_saveexec_b64 s[78:79], s[2:3]
	s_cbranch_execz .LBB110_49
.LBB110_81:                             ;   in Loop: Header=BB110_45 Depth=1
	v_readlane_b32 s82, v40, 13
	s_nop 1
	v_mov_b32_e32 v6, s82
	ds_read_b32 v6, v6
	s_waitcnt lgkmcnt(0)
	v_add_u32_e32 v12, v12, v6
	s_or_b64 exec, exec, s[78:79]
	s_and_saveexec_b64 s[78:79], s[4:5]
	s_cbranch_execz .LBB110_50
.LBB110_82:                             ;   in Loop: Header=BB110_45 Depth=1
	v_mov_b32_e32 v6, s81
	ds_read_b32 v6, v6
	s_waitcnt lgkmcnt(0)
	v_add_u32_e32 v12, v12, v6
	s_or_b64 exec, exec, s[78:79]
	s_and_saveexec_b64 s[78:79], s[6:7]
	s_cbranch_execz .LBB110_51
.LBB110_83:                             ;   in Loop: Header=BB110_45 Depth=1
	v_readlane_b32 s82, v40, 14
	s_nop 1
	v_mov_b32_e32 v6, s82
	ds_read_b32 v6, v6
	s_waitcnt lgkmcnt(0)
	v_add_u32_e32 v12, v12, v6
	s_or_b64 exec, exec, s[78:79]
	s_and_saveexec_b64 s[78:79], s[8:9]
	s_cbranch_execz .LBB110_52
.LBB110_84:                             ;   in Loop: Header=BB110_45 Depth=1
	v_mov_b32_e32 v6, s84
	ds_read_b32 v6, v6
	s_waitcnt lgkmcnt(0)
	v_add_u32_e32 v12, v12, v6
	s_or_b64 exec, exec, s[78:79]
	s_and_saveexec_b64 s[78:79], s[10:11]
	s_cbranch_execz .LBB110_53
.LBB110_85:                             ;   in Loop: Header=BB110_45 Depth=1
	v_mov_b32_e32 v6, s85
	ds_read_b32 v6, v6
	s_waitcnt lgkmcnt(0)
	v_add_u32_e32 v12, v12, v6
	s_or_b64 exec, exec, s[78:79]
	s_and_saveexec_b64 s[78:79], s[12:13]
	s_cbranch_execz .LBB110_54
.LBB110_86:                             ;   in Loop: Header=BB110_45 Depth=1
	v_mov_b32_e32 v6, s86
	ds_read_b32 v6, v6
	s_waitcnt lgkmcnt(0)
	v_add_u32_e32 v12, v12, v6
	s_or_b64 exec, exec, s[78:79]
	s_and_saveexec_b64 s[78:79], s[14:15]
	s_cbranch_execz .LBB110_55
.LBB110_87:                             ;   in Loop: Header=BB110_45 Depth=1
	v_mov_b32_e32 v6, s87
	ds_read_b32 v6, v6
	s_waitcnt lgkmcnt(0)
	v_add_u32_e32 v12, v12, v6
	s_or_b64 exec, exec, s[78:79]
	s_and_saveexec_b64 s[78:79], s[16:17]
	s_cbranch_execz .LBB110_56
.LBB110_88:                             ;   in Loop: Header=BB110_45 Depth=1
	v_mov_b32_e32 v6, s88
	ds_read_b32 v6, v6
	s_waitcnt lgkmcnt(0)
	v_add_u32_e32 v12, v12, v6
	s_or_b64 exec, exec, s[78:79]
	s_and_saveexec_b64 s[78:79], s[18:19]
	s_cbranch_execz .LBB110_57
.LBB110_89:                             ;   in Loop: Header=BB110_45 Depth=1
	v_mov_b32_e32 v6, s89
	ds_read_b32 v6, v6
	s_waitcnt lgkmcnt(0)
	v_add_u32_e32 v12, v12, v6
	s_or_b64 exec, exec, s[78:79]
	s_and_saveexec_b64 s[78:79], s[20:21]
	s_cbranch_execz .LBB110_58
.LBB110_90:                             ;   in Loop: Header=BB110_45 Depth=1
	v_mov_b32_e32 v6, s90
	ds_read_b32 v6, v6
	s_waitcnt lgkmcnt(0)
	v_add_u32_e32 v12, v12, v6
	s_or_b64 exec, exec, s[78:79]
	s_and_saveexec_b64 s[78:79], s[22:23]
	s_cbranch_execz .LBB110_59
.LBB110_91:                             ;   in Loop: Header=BB110_45 Depth=1
	v_mov_b32_e32 v6, s91
	ds_read_b32 v6, v6
	s_waitcnt lgkmcnt(0)
	v_add_u32_e32 v12, v12, v6
	s_or_b64 exec, exec, s[78:79]
	s_and_saveexec_b64 s[78:79], s[24:25]
	s_cbranch_execz .LBB110_60
.LBB110_92:                             ;   in Loop: Header=BB110_45 Depth=1
	v_mov_b32_e32 v6, s92
	ds_read_b32 v6, v6
	s_waitcnt lgkmcnt(0)
	v_add_u32_e32 v12, v12, v6
	s_or_b64 exec, exec, s[78:79]
	s_and_saveexec_b64 s[78:79], s[26:27]
	s_cbranch_execz .LBB110_61
.LBB110_93:                             ;   in Loop: Header=BB110_45 Depth=1
	v_mov_b32_e32 v6, s93
	ds_read_b32 v6, v6
	s_waitcnt lgkmcnt(0)
	v_add_u32_e32 v12, v12, v6
	s_or_b64 exec, exec, s[78:79]
	s_and_saveexec_b64 s[78:79], s[28:29]
	s_cbranch_execz .LBB110_62
.LBB110_94:                             ;   in Loop: Header=BB110_45 Depth=1
	v_mov_b32_e32 v6, s94
	ds_read_b32 v6, v6
	s_waitcnt lgkmcnt(0)
	v_add_u32_e32 v12, v12, v6
	s_or_b64 exec, exec, s[78:79]
	s_and_saveexec_b64 s[78:79], s[30:31]
	s_cbranch_execz .LBB110_63
.LBB110_95:                             ;   in Loop: Header=BB110_45 Depth=1
	v_mov_b32_e32 v6, s95
	ds_read_b32 v6, v6
	s_waitcnt lgkmcnt(0)
	v_add_u32_e32 v12, v12, v6
	s_or_b64 exec, exec, s[78:79]
	s_and_saveexec_b64 s[78:79], s[34:35]
	s_cbranch_execz .LBB110_64
.LBB110_96:                             ;   in Loop: Header=BB110_45 Depth=1
	v_mov_b32_e32 v6, s96
	ds_read_b32 v6, v6
	s_waitcnt lgkmcnt(0)
	v_add_u32_e32 v12, v12, v6
	s_or_b64 exec, exec, s[78:79]
	s_and_saveexec_b64 s[78:79], s[36:37]
	s_cbranch_execz .LBB110_65
.LBB110_97:                             ;   in Loop: Header=BB110_45 Depth=1
	v_mov_b32_e32 v6, s97
	ds_read_b32 v6, v6
	s_waitcnt lgkmcnt(0)
	v_add_u32_e32 v12, v12, v6
	s_or_b64 exec, exec, s[78:79]
	s_and_saveexec_b64 s[78:79], s[38:39]
	s_cbranch_execz .LBB110_66
.LBB110_98:                             ;   in Loop: Header=BB110_45 Depth=1
	v_mov_b32_e32 v6, s98
	ds_read_b32 v6, v6
	s_waitcnt lgkmcnt(0)
	v_add_u32_e32 v12, v12, v6
	s_or_b64 exec, exec, s[78:79]
	s_and_saveexec_b64 s[78:79], s[40:41]
	s_cbranch_execz .LBB110_67
.LBB110_99:                             ;   in Loop: Header=BB110_45 Depth=1
	v_mov_b32_e32 v6, s99
	ds_read_b32 v6, v6
	s_waitcnt lgkmcnt(0)
	v_add_u32_e32 v12, v12, v6
	s_or_b64 exec, exec, s[78:79]
	s_and_saveexec_b64 s[78:79], s[42:43]
	s_cbranch_execz .LBB110_68
.LBB110_100:                            ;   in Loop: Header=BB110_45 Depth=1
	v_mov_b32_e32 v6, s70
	ds_read_b32 v6, v6
	s_waitcnt lgkmcnt(0)
	v_add_u32_e32 v12, v12, v6
	s_or_b64 exec, exec, s[78:79]
	s_and_saveexec_b64 s[78:79], s[44:45]
	s_cbranch_execz .LBB110_69
.LBB110_101:                            ;   in Loop: Header=BB110_45 Depth=1
	v_mov_b32_e32 v6, s71
	ds_read_b32 v6, v6
	s_waitcnt lgkmcnt(0)
	v_add_u32_e32 v12, v12, v6
	s_or_b64 exec, exec, s[78:79]
	s_and_saveexec_b64 s[78:79], s[46:47]
	s_cbranch_execz .LBB110_70
.LBB110_102:                            ;   in Loop: Header=BB110_45 Depth=1
	v_mov_b32_e32 v6, s74
	ds_read_b32 v6, v6
	s_waitcnt lgkmcnt(0)
	v_add_u32_e32 v12, v12, v6
	s_or_b64 exec, exec, s[78:79]
	s_and_saveexec_b64 s[78:79], s[48:49]
	s_cbranch_execz .LBB110_71
.LBB110_103:                            ;   in Loop: Header=BB110_45 Depth=1
	v_mov_b32_e32 v6, s75
	ds_read_b32 v6, v6
	s_waitcnt lgkmcnt(0)
	v_add_u32_e32 v12, v12, v6
	s_or_b64 exec, exec, s[78:79]
	s_and_saveexec_b64 s[78:79], s[50:51]
	s_cbranch_execz .LBB110_72
.LBB110_104:                            ;   in Loop: Header=BB110_45 Depth=1
	v_mov_b32_e32 v6, s66
	ds_read_b32 v6, v6
	s_waitcnt lgkmcnt(0)
	v_add_u32_e32 v12, v12, v6
	s_or_b64 exec, exec, s[78:79]
	s_and_saveexec_b64 s[78:79], s[52:53]
	s_cbranch_execz .LBB110_73
.LBB110_105:                            ;   in Loop: Header=BB110_45 Depth=1
	v_mov_b32_e32 v6, s68
	ds_read_b32 v6, v6
	s_waitcnt lgkmcnt(0)
	v_add_u32_e32 v12, v12, v6
	s_or_b64 exec, exec, s[78:79]
	s_and_saveexec_b64 s[78:79], s[54:55]
	s_cbranch_execz .LBB110_74
.LBB110_106:                            ;   in Loop: Header=BB110_45 Depth=1
	v_mov_b32_e32 v6, s69
	ds_read_b32 v6, v6
	s_waitcnt lgkmcnt(0)
	v_add_u32_e32 v12, v12, v6
	s_or_b64 exec, exec, s[78:79]
	s_and_saveexec_b64 s[78:79], s[56:57]
	s_cbranch_execz .LBB110_75
.LBB110_107:                            ;   in Loop: Header=BB110_45 Depth=1
	v_mov_b32_e32 v6, s33
	ds_read_b32 v6, v6
	s_waitcnt lgkmcnt(0)
	v_add_u32_e32 v12, v12, v6
	s_or_b64 exec, exec, s[78:79]
	s_and_saveexec_b64 s[78:79], s[58:59]
	s_cbranch_execz .LBB110_76
.LBB110_108:                            ;   in Loop: Header=BB110_45 Depth=1
	v_mov_b32_e32 v6, s67
	ds_read_b32 v6, v6
	s_waitcnt lgkmcnt(0)
	v_add_u32_e32 v12, v12, v6
	s_or_b64 exec, exec, s[78:79]
	v_ashrrev_i32_e32 v13, 31, v12
	s_and_saveexec_b64 s[78:79], s[64:65]
	s_cbranch_execz .LBB110_77
.LBB110_109:                            ;   in Loop: Header=BB110_45 Depth=1
	v_add3_u32 v6, v10, -1, v12
	v_lshl_add_u32 v6, v6, 3, 0
	v_add_u32_e32 v15, v10, v12
	v_lshl_add_u32 v15, v15, 3, 0
	ds_write_b64 v6, v[2:3]
	ds_write_b64 v15, v[4:5] offset:32760
	s_or_b64 exec, exec, s[78:79]
	s_and_saveexec_b64 s[64:65], vcc
	s_cbranch_execz .LBB110_44
.LBB110_110:                            ;   in Loop: Header=BB110_45 Depth=1
	v_mov_b32_e32 v2, s80
	ds_write_b64 v2, v[12:13]
	s_branch .LBB110_44
.LBB110_111:
	s_or_b64 exec, exec, s[76:77]
	v_readlane_b32 s0, v40, 4
	v_readlane_b32 s1, v40, 5
	s_lshl_b64 s[0:1], s[0:1], 3
	v_readlane_b32 s2, v40, 2
	v_readlane_b32 s3, v40, 3
	s_add_u32 s4, s2, s0
	s_addc_u32 s5, s3, s1
	s_load_dwordx4 s[0:3], s[4:5], 0x0
	v_mov_b32_e32 v1, 0
	s_waitcnt lgkmcnt(0)
	s_sub_u32 s4, s2, s0
	s_subb_u32 s5, s3, s1
	v_cmp_gt_i64_e32 vcc, s[4:5], v[0:1]
	s_and_saveexec_b64 s[6:7], vcc
	s_cbranch_execz .LBB110_121
; %bb.112:
	v_readlane_b32 s8, v40, 6
	v_readlane_b32 s10, v40, 8
	;; [unrolled: 1-line block ×3, first 2 shown]
	s_sub_u32 s8, s0, s10
	s_subb_u32 s9, s1, 0
	s_and_b32 s6, s4, 7
	s_sub_u32 s0, s0, s2
	s_mov_b32 s7, 0
	s_subb_u32 s1, s1, s3
	s_and_b32 s10, s4, -8
	s_cmp_lg_u64 s[6:7], 0
	v_cmp_lt_u64_e64 s[0:1], s[0:1], -7
	s_cselect_b64 s[2:3], -1, 0
	v_readlane_b32 s11, v40, 9
	v_cndmask_b32_e64 v2, 0, 1, s[0:1]
	v_cmp_ne_u32_e64 s[0:1], 1, v2
	v_cndmask_b32_e64 v2, 0, 1, s[2:3]
	s_mov_b32 s11, s5
	s_mov_b64 s[12:13], 0
	v_cmp_ne_u32_e64 s[2:3], 1, v2
	s_mov_b64 s[14:15], 0x400
	s_branch .LBB110_114
.LBB110_113:                            ;   in Loop: Header=BB110_114 Depth=1
	v_readlane_b32 s16, v40, 0
	v_lshl_add_u64 v[0:1], v[0:1], 0, s[14:15]
	v_readlane_b32 s17, v40, 1
	v_cmp_le_i64_e32 vcc, s[4:5], v[0:1]
	s_or_b64 s[12:13], vcc, s[12:13]
	s_waitcnt lgkmcnt(0)
	v_lshl_add_u64 v[2:3], v[6:7], 3, s[16:17]
	global_store_dwordx2 v[2:3], v[4:5], off
	s_andn2_b64 exec, exec, s[12:13]
	s_cbranch_execz .LBB110_121
.LBB110_114:                            ; =>This Loop Header: Depth=1
                                        ;     Child Loop BB110_116 Depth 2
                                        ;     Child Loop BB110_120 Depth 2
	v_lshl_add_u32 v2, v0, 3, 0
	ds_read2st64_b64 v[2:5], v2 offset1:64
	s_and_b64 vcc, exec, s[0:1]
	v_mov_b64_e32 v[6:7], s[8:9]
	s_mov_b64 s[16:17], 0
	s_cbranch_vccnz .LBB110_118
; %bb.115:                              ;   in Loop: Header=BB110_114 Depth=1
	s_mov_b32 s18, 0
	v_mov_b64_e32 v[6:7], s[8:9]
.LBB110_116:                            ;   Parent Loop BB110_114 Depth=1
                                        ; =>  This Inner Loop Header: Depth=2
	v_mov_b32_e32 v20, s18
	ds_read2_b64 v[8:11], v20 offset1:1
	ds_read2_b64 v[12:15], v20 offset0:2 offset1:3
	ds_read2_b64 v[16:19], v20 offset0:4 offset1:5
	;; [unrolled: 1-line block ×3, first 2 shown]
	v_mov_b32_e32 v25, s7
	s_waitcnt lgkmcnt(3)
	v_cmp_gt_i64_e32 vcc, v[2:3], v[8:9]
	v_mov_b32_e32 v27, s7
	v_mov_b32_e32 v29, s7
	v_cndmask_b32_e64 v24, 0, 1, vcc
	v_cmp_gt_i64_e32 vcc, v[2:3], v[10:11]
	v_lshl_add_u64 v[6:7], v[6:7], 0, v[24:25]
	v_mov_b32_e32 v31, s7
	v_cndmask_b32_e64 v26, 0, 1, vcc
	s_waitcnt lgkmcnt(2)
	v_cmp_gt_i64_e32 vcc, v[2:3], v[12:13]
	v_lshl_add_u64 v[6:7], v[6:7], 0, v[26:27]
	v_mov_b32_e32 v33, s7
	v_cndmask_b32_e64 v28, 0, 1, vcc
	v_cmp_gt_i64_e32 vcc, v[2:3], v[14:15]
	v_lshl_add_u64 v[6:7], v[6:7], 0, v[28:29]
	v_mov_b32_e32 v35, s7
	v_cndmask_b32_e64 v30, 0, 1, vcc
	s_waitcnt lgkmcnt(1)
	v_cmp_gt_i64_e32 vcc, v[2:3], v[16:17]
	v_lshl_add_u64 v[6:7], v[6:7], 0, v[30:31]
	v_mov_b32_e32 v37, s7
	v_cndmask_b32_e64 v32, 0, 1, vcc
	v_cmp_gt_i64_e32 vcc, v[2:3], v[18:19]
	v_lshl_add_u64 v[6:7], v[6:7], 0, v[32:33]
	s_add_u32 s16, s16, 8
	v_cndmask_b32_e64 v34, 0, 1, vcc
	s_waitcnt lgkmcnt(0)
	v_cmp_gt_i64_e32 vcc, v[2:3], v[20:21]
	v_lshl_add_u64 v[6:7], v[6:7], 0, v[34:35]
	v_mov_b32_e32 v39, s7
	v_cndmask_b32_e64 v36, 0, 1, vcc
	v_cmp_gt_i64_e32 vcc, v[2:3], v[22:23]
	s_addc_u32 s17, s17, 0
	s_add_i32 s18, s18, 64
	v_cndmask_b32_e64 v38, 0, 1, vcc
	v_lshl_add_u64 v[6:7], v[6:7], 0, v[36:37]
	s_cmp_eq_u64 s[10:11], s[16:17]
	v_lshl_add_u64 v[6:7], v[6:7], 0, v[38:39]
	s_cbranch_scc0 .LBB110_116
; %bb.117:                              ;   in Loop: Header=BB110_114 Depth=1
	s_mov_b64 s[16:17], s[10:11]
.LBB110_118:                            ;   in Loop: Header=BB110_114 Depth=1
	s_and_b64 vcc, exec, s[2:3]
	s_cbranch_vccnz .LBB110_113
; %bb.119:                              ;   in Loop: Header=BB110_114 Depth=1
	s_lshl_b32 s16, s16, 3
	s_add_i32 s18, s16, 0
	s_mov_b64 s[16:17], s[6:7]
.LBB110_120:                            ;   Parent Loop BB110_114 Depth=1
                                        ; =>  This Inner Loop Header: Depth=2
	v_mov_b32_e32 v8, s18
	ds_read_b64 v[10:11], v8
	s_add_i32 s18, s18, 8
	s_add_u32 s16, s16, -1
	v_mov_b32_e32 v9, s7
	s_addc_u32 s17, s17, -1
	s_waitcnt lgkmcnt(0)
	v_cmp_gt_i64_e32 vcc, v[2:3], v[10:11]
	s_cmp_lg_u64 s[16:17], 0
	s_nop 0
	v_cndmask_b32_e64 v8, 0, 1, vcc
	v_lshl_add_u64 v[6:7], v[6:7], 0, v[8:9]
	s_cbranch_scc1 .LBB110_120
	s_branch .LBB110_113
.LBB110_121:
	s_endpgm
	.section	.rodata,"a",@progbits
	.p2align	6, 0x0
	.amdhsa_kernel _ZN9rocsparseL41csrgemm_numeric_fill_block_per_row_kernelILj1024ELj64ELj4096ELj137ELj32ElldEEvT5_PKS1_S3_NS_24const_host_device_scalarIT6_EEPKT4_S3_PKS5_S9_S3_SB_S6_S9_S3_SB_S9_S3_PS5_21rocsparse_index_base_SD_SD_SD_bbb
		.amdhsa_group_segment_fixed_size 0
		.amdhsa_private_segment_fixed_size 0
		.amdhsa_kernarg_size 156
		.amdhsa_user_sgpr_count 2
		.amdhsa_user_sgpr_dispatch_ptr 0
		.amdhsa_user_sgpr_queue_ptr 0
		.amdhsa_user_sgpr_kernarg_segment_ptr 1
		.amdhsa_user_sgpr_dispatch_id 0
		.amdhsa_user_sgpr_kernarg_preload_length 0
		.amdhsa_user_sgpr_kernarg_preload_offset 0
		.amdhsa_user_sgpr_private_segment_size 0
		.amdhsa_uses_dynamic_stack 0
		.amdhsa_enable_private_segment 0
		.amdhsa_system_sgpr_workgroup_id_x 1
		.amdhsa_system_sgpr_workgroup_id_y 0
		.amdhsa_system_sgpr_workgroup_id_z 0
		.amdhsa_system_sgpr_workgroup_info 0
		.amdhsa_system_vgpr_workitem_id 0
		.amdhsa_next_free_vgpr 41
		.amdhsa_next_free_sgpr 100
		.amdhsa_accum_offset 44
		.amdhsa_reserve_vcc 1
		.amdhsa_float_round_mode_32 0
		.amdhsa_float_round_mode_16_64 0
		.amdhsa_float_denorm_mode_32 3
		.amdhsa_float_denorm_mode_16_64 3
		.amdhsa_dx10_clamp 1
		.amdhsa_ieee_mode 1
		.amdhsa_fp16_overflow 0
		.amdhsa_tg_split 0
		.amdhsa_exception_fp_ieee_invalid_op 0
		.amdhsa_exception_fp_denorm_src 0
		.amdhsa_exception_fp_ieee_div_zero 0
		.amdhsa_exception_fp_ieee_overflow 0
		.amdhsa_exception_fp_ieee_underflow 0
		.amdhsa_exception_fp_ieee_inexact 0
		.amdhsa_exception_int_div_zero 0
	.end_amdhsa_kernel
	.section	.text._ZN9rocsparseL41csrgemm_numeric_fill_block_per_row_kernelILj1024ELj64ELj4096ELj137ELj32ElldEEvT5_PKS1_S3_NS_24const_host_device_scalarIT6_EEPKT4_S3_PKS5_S9_S3_SB_S6_S9_S3_SB_S9_S3_PS5_21rocsparse_index_base_SD_SD_SD_bbb,"axG",@progbits,_ZN9rocsparseL41csrgemm_numeric_fill_block_per_row_kernelILj1024ELj64ELj4096ELj137ELj32ElldEEvT5_PKS1_S3_NS_24const_host_device_scalarIT6_EEPKT4_S3_PKS5_S9_S3_SB_S6_S9_S3_SB_S9_S3_PS5_21rocsparse_index_base_SD_SD_SD_bbb,comdat
.Lfunc_end110:
	.size	_ZN9rocsparseL41csrgemm_numeric_fill_block_per_row_kernelILj1024ELj64ELj4096ELj137ELj32ElldEEvT5_PKS1_S3_NS_24const_host_device_scalarIT6_EEPKT4_S3_PKS5_S9_S3_SB_S6_S9_S3_SB_S9_S3_PS5_21rocsparse_index_base_SD_SD_SD_bbb, .Lfunc_end110-_ZN9rocsparseL41csrgemm_numeric_fill_block_per_row_kernelILj1024ELj64ELj4096ELj137ELj32ElldEEvT5_PKS1_S3_NS_24const_host_device_scalarIT6_EEPKT4_S3_PKS5_S9_S3_SB_S6_S9_S3_SB_S9_S3_PS5_21rocsparse_index_base_SD_SD_SD_bbb
                                        ; -- End function
	.set _ZN9rocsparseL41csrgemm_numeric_fill_block_per_row_kernelILj1024ELj64ELj4096ELj137ELj32ElldEEvT5_PKS1_S3_NS_24const_host_device_scalarIT6_EEPKT4_S3_PKS5_S9_S3_SB_S6_S9_S3_SB_S9_S3_PS5_21rocsparse_index_base_SD_SD_SD_bbb.num_vgpr, 41
	.set _ZN9rocsparseL41csrgemm_numeric_fill_block_per_row_kernelILj1024ELj64ELj4096ELj137ELj32ElldEEvT5_PKS1_S3_NS_24const_host_device_scalarIT6_EEPKT4_S3_PKS5_S9_S3_SB_S6_S9_S3_SB_S9_S3_PS5_21rocsparse_index_base_SD_SD_SD_bbb.num_agpr, 0
	.set _ZN9rocsparseL41csrgemm_numeric_fill_block_per_row_kernelILj1024ELj64ELj4096ELj137ELj32ElldEEvT5_PKS1_S3_NS_24const_host_device_scalarIT6_EEPKT4_S3_PKS5_S9_S3_SB_S6_S9_S3_SB_S9_S3_PS5_21rocsparse_index_base_SD_SD_SD_bbb.numbered_sgpr, 100
	.set _ZN9rocsparseL41csrgemm_numeric_fill_block_per_row_kernelILj1024ELj64ELj4096ELj137ELj32ElldEEvT5_PKS1_S3_NS_24const_host_device_scalarIT6_EEPKT4_S3_PKS5_S9_S3_SB_S6_S9_S3_SB_S9_S3_PS5_21rocsparse_index_base_SD_SD_SD_bbb.num_named_barrier, 0
	.set _ZN9rocsparseL41csrgemm_numeric_fill_block_per_row_kernelILj1024ELj64ELj4096ELj137ELj32ElldEEvT5_PKS1_S3_NS_24const_host_device_scalarIT6_EEPKT4_S3_PKS5_S9_S3_SB_S6_S9_S3_SB_S9_S3_PS5_21rocsparse_index_base_SD_SD_SD_bbb.private_seg_size, 0
	.set _ZN9rocsparseL41csrgemm_numeric_fill_block_per_row_kernelILj1024ELj64ELj4096ELj137ELj32ElldEEvT5_PKS1_S3_NS_24const_host_device_scalarIT6_EEPKT4_S3_PKS5_S9_S3_SB_S6_S9_S3_SB_S9_S3_PS5_21rocsparse_index_base_SD_SD_SD_bbb.uses_vcc, 1
	.set _ZN9rocsparseL41csrgemm_numeric_fill_block_per_row_kernelILj1024ELj64ELj4096ELj137ELj32ElldEEvT5_PKS1_S3_NS_24const_host_device_scalarIT6_EEPKT4_S3_PKS5_S9_S3_SB_S6_S9_S3_SB_S9_S3_PS5_21rocsparse_index_base_SD_SD_SD_bbb.uses_flat_scratch, 0
	.set _ZN9rocsparseL41csrgemm_numeric_fill_block_per_row_kernelILj1024ELj64ELj4096ELj137ELj32ElldEEvT5_PKS1_S3_NS_24const_host_device_scalarIT6_EEPKT4_S3_PKS5_S9_S3_SB_S6_S9_S3_SB_S9_S3_PS5_21rocsparse_index_base_SD_SD_SD_bbb.has_dyn_sized_stack, 0
	.set _ZN9rocsparseL41csrgemm_numeric_fill_block_per_row_kernelILj1024ELj64ELj4096ELj137ELj32ElldEEvT5_PKS1_S3_NS_24const_host_device_scalarIT6_EEPKT4_S3_PKS5_S9_S3_SB_S6_S9_S3_SB_S9_S3_PS5_21rocsparse_index_base_SD_SD_SD_bbb.has_recursion, 0
	.set _ZN9rocsparseL41csrgemm_numeric_fill_block_per_row_kernelILj1024ELj64ELj4096ELj137ELj32ElldEEvT5_PKS1_S3_NS_24const_host_device_scalarIT6_EEPKT4_S3_PKS5_S9_S3_SB_S6_S9_S3_SB_S9_S3_PS5_21rocsparse_index_base_SD_SD_SD_bbb.has_indirect_call, 0
	.section	.AMDGPU.csdata,"",@progbits
; Kernel info:
; codeLenInByte = 4640
; TotalNumSgprs: 106
; NumVgprs: 41
; NumAgprs: 0
; TotalNumVgprs: 41
; ScratchSize: 0
; MemoryBound: 0
; FloatMode: 240
; IeeeMode: 1
; LDSByteSize: 0 bytes/workgroup (compile time only)
; SGPRBlocks: 13
; VGPRBlocks: 5
; NumSGPRsForWavesPerEU: 106
; NumVGPRsForWavesPerEU: 41
; AccumOffset: 44
; Occupancy: 7
; WaveLimiterHint : 1
; COMPUTE_PGM_RSRC2:SCRATCH_EN: 0
; COMPUTE_PGM_RSRC2:USER_SGPR: 2
; COMPUTE_PGM_RSRC2:TRAP_HANDLER: 0
; COMPUTE_PGM_RSRC2:TGID_X_EN: 1
; COMPUTE_PGM_RSRC2:TGID_Y_EN: 0
; COMPUTE_PGM_RSRC2:TGID_Z_EN: 0
; COMPUTE_PGM_RSRC2:TIDIG_COMP_CNT: 0
; COMPUTE_PGM_RSRC3_GFX90A:ACCUM_OFFSET: 10
; COMPUTE_PGM_RSRC3_GFX90A:TG_SPLIT: 0
	.section	.text._ZN9rocsparseL41csrgemm_numeric_fill_block_per_row_kernelILj1024ELj64ELj4096ELj137ELj64ElldEEvT5_PKS1_S3_NS_24const_host_device_scalarIT6_EEPKT4_S3_PKS5_S9_S3_SB_S6_S9_S3_SB_S9_S3_PS5_21rocsparse_index_base_SD_SD_SD_bbb,"axG",@progbits,_ZN9rocsparseL41csrgemm_numeric_fill_block_per_row_kernelILj1024ELj64ELj4096ELj137ELj64ElldEEvT5_PKS1_S3_NS_24const_host_device_scalarIT6_EEPKT4_S3_PKS5_S9_S3_SB_S6_S9_S3_SB_S9_S3_PS5_21rocsparse_index_base_SD_SD_SD_bbb,comdat
	.globl	_ZN9rocsparseL41csrgemm_numeric_fill_block_per_row_kernelILj1024ELj64ELj4096ELj137ELj64ElldEEvT5_PKS1_S3_NS_24const_host_device_scalarIT6_EEPKT4_S3_PKS5_S9_S3_SB_S6_S9_S3_SB_S9_S3_PS5_21rocsparse_index_base_SD_SD_SD_bbb ; -- Begin function _ZN9rocsparseL41csrgemm_numeric_fill_block_per_row_kernelILj1024ELj64ELj4096ELj137ELj64ElldEEvT5_PKS1_S3_NS_24const_host_device_scalarIT6_EEPKT4_S3_PKS5_S9_S3_SB_S6_S9_S3_SB_S9_S3_PS5_21rocsparse_index_base_SD_SD_SD_bbb
	.p2align	8
	.type	_ZN9rocsparseL41csrgemm_numeric_fill_block_per_row_kernelILj1024ELj64ELj4096ELj137ELj64ElldEEvT5_PKS1_S3_NS_24const_host_device_scalarIT6_EEPKT4_S3_PKS5_S9_S3_SB_S6_S9_S3_SB_S9_S3_PS5_21rocsparse_index_base_SD_SD_SD_bbb,@function
_ZN9rocsparseL41csrgemm_numeric_fill_block_per_row_kernelILj1024ELj64ELj4096ELj137ELj64ElldEEvT5_PKS1_S3_NS_24const_host_device_scalarIT6_EEPKT4_S3_PKS5_S9_S3_SB_S6_S9_S3_SB_S9_S3_PS5_21rocsparse_index_base_SD_SD_SD_bbb: ; @_ZN9rocsparseL41csrgemm_numeric_fill_block_per_row_kernelILj1024ELj64ELj4096ELj137ELj64ElldEEvT5_PKS1_S3_NS_24const_host_device_scalarIT6_EEPKT4_S3_PKS5_S9_S3_SB_S6_S9_S3_SB_S9_S3_PS5_21rocsparse_index_base_SD_SD_SD_bbb
; %bb.0:
	s_load_dword s3, s[0:1], 0x98
	s_load_dwordx4 s[36:39], s[0:1], 0x88
	s_load_dwordx2 s[4:5], s[0:1], 0x18
	s_load_dwordx2 s[12:13], s[0:1], 0x50
	s_waitcnt lgkmcnt(0)
	s_bitcmp1_b32 s3, 0
	s_cselect_b64 s[28:29], -1, 0
	s_bitcmp1_b32 s3, 16
	s_cselect_b64 s[14:15], -1, 0
	s_xor_b64 s[6:7], s[28:29], -1
	s_or_b64 s[6:7], s[14:15], s[6:7]
	s_and_b64 s[8:9], s[28:29], exec
	s_cselect_b32 s9, s5, 0
	s_cselect_b32 s8, s4, 0
	s_and_b64 vcc, exec, s[6:7]
	v_mov_b64_e32 v[4:5], s[8:9]
	s_cbranch_vccnz .LBB111_2
; %bb.1:
	v_mov_b64_e32 v[2:3], s[4:5]
	flat_load_dwordx2 v[4:5], v[2:3]
.LBB111_2:
	s_load_dwordx2 s[34:35], s[0:1], 0x80
	s_load_dwordx2 s[40:41], s[0:1], 0x70
	s_load_dwordx2 s[24:25], s[0:1], 0x58
	s_load_dwordx4 s[20:23], s[0:1], 0x8
	s_load_dwordx8 s[4:11], s[0:1], 0x20
	s_bitcmp1_b32 s3, 8
	s_cselect_b64 s[26:27], -1, 0
	s_xor_b64 s[16:17], s[26:27], -1
	s_or_b64 s[14:15], s[14:15], s[16:17]
	s_and_b64 s[16:17], s[26:27], exec
	s_cselect_b32 s17, s13, 0
	s_cselect_b32 s16, s12, 0
	s_and_b64 vcc, exec, s[14:15]
	v_mov_b64_e32 v[2:3], s[16:17]
	s_cbranch_vccnz .LBB111_4
; %bb.3:
	v_mov_b64_e32 v[2:3], s[12:13]
	flat_load_dwordx2 v[2:3], v[2:3]
.LBB111_4:
	s_load_dwordx4 s[12:15], s[0:1], 0x60
	s_load_dwordx4 s[16:19], s[0:1], 0x40
	s_load_dwordx2 s[42:43], s[0:1], 0x0
	v_or_b32_e32 v1, 0xfffffc00, v0
	v_mov_b32_e32 v6, 0
	v_lshl_add_u32 v26, v0, 3, 0
	s_mov_b64 s[0:1], 0
	s_waitcnt lgkmcnt(0)
	v_mov_b64_e32 v[8:9], s[42:43]
	v_mov_b32_e32 v7, v6
	s_movk_i32 s3, 0xbff
	v_mov_b32_e32 v10, v26
	v_mov_b32_e32 v11, v1
.LBB111_5:                              ; =>This Inner Loop Header: Depth=1
	v_add_u32_e32 v11, 0x400, v11
	v_cmp_lt_u32_e32 vcc, s3, v11
	ds_write2st64_b64 v10, v[8:9], v[6:7] offset1:64
	s_or_b64 s[0:1], vcc, s[0:1]
	v_add_u32_e32 v10, 0x2000, v10
	s_andn2_b64 exec, exec, s[0:1]
	s_cbranch_execnz .LBB111_5
; %bb.6:
	s_or_b64 exec, exec, s[0:1]
	s_waitcnt lgkmcnt(0)
	s_barrier
	s_load_dwordx2 s[0:1], s[20:21], 0x0
	s_mov_b32 s3, 0
	v_lshrrev_b32_e32 v27, 6, v0
	s_waitcnt lgkmcnt(0)
	s_lshl_b64 s[0:1], s[0:1], 3
	s_add_u32 s20, s22, s0
	s_addc_u32 s21, s23, s1
	s_lshl_b64 s[0:1], s[2:3], 3
	s_add_u32 s0, s20, s0
	s_addc_u32 s1, s21, s1
	s_load_dwordx2 s[44:45], s[0:1], 0x0
	s_and_b64 vcc, exec, s[28:29]
	s_cbranch_vccz .LBB111_26
; %bb.7:
	s_waitcnt lgkmcnt(0)
	s_lshl_b64 s[0:1], s[44:45], 3
	s_add_u32 s0, s4, s0
	s_addc_u32 s1, s5, s1
	s_load_dwordx4 s[20:23], s[0:1], 0x0
	v_subrev_co_u32_e32 v6, vcc, s36, v27
	s_nop 1
	v_subb_co_u32_e64 v7, s[0:1], 0, 0, vcc
	s_waitcnt lgkmcnt(0)
	s_sub_u32 s0, s22, s36
	s_subb_u32 s1, s23, 0
	v_lshl_add_u64 v[6:7], s[20:21], 0, v[6:7]
	v_cmp_gt_i64_e32 vcc, s[0:1], v[6:7]
	s_and_saveexec_b64 s[2:3], vcc
	s_cbranch_execz .LBB111_25
; %bb.8:
	v_and_b32_e32 v8, 63, v0
	v_subrev_co_u32_e32 v8, vcc, s37, v8
	s_mov_b32 s33, s37
	s_nop 0
	v_subb_co_u32_e64 v9, s[4:5], 0, 0, vcc
	s_mov_b64 s[4:5], 0
	s_movk_i32 s37, 0x89
	s_branch .LBB111_10
.LBB111_9:                              ;   in Loop: Header=BB111_10 Depth=1
	s_or_b64 exec, exec, s[20:21]
	v_lshl_add_u64 v[6:7], v[6:7], 0, 16
	v_cmp_le_i64_e32 vcc, s[0:1], v[6:7]
	s_or_b64 s[4:5], vcc, s[4:5]
	s_andn2_b64 exec, exec, s[4:5]
	s_cbranch_execz .LBB111_25
.LBB111_10:                             ; =>This Loop Header: Depth=1
                                        ;     Child Loop BB111_14 Depth 2
                                        ;       Child Loop BB111_17 Depth 3
	v_lshl_add_u64 v[10:11], v[6:7], 3, s[6:7]
	global_load_dwordx2 v[10:11], v[10:11], off
	s_waitcnt vmcnt(0)
	v_subrev_co_u32_e32 v10, vcc, s36, v10
	s_nop 1
	v_subbrev_co_u32_e32 v11, vcc, 0, v11, vcc
	v_lshl_add_u64 v[10:11], v[10:11], 3, s[10:11]
	global_load_dwordx4 v[12:15], v[10:11], off
	s_waitcnt vmcnt(0)
	v_subrev_co_u32_e32 v10, vcc, s33, v14
	s_nop 1
	v_subbrev_co_u32_e32 v11, vcc, 0, v15, vcc
	v_lshl_add_u64 v[12:13], v[12:13], 0, v[8:9]
	v_cmp_lt_i64_e32 vcc, v[12:13], v[10:11]
	s_and_saveexec_b64 s[20:21], vcc
	s_cbranch_execz .LBB111_9
; %bb.11:                               ;   in Loop: Header=BB111_10 Depth=1
	v_lshl_add_u64 v[14:15], v[6:7], 3, s[8:9]
	global_load_dwordx2 v[14:15], v[14:15], off
	s_mov_b64 s[22:23], 0
	s_waitcnt vmcnt(0)
	v_mul_f64 v[14:15], v[4:5], v[14:15]
	s_branch .LBB111_14
.LBB111_12:                             ;   in Loop: Header=BB111_14 Depth=2
	s_or_b64 exec, exec, s[30:31]
.LBB111_13:                             ;   in Loop: Header=BB111_14 Depth=2
	s_or_b64 exec, exec, s[28:29]
	s_waitcnt vmcnt(0)
	v_mul_f64 v[16:17], v[14:15], v[16:17]
	v_lshl_add_u32 v18, v20, 3, 0
	ds_add_f64 v18, v[16:17] offset:32768
	v_lshl_add_u64 v[12:13], v[12:13], 0, 64
	v_cmp_ge_i64_e32 vcc, v[12:13], v[10:11]
	s_or_b64 s[22:23], vcc, s[22:23]
	s_andn2_b64 exec, exec, s[22:23]
	s_cbranch_execz .LBB111_9
.LBB111_14:                             ;   Parent Loop BB111_10 Depth=1
                                        ; =>  This Loop Header: Depth=2
                                        ;       Child Loop BB111_17 Depth 3
	v_lshlrev_b64 v[16:17], 3, v[12:13]
	v_lshl_add_u64 v[18:19], s[16:17], 0, v[16:17]
	global_load_dwordx2 v[18:19], v[18:19], off
	v_lshl_add_u64 v[16:17], s[18:19], 0, v[16:17]
	global_load_dwordx2 v[16:17], v[16:17], off
	s_waitcnt vmcnt(1)
	v_subrev_co_u32_e32 v18, vcc, s33, v18
	v_mul_lo_u32 v20, v18, s37
	v_and_b32_e32 v20, 0xfff, v20
	v_lshl_add_u32 v28, v20, 3, 0
	ds_read_b64 v[24:25], v28
	v_subbrev_co_u32_e32 v19, vcc, 0, v19, vcc
	s_waitcnt lgkmcnt(0)
	v_cmp_ne_u64_e32 vcc, v[24:25], v[18:19]
	s_and_saveexec_b64 s[28:29], vcc
	s_cbranch_execz .LBB111_13
; %bb.15:                               ;   in Loop: Header=BB111_14 Depth=2
	s_mov_b64 s[30:31], 0
                                        ; implicit-def: $sgpr46_sgpr47
                                        ; implicit-def: $sgpr48_sgpr49
	s_branch .LBB111_17
.LBB111_16:                             ;   in Loop: Header=BB111_17 Depth=3
	s_or_b64 exec, exec, s[54:55]
	s_and_b64 s[50:51], exec, s[52:53]
	s_or_b64 s[30:31], s[50:51], s[30:31]
	s_andn2_b64 s[46:47], s[46:47], exec
	s_and_b64 s[50:51], s[48:49], exec
	s_or_b64 s[46:47], s[46:47], s[50:51]
	s_andn2_b64 exec, exec, s[30:31]
	s_cbranch_execz .LBB111_23
.LBB111_17:                             ;   Parent Loop BB111_10 Depth=1
                                        ;     Parent Loop BB111_14 Depth=2
                                        ; =>    This Inner Loop Header: Depth=3
	v_mov_b64_e32 v[22:23], v[20:21]
	v_cmp_ne_u64_e32 vcc, s[42:43], v[24:25]
	s_mov_b64 s[50:51], 0
                                        ; implicit-def: $vgpr20_vgpr21
	s_and_saveexec_b64 s[52:53], vcc
	s_xor_b64 s[52:53], exec, s[52:53]
; %bb.18:                               ;   in Loop: Header=BB111_17 Depth=3
	v_add_u32_e32 v20, 1, v22
	s_mov_b64 s[50:51], exec
	v_and_b32_e32 v20, 0xfff, v20
                                        ; implicit-def: $vgpr28
; %bb.19:                               ;   in Loop: Header=BB111_17 Depth=3
	s_andn2_saveexec_b64 s[52:53], s[52:53]
	s_cbranch_execz .LBB111_21
; %bb.20:                               ;   in Loop: Header=BB111_17 Depth=3
	v_mov_b64_e32 v[20:21], s[42:43]
	ds_cmpst_rtn_b64 v[20:21], v28, v[20:21], v[18:19]
	s_andn2_b64 s[50:51], s[50:51], exec
	s_waitcnt lgkmcnt(0)
	v_cmp_ne_u64_e32 vcc, s[42:43], v[20:21]
	s_and_b64 s[54:55], vcc, exec
	s_or_b64 s[50:51], s[50:51], s[54:55]
	v_mov_b64_e32 v[20:21], v[22:23]
.LBB111_21:                             ;   in Loop: Header=BB111_17 Depth=3
	s_or_b64 exec, exec, s[52:53]
	s_mov_b64 s[52:53], -1
	s_or_b64 s[48:49], s[48:49], exec
                                        ; implicit-def: $vgpr28
                                        ; implicit-def: $vgpr24_vgpr25
	s_and_saveexec_b64 s[54:55], s[50:51]
	s_cbranch_execz .LBB111_16
; %bb.22:                               ;   in Loop: Header=BB111_17 Depth=3
	v_lshl_add_u32 v28, v20, 3, 0
	ds_read_b64 v[24:25], v28
	s_andn2_b64 s[48:49], s[48:49], exec
	s_waitcnt lgkmcnt(0)
	v_cmp_eq_u64_e32 vcc, v[24:25], v[18:19]
	s_orn2_b64 s[52:53], vcc, exec
	s_branch .LBB111_16
.LBB111_23:                             ;   in Loop: Header=BB111_14 Depth=2
	s_or_b64 exec, exec, s[30:31]
	s_and_saveexec_b64 s[30:31], s[46:47]
	s_xor_b64 s[30:31], exec, s[30:31]
	s_cbranch_execz .LBB111_12
; %bb.24:                               ;   in Loop: Header=BB111_14 Depth=2
	v_mov_b32_e32 v20, v22
	s_branch .LBB111_12
.LBB111_25:
	s_or_b64 exec, exec, s[2:3]
.LBB111_26:
	s_andn2_b64 vcc, exec, s[26:27]
	s_cbranch_vccnz .LBB111_43
; %bb.27:
	s_waitcnt lgkmcnt(0)
	s_lshl_b64 s[0:1], s[44:45], 3
	s_add_u32 s0, s24, s0
	s_addc_u32 s1, s25, s1
	s_load_dwordx4 s[4:7], s[0:1], 0x0
	s_waitcnt vmcnt(0)
	v_subrev_co_u32_e32 v4, vcc, s39, v0
	s_waitcnt lgkmcnt(0)
	s_sub_u32 s0, s6, s39
	v_subb_co_u32_e64 v5, s[2:3], 0, 0, vcc
	s_subb_u32 s1, s7, 0
	v_lshl_add_u64 v[4:5], s[4:5], 0, v[4:5]
	v_cmp_gt_i64_e32 vcc, s[0:1], v[4:5]
	s_and_saveexec_b64 s[2:3], vcc
	s_cbranch_execz .LBB111_42
; %bb.28:
	s_mov_b32 s26, s39
	s_mov_b64 s[4:5], 0
	s_movk_i32 s27, 0x89
	s_mov_b64 s[6:7], 0x400
	s_branch .LBB111_31
.LBB111_29:                             ;   in Loop: Header=BB111_31 Depth=1
	s_or_b64 exec, exec, s[10:11]
.LBB111_30:                             ;   in Loop: Header=BB111_31 Depth=1
	s_or_b64 exec, exec, s[8:9]
	s_waitcnt vmcnt(0)
	v_mul_f64 v[6:7], v[2:3], v[6:7]
	v_lshl_add_u32 v8, v10, 3, 0
	ds_add_f64 v8, v[6:7] offset:32768
	v_lshl_add_u64 v[4:5], v[4:5], 0, s[6:7]
	v_cmp_le_i64_e32 vcc, s[0:1], v[4:5]
	s_or_b64 s[4:5], vcc, s[4:5]
	s_andn2_b64 exec, exec, s[4:5]
	s_cbranch_execz .LBB111_42
.LBB111_31:                             ; =>This Loop Header: Depth=1
                                        ;     Child Loop BB111_34 Depth 2
	v_lshlrev_b64 v[6:7], 3, v[4:5]
	v_lshl_add_u64 v[8:9], s[12:13], 0, v[6:7]
	global_load_dwordx2 v[8:9], v[8:9], off
	v_lshl_add_u64 v[6:7], s[14:15], 0, v[6:7]
	global_load_dwordx2 v[6:7], v[6:7], off
	s_waitcnt vmcnt(1)
	v_subrev_co_u32_e32 v8, vcc, s26, v8
	v_mul_lo_u32 v10, v8, s27
	v_and_b32_e32 v10, 0xfff, v10
	v_lshl_add_u32 v16, v10, 3, 0
	ds_read_b64 v[14:15], v16
	v_subbrev_co_u32_e32 v9, vcc, 0, v9, vcc
	s_waitcnt lgkmcnt(0)
	v_cmp_ne_u64_e32 vcc, v[14:15], v[8:9]
	s_and_saveexec_b64 s[8:9], vcc
	s_cbranch_execz .LBB111_30
; %bb.32:                               ;   in Loop: Header=BB111_31 Depth=1
	s_mov_b64 s[10:11], 0
                                        ; implicit-def: $sgpr16_sgpr17
                                        ; implicit-def: $sgpr18_sgpr19
	s_branch .LBB111_34
.LBB111_33:                             ;   in Loop: Header=BB111_34 Depth=2
	s_or_b64 exec, exec, s[24:25]
	s_and_b64 s[20:21], exec, s[22:23]
	s_or_b64 s[10:11], s[20:21], s[10:11]
	s_andn2_b64 s[16:17], s[16:17], exec
	s_and_b64 s[20:21], s[18:19], exec
	s_or_b64 s[16:17], s[16:17], s[20:21]
	s_andn2_b64 exec, exec, s[10:11]
	s_cbranch_execz .LBB111_40
.LBB111_34:                             ;   Parent Loop BB111_31 Depth=1
                                        ; =>  This Inner Loop Header: Depth=2
	v_mov_b64_e32 v[12:13], v[10:11]
	v_cmp_ne_u64_e32 vcc, s[42:43], v[14:15]
	s_mov_b64 s[20:21], 0
                                        ; implicit-def: $vgpr10_vgpr11
	s_and_saveexec_b64 s[22:23], vcc
	s_xor_b64 s[22:23], exec, s[22:23]
; %bb.35:                               ;   in Loop: Header=BB111_34 Depth=2
	v_add_u32_e32 v10, 1, v12
	s_mov_b64 s[20:21], exec
	v_and_b32_e32 v10, 0xfff, v10
                                        ; implicit-def: $vgpr16
; %bb.36:                               ;   in Loop: Header=BB111_34 Depth=2
	s_andn2_saveexec_b64 s[22:23], s[22:23]
	s_cbranch_execz .LBB111_38
; %bb.37:                               ;   in Loop: Header=BB111_34 Depth=2
	v_mov_b64_e32 v[10:11], s[42:43]
	ds_cmpst_rtn_b64 v[10:11], v16, v[10:11], v[8:9]
	s_andn2_b64 s[20:21], s[20:21], exec
	s_waitcnt lgkmcnt(0)
	v_cmp_ne_u64_e32 vcc, s[42:43], v[10:11]
	s_and_b64 s[24:25], vcc, exec
	s_or_b64 s[20:21], s[20:21], s[24:25]
	v_mov_b64_e32 v[10:11], v[12:13]
.LBB111_38:                             ;   in Loop: Header=BB111_34 Depth=2
	s_or_b64 exec, exec, s[22:23]
	s_mov_b64 s[22:23], -1
	s_or_b64 s[18:19], s[18:19], exec
                                        ; implicit-def: $vgpr16
                                        ; implicit-def: $vgpr14_vgpr15
	s_and_saveexec_b64 s[24:25], s[20:21]
	s_cbranch_execz .LBB111_33
; %bb.39:                               ;   in Loop: Header=BB111_34 Depth=2
	v_lshl_add_u32 v16, v10, 3, 0
	ds_read_b64 v[14:15], v16
	s_andn2_b64 s[18:19], s[18:19], exec
	s_waitcnt lgkmcnt(0)
	v_cmp_eq_u64_e32 vcc, v[14:15], v[8:9]
	s_orn2_b64 s[22:23], vcc, exec
	s_branch .LBB111_33
.LBB111_40:                             ;   in Loop: Header=BB111_31 Depth=1
	s_or_b64 exec, exec, s[10:11]
	s_and_saveexec_b64 s[10:11], s[16:17]
	s_xor_b64 s[10:11], exec, s[10:11]
	s_cbranch_execz .LBB111_29
; %bb.41:                               ;   in Loop: Header=BB111_31 Depth=1
	v_mov_b32_e32 v10, v12
	s_branch .LBB111_29
.LBB111_42:
	s_or_b64 exec, exec, s[2:3]
.LBB111_43:
	s_waitcnt vmcnt(0)
	v_mbcnt_lo_u32_b32 v2, -1, 0
	v_mbcnt_hi_u32_b32 v2, -1, v2
	v_sub_u32_e32 v2, 63, v2
	s_add_i32 s33, 0, 0x10000
	s_movk_i32 s0, 0x3ff
	s_movk_i32 s2, 0x7f
	;; [unrolled: 1-line block ×15, first 2 shown]
	s_add_i32 s61, 0, 0x10078
	v_mov_b32_e32 v7, 0
	v_lshrrev_b64 v[8:9], v2, -1
	v_lshl_add_u32 v14, v27, 3, s33
	v_cmp_eq_u32_e32 vcc, s0, v0
	v_cmp_lt_u32_e64 s[0:1], 63, v0
	v_cmp_lt_u32_e64 s[2:3], s2, v0
	;; [unrolled: 1-line block ×15, first 2 shown]
	s_mov_b64 s[36:37], 0
	v_mov_b64_e32 v[10:11], 0
	s_add_i32 s39, 0, 0x10008
	s_add_i32 s48, 0, 0x10010
	;; [unrolled: 1-line block ×14, first 2 shown]
	v_mov_b32_e32 v15, s61
	s_movk_i32 s62, 0xbff
	s_waitcnt lgkmcnt(0)
	s_barrier
	s_branch .LBB111_45
.LBB111_44:                             ;   in Loop: Header=BB111_45 Depth=1
	s_or_b64 exec, exec, s[30:31]
	s_waitcnt lgkmcnt(0)
	s_barrier
	ds_read_b64 v[2:3], v15
	v_add_u32_e32 v1, 0x400, v1
	v_cmp_lt_u32_e64 s[30:31], s62, v1
	s_or_b64 s[36:37], s[30:31], s[36:37]
	v_add_u32_e32 v26, 0x2000, v26
	s_waitcnt lgkmcnt(0)
	v_lshl_add_u64 v[10:11], v[2:3], 0, v[10:11]
	s_andn2_b64 exec, exec, s[36:37]
	s_cbranch_execz .LBB111_79
.LBB111_45:                             ; =>This Inner Loop Header: Depth=1
	ds_read2st64_b64 v[2:5], v26 offset1:64
	s_waitcnt lgkmcnt(0)
	s_barrier
	v_cmp_gt_i64_e64 s[30:31], s[42:43], v[2:3]
	s_bcnt1_i32_b64 s46, s[30:31]
	s_nop 0
	v_and_b32_e32 v13, s30, v8
	v_and_b32_e32 v12, s31, v9
	v_bcnt_u32_b32 v13, v13, 0
	v_mov_b32_e32 v6, s46
	v_bcnt_u32_b32 v12, v12, v13
	ds_write_b64 v14, v[6:7]
	s_waitcnt lgkmcnt(0)
	s_barrier
	s_and_saveexec_b64 s[46:47], s[0:1]
	s_cbranch_execnz .LBB111_62
; %bb.46:                               ;   in Loop: Header=BB111_45 Depth=1
	s_or_b64 exec, exec, s[46:47]
	s_and_saveexec_b64 s[46:47], s[2:3]
	s_cbranch_execnz .LBB111_63
.LBB111_47:                             ;   in Loop: Header=BB111_45 Depth=1
	s_or_b64 exec, exec, s[46:47]
	s_and_saveexec_b64 s[46:47], s[4:5]
	s_cbranch_execnz .LBB111_64
.LBB111_48:                             ;   in Loop: Header=BB111_45 Depth=1
	s_or_b64 exec, exec, s[46:47]
	s_and_saveexec_b64 s[46:47], s[6:7]
	s_cbranch_execnz .LBB111_65
.LBB111_49:                             ;   in Loop: Header=BB111_45 Depth=1
	s_or_b64 exec, exec, s[46:47]
	s_and_saveexec_b64 s[46:47], s[8:9]
	s_cbranch_execnz .LBB111_66
.LBB111_50:                             ;   in Loop: Header=BB111_45 Depth=1
	s_or_b64 exec, exec, s[46:47]
	s_and_saveexec_b64 s[46:47], s[10:11]
	s_cbranch_execnz .LBB111_67
.LBB111_51:                             ;   in Loop: Header=BB111_45 Depth=1
	s_or_b64 exec, exec, s[46:47]
	s_and_saveexec_b64 s[46:47], s[12:13]
	s_cbranch_execnz .LBB111_68
.LBB111_52:                             ;   in Loop: Header=BB111_45 Depth=1
	s_or_b64 exec, exec, s[46:47]
	s_and_saveexec_b64 s[46:47], s[14:15]
	s_cbranch_execnz .LBB111_69
.LBB111_53:                             ;   in Loop: Header=BB111_45 Depth=1
	s_or_b64 exec, exec, s[46:47]
	s_and_saveexec_b64 s[46:47], s[16:17]
	s_cbranch_execnz .LBB111_70
.LBB111_54:                             ;   in Loop: Header=BB111_45 Depth=1
	s_or_b64 exec, exec, s[46:47]
	s_and_saveexec_b64 s[46:47], s[18:19]
	s_cbranch_execnz .LBB111_71
.LBB111_55:                             ;   in Loop: Header=BB111_45 Depth=1
	s_or_b64 exec, exec, s[46:47]
	s_and_saveexec_b64 s[46:47], s[20:21]
	s_cbranch_execnz .LBB111_72
.LBB111_56:                             ;   in Loop: Header=BB111_45 Depth=1
	s_or_b64 exec, exec, s[46:47]
	s_and_saveexec_b64 s[46:47], s[22:23]
	s_cbranch_execnz .LBB111_73
.LBB111_57:                             ;   in Loop: Header=BB111_45 Depth=1
	s_or_b64 exec, exec, s[46:47]
	s_and_saveexec_b64 s[46:47], s[24:25]
	s_cbranch_execnz .LBB111_74
.LBB111_58:                             ;   in Loop: Header=BB111_45 Depth=1
	s_or_b64 exec, exec, s[46:47]
	s_and_saveexec_b64 s[46:47], s[26:27]
	s_cbranch_execnz .LBB111_75
.LBB111_59:                             ;   in Loop: Header=BB111_45 Depth=1
	s_or_b64 exec, exec, s[46:47]
	s_and_saveexec_b64 s[46:47], s[28:29]
	s_cbranch_execnz .LBB111_76
.LBB111_60:                             ;   in Loop: Header=BB111_45 Depth=1
	s_or_b64 exec, exec, s[46:47]
	v_ashrrev_i32_e32 v13, 31, v12
	s_and_saveexec_b64 s[46:47], s[30:31]
	s_cbranch_execnz .LBB111_77
.LBB111_61:                             ;   in Loop: Header=BB111_45 Depth=1
	s_or_b64 exec, exec, s[46:47]
	s_and_saveexec_b64 s[30:31], vcc
	s_cbranch_execz .LBB111_44
	s_branch .LBB111_78
.LBB111_62:                             ;   in Loop: Header=BB111_45 Depth=1
	v_mov_b32_e32 v6, s33
	ds_read_b32 v6, v6
	s_waitcnt lgkmcnt(0)
	v_add_u32_e32 v12, v6, v12
	s_or_b64 exec, exec, s[46:47]
	s_and_saveexec_b64 s[46:47], s[2:3]
	s_cbranch_execz .LBB111_47
.LBB111_63:                             ;   in Loop: Header=BB111_45 Depth=1
	v_mov_b32_e32 v6, s39
	ds_read_b32 v6, v6
	s_waitcnt lgkmcnt(0)
	v_add_u32_e32 v12, v12, v6
	s_or_b64 exec, exec, s[46:47]
	s_and_saveexec_b64 s[46:47], s[4:5]
	s_cbranch_execz .LBB111_48
.LBB111_64:                             ;   in Loop: Header=BB111_45 Depth=1
	v_mov_b32_e32 v6, s48
	ds_read_b32 v6, v6
	s_waitcnt lgkmcnt(0)
	v_add_u32_e32 v12, v12, v6
	s_or_b64 exec, exec, s[46:47]
	s_and_saveexec_b64 s[46:47], s[6:7]
	s_cbranch_execz .LBB111_49
.LBB111_65:                             ;   in Loop: Header=BB111_45 Depth=1
	v_mov_b32_e32 v6, s49
	ds_read_b32 v6, v6
	s_waitcnt lgkmcnt(0)
	v_add_u32_e32 v12, v12, v6
	s_or_b64 exec, exec, s[46:47]
	s_and_saveexec_b64 s[46:47], s[8:9]
	s_cbranch_execz .LBB111_50
.LBB111_66:                             ;   in Loop: Header=BB111_45 Depth=1
	v_mov_b32_e32 v6, s50
	ds_read_b32 v6, v6
	s_waitcnt lgkmcnt(0)
	v_add_u32_e32 v12, v12, v6
	s_or_b64 exec, exec, s[46:47]
	s_and_saveexec_b64 s[46:47], s[10:11]
	s_cbranch_execz .LBB111_51
.LBB111_67:                             ;   in Loop: Header=BB111_45 Depth=1
	v_mov_b32_e32 v6, s51
	ds_read_b32 v6, v6
	s_waitcnt lgkmcnt(0)
	v_add_u32_e32 v12, v12, v6
	s_or_b64 exec, exec, s[46:47]
	s_and_saveexec_b64 s[46:47], s[12:13]
	s_cbranch_execz .LBB111_52
.LBB111_68:                             ;   in Loop: Header=BB111_45 Depth=1
	v_mov_b32_e32 v6, s52
	ds_read_b32 v6, v6
	s_waitcnt lgkmcnt(0)
	v_add_u32_e32 v12, v12, v6
	s_or_b64 exec, exec, s[46:47]
	s_and_saveexec_b64 s[46:47], s[14:15]
	s_cbranch_execz .LBB111_53
.LBB111_69:                             ;   in Loop: Header=BB111_45 Depth=1
	v_mov_b32_e32 v6, s53
	ds_read_b32 v6, v6
	s_waitcnt lgkmcnt(0)
	v_add_u32_e32 v12, v12, v6
	s_or_b64 exec, exec, s[46:47]
	s_and_saveexec_b64 s[46:47], s[16:17]
	s_cbranch_execz .LBB111_54
.LBB111_70:                             ;   in Loop: Header=BB111_45 Depth=1
	v_mov_b32_e32 v6, s54
	ds_read_b32 v6, v6
	s_waitcnt lgkmcnt(0)
	v_add_u32_e32 v12, v12, v6
	s_or_b64 exec, exec, s[46:47]
	s_and_saveexec_b64 s[46:47], s[18:19]
	s_cbranch_execz .LBB111_55
.LBB111_71:                             ;   in Loop: Header=BB111_45 Depth=1
	v_mov_b32_e32 v6, s55
	ds_read_b32 v6, v6
	s_waitcnt lgkmcnt(0)
	v_add_u32_e32 v12, v12, v6
	s_or_b64 exec, exec, s[46:47]
	s_and_saveexec_b64 s[46:47], s[20:21]
	s_cbranch_execz .LBB111_56
.LBB111_72:                             ;   in Loop: Header=BB111_45 Depth=1
	v_mov_b32_e32 v6, s56
	ds_read_b32 v6, v6
	s_waitcnt lgkmcnt(0)
	v_add_u32_e32 v12, v12, v6
	s_or_b64 exec, exec, s[46:47]
	s_and_saveexec_b64 s[46:47], s[22:23]
	s_cbranch_execz .LBB111_57
.LBB111_73:                             ;   in Loop: Header=BB111_45 Depth=1
	v_mov_b32_e32 v6, s57
	ds_read_b32 v6, v6
	s_waitcnt lgkmcnt(0)
	v_add_u32_e32 v12, v12, v6
	s_or_b64 exec, exec, s[46:47]
	s_and_saveexec_b64 s[46:47], s[24:25]
	s_cbranch_execz .LBB111_58
.LBB111_74:                             ;   in Loop: Header=BB111_45 Depth=1
	v_mov_b32_e32 v6, s58
	ds_read_b32 v6, v6
	s_waitcnt lgkmcnt(0)
	v_add_u32_e32 v12, v12, v6
	s_or_b64 exec, exec, s[46:47]
	s_and_saveexec_b64 s[46:47], s[26:27]
	s_cbranch_execz .LBB111_59
.LBB111_75:                             ;   in Loop: Header=BB111_45 Depth=1
	v_mov_b32_e32 v6, s59
	ds_read_b32 v6, v6
	s_waitcnt lgkmcnt(0)
	v_add_u32_e32 v12, v12, v6
	s_or_b64 exec, exec, s[46:47]
	s_and_saveexec_b64 s[46:47], s[28:29]
	s_cbranch_execz .LBB111_60
.LBB111_76:                             ;   in Loop: Header=BB111_45 Depth=1
	v_mov_b32_e32 v6, s60
	ds_read_b32 v6, v6
	s_waitcnt lgkmcnt(0)
	v_add_u32_e32 v12, v12, v6
	s_or_b64 exec, exec, s[46:47]
	v_ashrrev_i32_e32 v13, 31, v12
	s_and_saveexec_b64 s[46:47], s[30:31]
	s_cbranch_execz .LBB111_61
.LBB111_77:                             ;   in Loop: Header=BB111_45 Depth=1
	v_add3_u32 v6, v10, -1, v12
	v_lshl_add_u32 v6, v6, 3, 0
	v_add_u32_e32 v16, v10, v12
	v_lshl_add_u32 v16, v16, 3, 0
	ds_write_b64 v6, v[2:3]
	ds_write_b64 v16, v[4:5] offset:32760
	s_or_b64 exec, exec, s[46:47]
	s_and_saveexec_b64 s[30:31], vcc
	s_cbranch_execz .LBB111_44
.LBB111_78:                             ;   in Loop: Header=BB111_45 Depth=1
	v_mov_b32_e32 v2, s61
	ds_write_b64 v2, v[12:13]
	s_branch .LBB111_44
.LBB111_79:
	s_or_b64 exec, exec, s[36:37]
	s_lshl_b64 s[0:1], s[44:45], 3
	s_add_u32 s4, s40, s0
	s_addc_u32 s5, s41, s1
	s_load_dwordx4 s[0:3], s[4:5], 0x0
	v_mov_b32_e32 v1, 0
	s_waitcnt lgkmcnt(0)
	s_sub_u32 s4, s2, s0
	s_subb_u32 s5, s3, s1
	v_cmp_gt_i64_e32 vcc, s[4:5], v[0:1]
	s_and_saveexec_b64 s[6:7], vcc
	s_cbranch_execz .LBB111_89
; %bb.80:
	s_sub_u32 s8, s0, s38
	s_subb_u32 s9, s1, 0
	s_and_b32 s6, s4, 7
	s_sub_u32 s0, s0, s2
	s_mov_b32 s7, 0
	s_subb_u32 s1, s1, s3
	s_and_b32 s10, s4, -8
	s_cmp_lg_u64 s[6:7], 0
	v_cmp_lt_u64_e64 s[0:1], s[0:1], -7
	s_cselect_b64 s[2:3], -1, 0
	s_mov_b32 s11, s5
	v_cndmask_b32_e64 v2, 0, 1, s[0:1]
	v_cmp_ne_u32_e64 s[0:1], 1, v2
	v_cndmask_b32_e64 v2, 0, 1, s[2:3]
	s_mov_b64 s[12:13], 0
	v_cmp_ne_u32_e64 s[2:3], 1, v2
	s_mov_b64 s[14:15], 0x400
	s_branch .LBB111_82
.LBB111_81:                             ;   in Loop: Header=BB111_82 Depth=1
	v_lshl_add_u64 v[0:1], v[0:1], 0, s[14:15]
	v_cmp_le_i64_e32 vcc, s[4:5], v[0:1]
	s_waitcnt lgkmcnt(0)
	v_lshl_add_u64 v[2:3], v[6:7], 3, s[34:35]
	s_or_b64 s[12:13], vcc, s[12:13]
	global_store_dwordx2 v[2:3], v[4:5], off
	s_andn2_b64 exec, exec, s[12:13]
	s_cbranch_execz .LBB111_89
.LBB111_82:                             ; =>This Loop Header: Depth=1
                                        ;     Child Loop BB111_84 Depth 2
                                        ;     Child Loop BB111_88 Depth 2
	v_lshl_add_u32 v2, v0, 3, 0
	ds_read2st64_b64 v[2:5], v2 offset1:64
	s_and_b64 vcc, exec, s[0:1]
	v_mov_b64_e32 v[6:7], s[8:9]
	s_mov_b64 s[16:17], 0
	s_cbranch_vccnz .LBB111_86
; %bb.83:                               ;   in Loop: Header=BB111_82 Depth=1
	s_mov_b32 s18, 0
	v_mov_b64_e32 v[6:7], s[8:9]
.LBB111_84:                             ;   Parent Loop BB111_82 Depth=1
                                        ; =>  This Inner Loop Header: Depth=2
	v_mov_b32_e32 v20, s18
	ds_read2_b64 v[8:11], v20 offset1:1
	ds_read2_b64 v[12:15], v20 offset0:2 offset1:3
	ds_read2_b64 v[16:19], v20 offset0:4 offset1:5
	;; [unrolled: 1-line block ×3, first 2 shown]
	v_mov_b32_e32 v25, s7
	s_waitcnt lgkmcnt(3)
	v_cmp_gt_i64_e32 vcc, v[2:3], v[8:9]
	v_mov_b32_e32 v27, s7
	v_mov_b32_e32 v29, s7
	v_cndmask_b32_e64 v24, 0, 1, vcc
	v_cmp_gt_i64_e32 vcc, v[2:3], v[10:11]
	v_lshl_add_u64 v[6:7], v[6:7], 0, v[24:25]
	v_mov_b32_e32 v31, s7
	v_cndmask_b32_e64 v26, 0, 1, vcc
	s_waitcnt lgkmcnt(2)
	v_cmp_gt_i64_e32 vcc, v[2:3], v[12:13]
	v_lshl_add_u64 v[6:7], v[6:7], 0, v[26:27]
	v_mov_b32_e32 v33, s7
	v_cndmask_b32_e64 v28, 0, 1, vcc
	v_cmp_gt_i64_e32 vcc, v[2:3], v[14:15]
	v_lshl_add_u64 v[6:7], v[6:7], 0, v[28:29]
	v_mov_b32_e32 v35, s7
	v_cndmask_b32_e64 v30, 0, 1, vcc
	s_waitcnt lgkmcnt(1)
	v_cmp_gt_i64_e32 vcc, v[2:3], v[16:17]
	v_lshl_add_u64 v[6:7], v[6:7], 0, v[30:31]
	v_mov_b32_e32 v37, s7
	v_cndmask_b32_e64 v32, 0, 1, vcc
	v_cmp_gt_i64_e32 vcc, v[2:3], v[18:19]
	v_lshl_add_u64 v[6:7], v[6:7], 0, v[32:33]
	s_add_u32 s16, s16, 8
	v_cndmask_b32_e64 v34, 0, 1, vcc
	s_waitcnt lgkmcnt(0)
	v_cmp_gt_i64_e32 vcc, v[2:3], v[20:21]
	v_lshl_add_u64 v[6:7], v[6:7], 0, v[34:35]
	v_mov_b32_e32 v39, s7
	v_cndmask_b32_e64 v36, 0, 1, vcc
	v_cmp_gt_i64_e32 vcc, v[2:3], v[22:23]
	s_addc_u32 s17, s17, 0
	s_add_i32 s18, s18, 64
	v_cndmask_b32_e64 v38, 0, 1, vcc
	v_lshl_add_u64 v[6:7], v[6:7], 0, v[36:37]
	s_cmp_eq_u64 s[10:11], s[16:17]
	v_lshl_add_u64 v[6:7], v[6:7], 0, v[38:39]
	s_cbranch_scc0 .LBB111_84
; %bb.85:                               ;   in Loop: Header=BB111_82 Depth=1
	s_mov_b64 s[16:17], s[10:11]
.LBB111_86:                             ;   in Loop: Header=BB111_82 Depth=1
	s_and_b64 vcc, exec, s[2:3]
	s_cbranch_vccnz .LBB111_81
; %bb.87:                               ;   in Loop: Header=BB111_82 Depth=1
	s_lshl_b32 s16, s16, 3
	s_add_i32 s18, s16, 0
	s_mov_b64 s[16:17], s[6:7]
.LBB111_88:                             ;   Parent Loop BB111_82 Depth=1
                                        ; =>  This Inner Loop Header: Depth=2
	v_mov_b32_e32 v8, s18
	ds_read_b64 v[10:11], v8
	s_add_i32 s18, s18, 8
	s_add_u32 s16, s16, -1
	v_mov_b32_e32 v9, s7
	s_addc_u32 s17, s17, -1
	s_waitcnt lgkmcnt(0)
	v_cmp_gt_i64_e32 vcc, v[2:3], v[10:11]
	s_cmp_lg_u64 s[16:17], 0
	s_nop 0
	v_cndmask_b32_e64 v8, 0, 1, vcc
	v_lshl_add_u64 v[6:7], v[6:7], 0, v[8:9]
	s_cbranch_scc1 .LBB111_88
	s_branch .LBB111_81
.LBB111_89:
	s_endpgm
	.section	.rodata,"a",@progbits
	.p2align	6, 0x0
	.amdhsa_kernel _ZN9rocsparseL41csrgemm_numeric_fill_block_per_row_kernelILj1024ELj64ELj4096ELj137ELj64ElldEEvT5_PKS1_S3_NS_24const_host_device_scalarIT6_EEPKT4_S3_PKS5_S9_S3_SB_S6_S9_S3_SB_S9_S3_PS5_21rocsparse_index_base_SD_SD_SD_bbb
		.amdhsa_group_segment_fixed_size 0
		.amdhsa_private_segment_fixed_size 0
		.amdhsa_kernarg_size 156
		.amdhsa_user_sgpr_count 2
		.amdhsa_user_sgpr_dispatch_ptr 0
		.amdhsa_user_sgpr_queue_ptr 0
		.amdhsa_user_sgpr_kernarg_segment_ptr 1
		.amdhsa_user_sgpr_dispatch_id 0
		.amdhsa_user_sgpr_kernarg_preload_length 0
		.amdhsa_user_sgpr_kernarg_preload_offset 0
		.amdhsa_user_sgpr_private_segment_size 0
		.amdhsa_uses_dynamic_stack 0
		.amdhsa_enable_private_segment 0
		.amdhsa_system_sgpr_workgroup_id_x 1
		.amdhsa_system_sgpr_workgroup_id_y 0
		.amdhsa_system_sgpr_workgroup_id_z 0
		.amdhsa_system_sgpr_workgroup_info 0
		.amdhsa_system_vgpr_workitem_id 0
		.amdhsa_next_free_vgpr 40
		.amdhsa_next_free_sgpr 63
		.amdhsa_accum_offset 40
		.amdhsa_reserve_vcc 1
		.amdhsa_float_round_mode_32 0
		.amdhsa_float_round_mode_16_64 0
		.amdhsa_float_denorm_mode_32 3
		.amdhsa_float_denorm_mode_16_64 3
		.amdhsa_dx10_clamp 1
		.amdhsa_ieee_mode 1
		.amdhsa_fp16_overflow 0
		.amdhsa_tg_split 0
		.amdhsa_exception_fp_ieee_invalid_op 0
		.amdhsa_exception_fp_denorm_src 0
		.amdhsa_exception_fp_ieee_div_zero 0
		.amdhsa_exception_fp_ieee_overflow 0
		.amdhsa_exception_fp_ieee_underflow 0
		.amdhsa_exception_fp_ieee_inexact 0
		.amdhsa_exception_int_div_zero 0
	.end_amdhsa_kernel
	.section	.text._ZN9rocsparseL41csrgemm_numeric_fill_block_per_row_kernelILj1024ELj64ELj4096ELj137ELj64ElldEEvT5_PKS1_S3_NS_24const_host_device_scalarIT6_EEPKT4_S3_PKS5_S9_S3_SB_S6_S9_S3_SB_S9_S3_PS5_21rocsparse_index_base_SD_SD_SD_bbb,"axG",@progbits,_ZN9rocsparseL41csrgemm_numeric_fill_block_per_row_kernelILj1024ELj64ELj4096ELj137ELj64ElldEEvT5_PKS1_S3_NS_24const_host_device_scalarIT6_EEPKT4_S3_PKS5_S9_S3_SB_S6_S9_S3_SB_S9_S3_PS5_21rocsparse_index_base_SD_SD_SD_bbb,comdat
.Lfunc_end111:
	.size	_ZN9rocsparseL41csrgemm_numeric_fill_block_per_row_kernelILj1024ELj64ELj4096ELj137ELj64ElldEEvT5_PKS1_S3_NS_24const_host_device_scalarIT6_EEPKT4_S3_PKS5_S9_S3_SB_S6_S9_S3_SB_S9_S3_PS5_21rocsparse_index_base_SD_SD_SD_bbb, .Lfunc_end111-_ZN9rocsparseL41csrgemm_numeric_fill_block_per_row_kernelILj1024ELj64ELj4096ELj137ELj64ElldEEvT5_PKS1_S3_NS_24const_host_device_scalarIT6_EEPKT4_S3_PKS5_S9_S3_SB_S6_S9_S3_SB_S9_S3_PS5_21rocsparse_index_base_SD_SD_SD_bbb
                                        ; -- End function
	.set _ZN9rocsparseL41csrgemm_numeric_fill_block_per_row_kernelILj1024ELj64ELj4096ELj137ELj64ElldEEvT5_PKS1_S3_NS_24const_host_device_scalarIT6_EEPKT4_S3_PKS5_S9_S3_SB_S6_S9_S3_SB_S9_S3_PS5_21rocsparse_index_base_SD_SD_SD_bbb.num_vgpr, 40
	.set _ZN9rocsparseL41csrgemm_numeric_fill_block_per_row_kernelILj1024ELj64ELj4096ELj137ELj64ElldEEvT5_PKS1_S3_NS_24const_host_device_scalarIT6_EEPKT4_S3_PKS5_S9_S3_SB_S6_S9_S3_SB_S9_S3_PS5_21rocsparse_index_base_SD_SD_SD_bbb.num_agpr, 0
	.set _ZN9rocsparseL41csrgemm_numeric_fill_block_per_row_kernelILj1024ELj64ELj4096ELj137ELj64ElldEEvT5_PKS1_S3_NS_24const_host_device_scalarIT6_EEPKT4_S3_PKS5_S9_S3_SB_S6_S9_S3_SB_S9_S3_PS5_21rocsparse_index_base_SD_SD_SD_bbb.numbered_sgpr, 63
	.set _ZN9rocsparseL41csrgemm_numeric_fill_block_per_row_kernelILj1024ELj64ELj4096ELj137ELj64ElldEEvT5_PKS1_S3_NS_24const_host_device_scalarIT6_EEPKT4_S3_PKS5_S9_S3_SB_S6_S9_S3_SB_S9_S3_PS5_21rocsparse_index_base_SD_SD_SD_bbb.num_named_barrier, 0
	.set _ZN9rocsparseL41csrgemm_numeric_fill_block_per_row_kernelILj1024ELj64ELj4096ELj137ELj64ElldEEvT5_PKS1_S3_NS_24const_host_device_scalarIT6_EEPKT4_S3_PKS5_S9_S3_SB_S6_S9_S3_SB_S9_S3_PS5_21rocsparse_index_base_SD_SD_SD_bbb.private_seg_size, 0
	.set _ZN9rocsparseL41csrgemm_numeric_fill_block_per_row_kernelILj1024ELj64ELj4096ELj137ELj64ElldEEvT5_PKS1_S3_NS_24const_host_device_scalarIT6_EEPKT4_S3_PKS5_S9_S3_SB_S6_S9_S3_SB_S9_S3_PS5_21rocsparse_index_base_SD_SD_SD_bbb.uses_vcc, 1
	.set _ZN9rocsparseL41csrgemm_numeric_fill_block_per_row_kernelILj1024ELj64ELj4096ELj137ELj64ElldEEvT5_PKS1_S3_NS_24const_host_device_scalarIT6_EEPKT4_S3_PKS5_S9_S3_SB_S6_S9_S3_SB_S9_S3_PS5_21rocsparse_index_base_SD_SD_SD_bbb.uses_flat_scratch, 0
	.set _ZN9rocsparseL41csrgemm_numeric_fill_block_per_row_kernelILj1024ELj64ELj4096ELj137ELj64ElldEEvT5_PKS1_S3_NS_24const_host_device_scalarIT6_EEPKT4_S3_PKS5_S9_S3_SB_S6_S9_S3_SB_S9_S3_PS5_21rocsparse_index_base_SD_SD_SD_bbb.has_dyn_sized_stack, 0
	.set _ZN9rocsparseL41csrgemm_numeric_fill_block_per_row_kernelILj1024ELj64ELj4096ELj137ELj64ElldEEvT5_PKS1_S3_NS_24const_host_device_scalarIT6_EEPKT4_S3_PKS5_S9_S3_SB_S6_S9_S3_SB_S9_S3_PS5_21rocsparse_index_base_SD_SD_SD_bbb.has_recursion, 0
	.set _ZN9rocsparseL41csrgemm_numeric_fill_block_per_row_kernelILj1024ELj64ELj4096ELj137ELj64ElldEEvT5_PKS1_S3_NS_24const_host_device_scalarIT6_EEPKT4_S3_PKS5_S9_S3_SB_S6_S9_S3_SB_S9_S3_PS5_21rocsparse_index_base_SD_SD_SD_bbb.has_indirect_call, 0
	.section	.AMDGPU.csdata,"",@progbits
; Kernel info:
; codeLenInByte = 3344
; TotalNumSgprs: 69
; NumVgprs: 40
; NumAgprs: 0
; TotalNumVgprs: 40
; ScratchSize: 0
; MemoryBound: 0
; FloatMode: 240
; IeeeMode: 1
; LDSByteSize: 0 bytes/workgroup (compile time only)
; SGPRBlocks: 8
; VGPRBlocks: 4
; NumSGPRsForWavesPerEU: 69
; NumVGPRsForWavesPerEU: 40
; AccumOffset: 40
; Occupancy: 8
; WaveLimiterHint : 1
; COMPUTE_PGM_RSRC2:SCRATCH_EN: 0
; COMPUTE_PGM_RSRC2:USER_SGPR: 2
; COMPUTE_PGM_RSRC2:TRAP_HANDLER: 0
; COMPUTE_PGM_RSRC2:TGID_X_EN: 1
; COMPUTE_PGM_RSRC2:TGID_Y_EN: 0
; COMPUTE_PGM_RSRC2:TGID_Z_EN: 0
; COMPUTE_PGM_RSRC2:TIDIG_COMP_CNT: 0
; COMPUTE_PGM_RSRC3_GFX90A:ACCUM_OFFSET: 9
; COMPUTE_PGM_RSRC3_GFX90A:TG_SPLIT: 0
	.section	.text._ZN9rocsparseL41csrgemm_numeric_fill_block_per_row_kernelILj1024ELj64ELj8192ELj137ELj32ElldEEvT5_PKS1_S3_NS_24const_host_device_scalarIT6_EEPKT4_S3_PKS5_S9_S3_SB_S6_S9_S3_SB_S9_S3_PS5_21rocsparse_index_base_SD_SD_SD_bbb,"axG",@progbits,_ZN9rocsparseL41csrgemm_numeric_fill_block_per_row_kernelILj1024ELj64ELj8192ELj137ELj32ElldEEvT5_PKS1_S3_NS_24const_host_device_scalarIT6_EEPKT4_S3_PKS5_S9_S3_SB_S6_S9_S3_SB_S9_S3_PS5_21rocsparse_index_base_SD_SD_SD_bbb,comdat
	.globl	_ZN9rocsparseL41csrgemm_numeric_fill_block_per_row_kernelILj1024ELj64ELj8192ELj137ELj32ElldEEvT5_PKS1_S3_NS_24const_host_device_scalarIT6_EEPKT4_S3_PKS5_S9_S3_SB_S6_S9_S3_SB_S9_S3_PS5_21rocsparse_index_base_SD_SD_SD_bbb ; -- Begin function _ZN9rocsparseL41csrgemm_numeric_fill_block_per_row_kernelILj1024ELj64ELj8192ELj137ELj32ElldEEvT5_PKS1_S3_NS_24const_host_device_scalarIT6_EEPKT4_S3_PKS5_S9_S3_SB_S6_S9_S3_SB_S9_S3_PS5_21rocsparse_index_base_SD_SD_SD_bbb
	.p2align	8
	.type	_ZN9rocsparseL41csrgemm_numeric_fill_block_per_row_kernelILj1024ELj64ELj8192ELj137ELj32ElldEEvT5_PKS1_S3_NS_24const_host_device_scalarIT6_EEPKT4_S3_PKS5_S9_S3_SB_S6_S9_S3_SB_S9_S3_PS5_21rocsparse_index_base_SD_SD_SD_bbb,@function
_ZN9rocsparseL41csrgemm_numeric_fill_block_per_row_kernelILj1024ELj64ELj8192ELj137ELj32ElldEEvT5_PKS1_S3_NS_24const_host_device_scalarIT6_EEPKT4_S3_PKS5_S9_S3_SB_S6_S9_S3_SB_S9_S3_PS5_21rocsparse_index_base_SD_SD_SD_bbb: ; @_ZN9rocsparseL41csrgemm_numeric_fill_block_per_row_kernelILj1024ELj64ELj8192ELj137ELj32ElldEEvT5_PKS1_S3_NS_24const_host_device_scalarIT6_EEPKT4_S3_PKS5_S9_S3_SB_S6_S9_S3_SB_S9_S3_PS5_21rocsparse_index_base_SD_SD_SD_bbb
; %bb.0:
	s_load_dword s3, s[0:1], 0x98
	s_load_dwordx4 s[4:7], s[0:1], 0x8
	s_load_dwordx2 s[12:13], s[0:1], 0x18
	s_load_dwordx4 s[44:47], s[0:1], 0x88
	s_load_dwordx2 s[10:11], s[0:1], 0x50
	s_waitcnt lgkmcnt(0)
	s_bitcmp1_b32 s3, 0
	s_cselect_b64 s[8:9], -1, 0
	s_bitcmp1_b32 s3, 16
	s_cselect_b64 s[14:15], -1, 0
	s_xor_b64 s[16:17], s[8:9], -1
	s_or_b64 s[16:17], s[14:15], s[16:17]
	s_and_b64 s[18:19], s[8:9], exec
	s_cselect_b32 s19, s13, 0
	s_cselect_b32 s18, s12, 0
	s_and_b64 vcc, exec, s[16:17]
	v_mov_b64_e32 v[4:5], s[18:19]
	s_cbranch_vccnz .LBB112_2
; %bb.1:
	v_mov_b64_e32 v[2:3], s[12:13]
	flat_load_dwordx2 v[4:5], v[2:3]
.LBB112_2:
	s_bitcmp1_b32 s3, 8
	s_cselect_b64 s[12:13], -1, 0
	s_xor_b64 s[16:17], s[12:13], -1
	s_or_b64 s[14:15], s[14:15], s[16:17]
	s_and_b64 s[16:17], s[12:13], exec
	s_cselect_b32 s17, s11, 0
	s_cselect_b32 s16, s10, 0
	s_and_b64 vcc, exec, s[14:15]
	v_mov_b64_e32 v[2:3], s[16:17]
	s_cbranch_vccnz .LBB112_4
; %bb.3:
	v_mov_b64_e32 v[2:3], s[10:11]
	flat_load_dwordx2 v[2:3], v[2:3]
.LBB112_4:
	s_load_dwordx2 s[68:69], s[0:1], 0x0
	s_mov_b32 s10, 0
	v_lshl_add_u32 v1, v0, 3, 0
	s_mov_b32 s11, s10
	v_add_u32_e32 v12, 0x10000, v1
	s_waitcnt lgkmcnt(0)
	v_mov_b64_e32 v[6:7], s[68:69]
	v_mov_b64_e32 v[10:11], s[68:69]
	;; [unrolled: 1-line block ×3, first 2 shown]
	ds_write2st64_b64 v1, v[6:7], v[10:11] offset1:16
	ds_write2st64_b64 v12, v[8:9], v[8:9] offset1:16
	ds_write2st64_b64 v1, v[6:7], v[10:11] offset0:32 offset1:48
	ds_write2st64_b64 v12, v[8:9], v[8:9] offset0:32 offset1:48
	ds_write2st64_b64 v1, v[6:7], v[10:11] offset0:64 offset1:80
	ds_write2st64_b64 v12, v[8:9], v[8:9] offset0:64 offset1:80
	ds_write2st64_b64 v1, v[6:7], v[10:11] offset0:96 offset1:112
	ds_write2st64_b64 v12, v[8:9], v[8:9] offset0:96 offset1:112
	s_waitcnt lgkmcnt(0)
	s_barrier
	s_load_dwordx2 s[4:5], s[4:5], 0x0
	s_mov_b32 s3, s10
	s_waitcnt lgkmcnt(0)
	s_lshl_b64 s[4:5], s[4:5], 3
	s_add_u32 s4, s6, s4
	s_addc_u32 s5, s7, s5
	s_lshl_b64 s[2:3], s[2:3], 3
	s_add_u32 s2, s4, s2
	s_addc_u32 s3, s5, s3
	s_load_dwordx2 s[42:43], s[2:3], 0x0
	s_andn2_b64 vcc, exec, s[8:9]
	s_cbranch_vccnz .LBB112_24
; %bb.5:
	s_load_dwordx2 s[2:3], s[0:1], 0x20
	s_waitcnt lgkmcnt(0)
	s_lshl_b64 s[4:5], s[42:43], 3
	v_lshrrev_b32_e32 v6, 6, v0
	v_subrev_co_u32_e32 v6, vcc, s44, v6
	s_add_u32 s2, s2, s4
	s_addc_u32 s3, s3, s5
	s_load_dwordx4 s[4:7], s[2:3], 0x0
	v_subb_co_u32_e64 v7, s[2:3], 0, 0, vcc
	s_waitcnt lgkmcnt(0)
	s_sub_u32 s2, s6, s44
	s_subb_u32 s3, s7, 0
	v_lshl_add_u64 v[6:7], s[4:5], 0, v[6:7]
	v_cmp_gt_i64_e32 vcc, s[2:3], v[6:7]
	s_and_saveexec_b64 s[14:15], vcc
	s_cbranch_execz .LBB112_23
; %bb.6:
	s_load_dwordx8 s[4:11], s[0:1], 0x28
	s_load_dwordx2 s[16:17], s[0:1], 0x48
	v_and_b32_e32 v8, 63, v0
	v_subrev_co_u32_e32 v8, vcc, s45, v8
	s_mov_b32 s33, s45
	s_nop 0
	v_subb_co_u32_e64 v9, s[18:19], 0, 0, vcc
	s_mov_b64 s[18:19], 0
	s_movk_i32 s40, 0x89
	s_branch .LBB112_8
.LBB112_7:                              ;   in Loop: Header=BB112_8 Depth=1
	s_or_b64 exec, exec, s[20:21]
	v_lshl_add_u64 v[6:7], v[6:7], 0, 16
	v_cmp_le_i64_e32 vcc, s[2:3], v[6:7]
	s_or_b64 s[18:19], vcc, s[18:19]
	s_andn2_b64 exec, exec, s[18:19]
	s_cbranch_execz .LBB112_23
.LBB112_8:                              ; =>This Loop Header: Depth=1
                                        ;     Child Loop BB112_12 Depth 2
                                        ;       Child Loop BB112_15 Depth 3
	s_waitcnt lgkmcnt(0)
	v_lshl_add_u64 v[10:11], v[6:7], 3, s[4:5]
	global_load_dwordx2 v[10:11], v[10:11], off
	s_waitcnt vmcnt(0)
	v_subrev_co_u32_e32 v10, vcc, s44, v10
	s_nop 1
	v_subbrev_co_u32_e32 v11, vcc, 0, v11, vcc
	v_lshl_add_u64 v[10:11], v[10:11], 3, s[8:9]
	global_load_dwordx4 v[12:15], v[10:11], off
	s_waitcnt vmcnt(0)
	v_subrev_co_u32_e32 v10, vcc, s33, v14
	s_nop 1
	v_subbrev_co_u32_e32 v11, vcc, 0, v15, vcc
	v_lshl_add_u64 v[12:13], v[12:13], 0, v[8:9]
	v_cmp_lt_i64_e32 vcc, v[12:13], v[10:11]
	s_and_saveexec_b64 s[20:21], vcc
	s_cbranch_execz .LBB112_7
; %bb.9:                                ;   in Loop: Header=BB112_8 Depth=1
	v_lshl_add_u64 v[14:15], v[6:7], 3, s[6:7]
	global_load_dwordx2 v[14:15], v[14:15], off
	s_mov_b64 s[22:23], 0
	s_waitcnt vmcnt(0)
	v_mul_f64 v[14:15], v[4:5], v[14:15]
	s_branch .LBB112_12
.LBB112_10:                             ;   in Loop: Header=BB112_12 Depth=2
	s_or_b64 exec, exec, s[26:27]
.LBB112_11:                             ;   in Loop: Header=BB112_12 Depth=2
	s_or_b64 exec, exec, s[24:25]
	v_lshl_add_u32 v18, v20, 3, 0
	s_waitcnt vmcnt(0)
	v_mul_f64 v[16:17], v[14:15], v[16:17]
	v_add_u32_e32 v18, 0x10000, v18
	ds_add_f64 v18, v[16:17]
	v_lshl_add_u64 v[12:13], v[12:13], 0, 64
	v_cmp_ge_i64_e32 vcc, v[12:13], v[10:11]
	s_or_b64 s[22:23], vcc, s[22:23]
	s_andn2_b64 exec, exec, s[22:23]
	s_cbranch_execz .LBB112_7
.LBB112_12:                             ;   Parent Loop BB112_8 Depth=1
                                        ; =>  This Loop Header: Depth=2
                                        ;       Child Loop BB112_15 Depth 3
	v_lshlrev_b64 v[16:17], 3, v[12:13]
	v_lshl_add_u64 v[18:19], s[10:11], 0, v[16:17]
	global_load_dwordx2 v[18:19], v[18:19], off
	v_lshl_add_u64 v[16:17], s[16:17], 0, v[16:17]
	global_load_dwordx2 v[16:17], v[16:17], off
	s_waitcnt vmcnt(1)
	v_subrev_co_u32_e32 v18, vcc, s33, v18
	v_mul_lo_u32 v20, v18, s40
	v_and_b32_e32 v20, 0x1fff, v20
	v_lshl_add_u32 v26, v20, 3, 0
	ds_read_b64 v[24:25], v26
	v_subbrev_co_u32_e32 v19, vcc, 0, v19, vcc
	s_waitcnt lgkmcnt(0)
	v_cmp_ne_u64_e32 vcc, v[24:25], v[18:19]
	s_and_saveexec_b64 s[24:25], vcc
	s_cbranch_execz .LBB112_11
; %bb.13:                               ;   in Loop: Header=BB112_12 Depth=2
	s_mov_b64 s[26:27], 0
                                        ; implicit-def: $sgpr28_sgpr29
                                        ; implicit-def: $sgpr30_sgpr31
	s_branch .LBB112_15
.LBB112_14:                             ;   in Loop: Header=BB112_15 Depth=3
	s_or_b64 exec, exec, s[38:39]
	s_and_b64 s[34:35], exec, s[36:37]
	s_or_b64 s[26:27], s[34:35], s[26:27]
	s_andn2_b64 s[28:29], s[28:29], exec
	s_and_b64 s[34:35], s[30:31], exec
	s_or_b64 s[28:29], s[28:29], s[34:35]
	s_andn2_b64 exec, exec, s[26:27]
	s_cbranch_execz .LBB112_21
.LBB112_15:                             ;   Parent Loop BB112_8 Depth=1
                                        ;     Parent Loop BB112_12 Depth=2
                                        ; =>    This Inner Loop Header: Depth=3
	v_mov_b64_e32 v[22:23], v[20:21]
	v_cmp_ne_u64_e32 vcc, s[68:69], v[24:25]
	s_mov_b64 s[34:35], 0
                                        ; implicit-def: $vgpr20_vgpr21
	s_and_saveexec_b64 s[36:37], vcc
	s_xor_b64 s[36:37], exec, s[36:37]
; %bb.16:                               ;   in Loop: Header=BB112_15 Depth=3
	v_add_u32_e32 v20, 1, v22
	s_mov_b64 s[34:35], exec
	v_and_b32_e32 v20, 0x1fff, v20
                                        ; implicit-def: $vgpr26
; %bb.17:                               ;   in Loop: Header=BB112_15 Depth=3
	s_andn2_saveexec_b64 s[36:37], s[36:37]
	s_cbranch_execz .LBB112_19
; %bb.18:                               ;   in Loop: Header=BB112_15 Depth=3
	v_mov_b64_e32 v[20:21], s[68:69]
	ds_cmpst_rtn_b64 v[20:21], v26, v[20:21], v[18:19]
	s_andn2_b64 s[34:35], s[34:35], exec
	s_waitcnt lgkmcnt(0)
	v_cmp_ne_u64_e32 vcc, s[68:69], v[20:21]
	s_and_b64 s[38:39], vcc, exec
	s_or_b64 s[34:35], s[34:35], s[38:39]
	v_mov_b64_e32 v[20:21], v[22:23]
.LBB112_19:                             ;   in Loop: Header=BB112_15 Depth=3
	s_or_b64 exec, exec, s[36:37]
	s_mov_b64 s[36:37], -1
	s_or_b64 s[30:31], s[30:31], exec
                                        ; implicit-def: $vgpr26
                                        ; implicit-def: $vgpr24_vgpr25
	s_and_saveexec_b64 s[38:39], s[34:35]
	s_cbranch_execz .LBB112_14
; %bb.20:                               ;   in Loop: Header=BB112_15 Depth=3
	v_lshl_add_u32 v26, v20, 3, 0
	ds_read_b64 v[24:25], v26
	s_andn2_b64 s[30:31], s[30:31], exec
	s_waitcnt lgkmcnt(0)
	v_cmp_eq_u64_e32 vcc, v[24:25], v[18:19]
	s_orn2_b64 s[36:37], vcc, exec
	s_branch .LBB112_14
.LBB112_21:                             ;   in Loop: Header=BB112_12 Depth=2
	s_or_b64 exec, exec, s[26:27]
	s_and_saveexec_b64 s[26:27], s[28:29]
	s_xor_b64 s[26:27], exec, s[26:27]
	s_cbranch_execz .LBB112_10
; %bb.22:                               ;   in Loop: Header=BB112_12 Depth=2
	v_mov_b32_e32 v20, v22
	s_branch .LBB112_10
.LBB112_23:
	s_or_b64 exec, exec, s[14:15]
.LBB112_24:
	s_load_dwordx2 s[28:29], s[0:1], 0x80
	s_load_dwordx2 s[2:3], s[0:1], 0x70
                                        ; implicit-def: $vgpr40 : SGPR spill to VGPR lane
	s_andn2_b64 vcc, exec, s[12:13]
	s_waitcnt lgkmcnt(0)
	v_writelane_b32 v40, s2, 0
	s_nop 1
	v_writelane_b32 v40, s3, 1
	s_cbranch_vccnz .LBB112_41
; %bb.25:
	s_load_dwordx2 s[2:3], s[0:1], 0x58
	s_lshl_b64 s[4:5], s[42:43], 3
	s_waitcnt vmcnt(0)
	v_subrev_co_u32_e32 v4, vcc, s47, v0
	s_waitcnt lgkmcnt(0)
	s_add_u32 s2, s2, s4
	s_addc_u32 s3, s3, s5
	s_load_dwordx4 s[4:7], s[2:3], 0x0
	v_subb_co_u32_e64 v5, s[2:3], 0, 0, vcc
	s_waitcnt lgkmcnt(0)
	s_sub_u32 s2, s6, s47
	s_subb_u32 s3, s7, 0
	v_lshl_add_u64 v[4:5], s[4:5], 0, v[4:5]
	v_cmp_gt_i64_e32 vcc, s[2:3], v[4:5]
	s_and_saveexec_b64 s[8:9], vcc
	s_cbranch_execz .LBB112_40
; %bb.26:
	s_load_dwordx4 s[4:7], s[0:1], 0x60
	s_mov_b32 s26, s47
	s_mov_b64 s[0:1], 0
	s_movk_i32 s27, 0x89
	s_mov_b64 s[10:11], 0x400
	s_branch .LBB112_29
.LBB112_27:                             ;   in Loop: Header=BB112_29 Depth=1
	s_or_b64 exec, exec, s[14:15]
.LBB112_28:                             ;   in Loop: Header=BB112_29 Depth=1
	s_or_b64 exec, exec, s[12:13]
	v_lshl_add_u32 v8, v10, 3, 0
	s_waitcnt vmcnt(0)
	v_mul_f64 v[6:7], v[2:3], v[6:7]
	v_add_u32_e32 v8, 0x10000, v8
	ds_add_f64 v8, v[6:7]
	v_lshl_add_u64 v[4:5], v[4:5], 0, s[10:11]
	v_cmp_le_i64_e32 vcc, s[2:3], v[4:5]
	s_or_b64 s[0:1], vcc, s[0:1]
	s_andn2_b64 exec, exec, s[0:1]
	s_cbranch_execz .LBB112_40
.LBB112_29:                             ; =>This Loop Header: Depth=1
                                        ;     Child Loop BB112_32 Depth 2
	v_lshlrev_b64 v[6:7], 3, v[4:5]
	s_waitcnt lgkmcnt(0)
	v_lshl_add_u64 v[8:9], s[4:5], 0, v[6:7]
	global_load_dwordx2 v[8:9], v[8:9], off
	v_lshl_add_u64 v[6:7], s[6:7], 0, v[6:7]
	global_load_dwordx2 v[6:7], v[6:7], off
	s_waitcnt vmcnt(1)
	v_subrev_co_u32_e32 v8, vcc, s26, v8
	v_mul_lo_u32 v10, v8, s27
	v_and_b32_e32 v10, 0x1fff, v10
	v_lshl_add_u32 v16, v10, 3, 0
	ds_read_b64 v[14:15], v16
	v_subbrev_co_u32_e32 v9, vcc, 0, v9, vcc
	s_waitcnt lgkmcnt(0)
	v_cmp_ne_u64_e32 vcc, v[14:15], v[8:9]
	s_and_saveexec_b64 s[12:13], vcc
	s_cbranch_execz .LBB112_28
; %bb.30:                               ;   in Loop: Header=BB112_29 Depth=1
	s_mov_b64 s[14:15], 0
                                        ; implicit-def: $sgpr16_sgpr17
                                        ; implicit-def: $sgpr18_sgpr19
	s_branch .LBB112_32
.LBB112_31:                             ;   in Loop: Header=BB112_32 Depth=2
	s_or_b64 exec, exec, s[24:25]
	s_and_b64 s[20:21], exec, s[22:23]
	s_or_b64 s[14:15], s[20:21], s[14:15]
	s_andn2_b64 s[16:17], s[16:17], exec
	s_and_b64 s[20:21], s[18:19], exec
	s_or_b64 s[16:17], s[16:17], s[20:21]
	s_andn2_b64 exec, exec, s[14:15]
	s_cbranch_execz .LBB112_38
.LBB112_32:                             ;   Parent Loop BB112_29 Depth=1
                                        ; =>  This Inner Loop Header: Depth=2
	v_mov_b64_e32 v[12:13], v[10:11]
	v_cmp_ne_u64_e32 vcc, s[68:69], v[14:15]
	s_mov_b64 s[20:21], 0
                                        ; implicit-def: $vgpr10_vgpr11
	s_and_saveexec_b64 s[22:23], vcc
	s_xor_b64 s[22:23], exec, s[22:23]
; %bb.33:                               ;   in Loop: Header=BB112_32 Depth=2
	v_add_u32_e32 v10, 1, v12
	s_mov_b64 s[20:21], exec
	v_and_b32_e32 v10, 0x1fff, v10
                                        ; implicit-def: $vgpr16
; %bb.34:                               ;   in Loop: Header=BB112_32 Depth=2
	s_andn2_saveexec_b64 s[22:23], s[22:23]
	s_cbranch_execz .LBB112_36
; %bb.35:                               ;   in Loop: Header=BB112_32 Depth=2
	v_mov_b64_e32 v[10:11], s[68:69]
	ds_cmpst_rtn_b64 v[10:11], v16, v[10:11], v[8:9]
	s_andn2_b64 s[20:21], s[20:21], exec
	s_waitcnt lgkmcnt(0)
	v_cmp_ne_u64_e32 vcc, s[68:69], v[10:11]
	s_and_b64 s[24:25], vcc, exec
	s_or_b64 s[20:21], s[20:21], s[24:25]
	v_mov_b64_e32 v[10:11], v[12:13]
.LBB112_36:                             ;   in Loop: Header=BB112_32 Depth=2
	s_or_b64 exec, exec, s[22:23]
	s_mov_b64 s[22:23], -1
	s_or_b64 s[18:19], s[18:19], exec
                                        ; implicit-def: $vgpr16
                                        ; implicit-def: $vgpr14_vgpr15
	s_and_saveexec_b64 s[24:25], s[20:21]
	s_cbranch_execz .LBB112_31
; %bb.37:                               ;   in Loop: Header=BB112_32 Depth=2
	v_lshl_add_u32 v16, v10, 3, 0
	ds_read_b64 v[14:15], v16
	s_andn2_b64 s[18:19], s[18:19], exec
	s_waitcnt lgkmcnt(0)
	v_cmp_eq_u64_e32 vcc, v[14:15], v[8:9]
	s_orn2_b64 s[22:23], vcc, exec
	s_branch .LBB112_31
.LBB112_38:                             ;   in Loop: Header=BB112_29 Depth=1
	s_or_b64 exec, exec, s[14:15]
	s_and_saveexec_b64 s[14:15], s[16:17]
	s_xor_b64 s[14:15], exec, s[14:15]
	s_cbranch_execz .LBB112_27
; %bb.39:                               ;   in Loop: Header=BB112_29 Depth=1
	v_mov_b32_e32 v10, v12
	s_branch .LBB112_27
.LBB112_40:
	s_or_b64 exec, exec, s[8:9]
.LBB112_41:
	v_writelane_b32 v40, s28, 2
	s_movk_i32 s33, 0x25f
	v_cmp_lt_u32_e64 s[34:35], s33, v0
	v_writelane_b32 v40, s29, 3
	v_writelane_b32 v40, s42, 4
	s_movk_i32 s33, 0x27f
	v_cmp_lt_u32_e64 s[36:37], s33, v0
	v_writelane_b32 v40, s43, 5
	s_movk_i32 s33, 0x29f
	v_writelane_b32 v40, s44, 6
	v_cmp_lt_u32_e64 s[38:39], s33, v0
	s_movk_i32 s33, 0x2bf
	v_writelane_b32 v40, s45, 7
	v_cmp_lt_u32_e64 s[40:41], s33, v0
	;; [unrolled: 3-line block ×4, first 2 shown]
	s_movk_i32 s33, 0x31f
	v_cmp_lt_u32_e64 s[46:47], s33, v0
	s_movk_i32 s33, 0x33f
	v_cmp_lt_u32_e64 s[48:49], s33, v0
	;; [unrolled: 2-line block ×3, first 2 shown]
	s_movk_i32 s33, 0x37f
	s_waitcnt vmcnt(0)
	v_mbcnt_lo_u32_b32 v2, -1, 0
	v_cmp_lt_u32_e64 s[52:53], s33, v0
	s_movk_i32 s33, 0x39f
	v_mbcnt_hi_u32_b32 v2, -1, v2
	v_cmp_lt_u32_e64 s[54:55], s33, v0
	s_movk_i32 s33, 0x3bf
	v_sub_u32_e32 v2, 63, v2
	s_add_i32 s0, 0, 0x20000
	v_cmp_lt_u32_e64 s[56:57], s33, v0
	s_movk_i32 s33, 0x3df
	v_lshrrev_b64 v[4:5], v2, -1
	v_lshrrev_b32_e32 v2, 2, v0
	v_writelane_b32 v40, s0, 10
	v_cmp_lt_u32_e64 s[58:59], s33, v0
	s_add_i32 s33, 0, 0x20008
	v_and_b32_e32 v2, 0xf8, v2
	v_writelane_b32 v40, s33, 11
	s_add_i32 s33, 0, 0x20010
	v_add_u32_e32 v14, s0, v2
	s_movk_i32 s0, 0x3ff
	v_writelane_b32 v40, s33, 12
	s_add_i32 s33, 0, 0x20018
	v_cmp_eq_u32_e32 vcc, s0, v0
	s_movk_i32 s0, 0x5f
	s_movk_i32 s2, 0x7f
	;; [unrolled: 1-line block ×16, first 2 shown]
	v_writelane_b32 v40, s33, 13
	s_add_i32 s33, 0, 0x20028
	v_mov_b32_e32 v3, 0
	v_cmp_lt_u32_e64 s[0:1], s0, v0
	v_cmp_lt_u32_e64 s[2:3], s2, v0
	;; [unrolled: 1-line block ×16, first 2 shown]
	v_or_b32_e32 v15, 0xfffffc00, v0
	v_mov_b64_e32 v[6:7], 0
	s_add_i32 s81, 0, 0x20020
	v_writelane_b32 v40, s33, 14
	s_add_i32 s84, 0, 0x20030
	s_add_i32 s85, 0, 0x20038
	;; [unrolled: 1-line block ×26, first 2 shown]
	v_cmp_lt_u32_e64 s[60:61], 31, v0
	v_cmp_lt_u32_e64 s[62:63], 63, v0
	s_mov_b64 s[76:77], 0
	s_waitcnt lgkmcnt(0)
	s_barrier
	s_branch .LBB112_43
.LBB112_42:                             ;   in Loop: Header=BB112_43 Depth=1
	s_or_b64 exec, exec, s[64:65]
	v_mov_b32_e32 v2, s80
	s_waitcnt lgkmcnt(0)
	s_barrier
	ds_read_b64 v[8:9], v2
	v_add_u32_e32 v15, 0x400, v15
	s_movk_i32 s64, 0x1bff
	v_cmp_lt_u32_e64 s[64:65], s64, v15
	s_or_b64 s[76:77], s[64:65], s[76:77]
	s_waitcnt lgkmcnt(0)
	v_lshl_add_u64 v[6:7], v[8:9], 0, v[6:7]
	v_add_u32_e32 v1, 0x2000, v1
	s_andn2_b64 exec, exec, s[76:77]
	s_cbranch_execz .LBB112_109
.LBB112_43:                             ; =>This Inner Loop Header: Depth=1
	ds_read_b64 v[8:9], v1
	v_add_u32_e32 v2, 0x10000, v1
	ds_read_b64 v[10:11], v2
	s_waitcnt lgkmcnt(0)
	s_barrier
	v_cmp_gt_i64_e64 s[64:65], s[68:69], v[8:9]
	s_bcnt1_i32_b64 s78, s[64:65]
	v_mov_b32_e32 v2, s78
	v_and_b32_e32 v13, s64, v4
	v_and_b32_e32 v12, s65, v5
	v_bcnt_u32_b32 v13, v13, 0
	v_bcnt_u32_b32 v12, v12, v13
	ds_write_b64 v14, v[2:3]
	s_waitcnt lgkmcnt(0)
	s_barrier
	s_and_saveexec_b64 s[78:79], s[60:61]
	s_cbranch_execnz .LBB112_76
; %bb.44:                               ;   in Loop: Header=BB112_43 Depth=1
	s_or_b64 exec, exec, s[78:79]
	s_and_saveexec_b64 s[78:79], s[62:63]
	s_cbranch_execnz .LBB112_77
.LBB112_45:                             ;   in Loop: Header=BB112_43 Depth=1
	s_or_b64 exec, exec, s[78:79]
	s_and_saveexec_b64 s[78:79], s[0:1]
	s_cbranch_execnz .LBB112_78
.LBB112_46:                             ;   in Loop: Header=BB112_43 Depth=1
	s_or_b64 exec, exec, s[78:79]
	s_and_saveexec_b64 s[78:79], s[2:3]
	s_cbranch_execnz .LBB112_79
.LBB112_47:                             ;   in Loop: Header=BB112_43 Depth=1
	s_or_b64 exec, exec, s[78:79]
	s_and_saveexec_b64 s[78:79], s[4:5]
	s_cbranch_execnz .LBB112_80
.LBB112_48:                             ;   in Loop: Header=BB112_43 Depth=1
	s_or_b64 exec, exec, s[78:79]
	s_and_saveexec_b64 s[78:79], s[6:7]
	s_cbranch_execnz .LBB112_81
.LBB112_49:                             ;   in Loop: Header=BB112_43 Depth=1
	s_or_b64 exec, exec, s[78:79]
	s_and_saveexec_b64 s[78:79], s[8:9]
	s_cbranch_execnz .LBB112_82
.LBB112_50:                             ;   in Loop: Header=BB112_43 Depth=1
	s_or_b64 exec, exec, s[78:79]
	s_and_saveexec_b64 s[78:79], s[10:11]
	s_cbranch_execnz .LBB112_83
.LBB112_51:                             ;   in Loop: Header=BB112_43 Depth=1
	s_or_b64 exec, exec, s[78:79]
	s_and_saveexec_b64 s[78:79], s[12:13]
	s_cbranch_execnz .LBB112_84
.LBB112_52:                             ;   in Loop: Header=BB112_43 Depth=1
	s_or_b64 exec, exec, s[78:79]
	s_and_saveexec_b64 s[78:79], s[14:15]
	s_cbranch_execnz .LBB112_85
.LBB112_53:                             ;   in Loop: Header=BB112_43 Depth=1
	s_or_b64 exec, exec, s[78:79]
	s_and_saveexec_b64 s[78:79], s[16:17]
	s_cbranch_execnz .LBB112_86
.LBB112_54:                             ;   in Loop: Header=BB112_43 Depth=1
	s_or_b64 exec, exec, s[78:79]
	s_and_saveexec_b64 s[78:79], s[18:19]
	s_cbranch_execnz .LBB112_87
.LBB112_55:                             ;   in Loop: Header=BB112_43 Depth=1
	s_or_b64 exec, exec, s[78:79]
	s_and_saveexec_b64 s[78:79], s[20:21]
	s_cbranch_execnz .LBB112_88
.LBB112_56:                             ;   in Loop: Header=BB112_43 Depth=1
	s_or_b64 exec, exec, s[78:79]
	s_and_saveexec_b64 s[78:79], s[22:23]
	s_cbranch_execnz .LBB112_89
.LBB112_57:                             ;   in Loop: Header=BB112_43 Depth=1
	s_or_b64 exec, exec, s[78:79]
	s_and_saveexec_b64 s[78:79], s[24:25]
	s_cbranch_execnz .LBB112_90
.LBB112_58:                             ;   in Loop: Header=BB112_43 Depth=1
	s_or_b64 exec, exec, s[78:79]
	s_and_saveexec_b64 s[78:79], s[26:27]
	s_cbranch_execnz .LBB112_91
.LBB112_59:                             ;   in Loop: Header=BB112_43 Depth=1
	s_or_b64 exec, exec, s[78:79]
	s_and_saveexec_b64 s[78:79], s[28:29]
	s_cbranch_execnz .LBB112_92
.LBB112_60:                             ;   in Loop: Header=BB112_43 Depth=1
	s_or_b64 exec, exec, s[78:79]
	s_and_saveexec_b64 s[78:79], s[30:31]
	s_cbranch_execnz .LBB112_93
.LBB112_61:                             ;   in Loop: Header=BB112_43 Depth=1
	s_or_b64 exec, exec, s[78:79]
	s_and_saveexec_b64 s[78:79], s[34:35]
	s_cbranch_execnz .LBB112_94
.LBB112_62:                             ;   in Loop: Header=BB112_43 Depth=1
	s_or_b64 exec, exec, s[78:79]
	s_and_saveexec_b64 s[78:79], s[36:37]
	s_cbranch_execnz .LBB112_95
.LBB112_63:                             ;   in Loop: Header=BB112_43 Depth=1
	s_or_b64 exec, exec, s[78:79]
	s_and_saveexec_b64 s[78:79], s[38:39]
	s_cbranch_execnz .LBB112_96
.LBB112_64:                             ;   in Loop: Header=BB112_43 Depth=1
	s_or_b64 exec, exec, s[78:79]
	s_and_saveexec_b64 s[78:79], s[40:41]
	s_cbranch_execnz .LBB112_97
.LBB112_65:                             ;   in Loop: Header=BB112_43 Depth=1
	s_or_b64 exec, exec, s[78:79]
	s_and_saveexec_b64 s[78:79], s[42:43]
	s_cbranch_execnz .LBB112_98
.LBB112_66:                             ;   in Loop: Header=BB112_43 Depth=1
	s_or_b64 exec, exec, s[78:79]
	s_and_saveexec_b64 s[78:79], s[44:45]
	s_cbranch_execnz .LBB112_99
.LBB112_67:                             ;   in Loop: Header=BB112_43 Depth=1
	s_or_b64 exec, exec, s[78:79]
	s_and_saveexec_b64 s[78:79], s[46:47]
	s_cbranch_execnz .LBB112_100
.LBB112_68:                             ;   in Loop: Header=BB112_43 Depth=1
	s_or_b64 exec, exec, s[78:79]
	s_and_saveexec_b64 s[78:79], s[48:49]
	s_cbranch_execnz .LBB112_101
.LBB112_69:                             ;   in Loop: Header=BB112_43 Depth=1
	s_or_b64 exec, exec, s[78:79]
	s_and_saveexec_b64 s[78:79], s[50:51]
	s_cbranch_execnz .LBB112_102
.LBB112_70:                             ;   in Loop: Header=BB112_43 Depth=1
	s_or_b64 exec, exec, s[78:79]
	s_and_saveexec_b64 s[78:79], s[52:53]
	s_cbranch_execnz .LBB112_103
.LBB112_71:                             ;   in Loop: Header=BB112_43 Depth=1
	s_or_b64 exec, exec, s[78:79]
	s_and_saveexec_b64 s[78:79], s[54:55]
	s_cbranch_execnz .LBB112_104
.LBB112_72:                             ;   in Loop: Header=BB112_43 Depth=1
	s_or_b64 exec, exec, s[78:79]
	s_and_saveexec_b64 s[78:79], s[56:57]
	s_cbranch_execnz .LBB112_105
.LBB112_73:                             ;   in Loop: Header=BB112_43 Depth=1
	s_or_b64 exec, exec, s[78:79]
	s_and_saveexec_b64 s[78:79], s[58:59]
	s_cbranch_execnz .LBB112_106
.LBB112_74:                             ;   in Loop: Header=BB112_43 Depth=1
	s_or_b64 exec, exec, s[78:79]
	v_ashrrev_i32_e32 v13, 31, v12
	s_and_saveexec_b64 s[78:79], s[64:65]
	s_cbranch_execnz .LBB112_107
.LBB112_75:                             ;   in Loop: Header=BB112_43 Depth=1
	s_or_b64 exec, exec, s[78:79]
	s_and_saveexec_b64 s[64:65], vcc
	s_cbranch_execz .LBB112_42
	s_branch .LBB112_108
.LBB112_76:                             ;   in Loop: Header=BB112_43 Depth=1
	v_readlane_b32 s82, v40, 10
	s_nop 1
	v_mov_b32_e32 v2, s82
	ds_read_b32 v2, v2
	s_waitcnt lgkmcnt(0)
	v_add_u32_e32 v12, v2, v12
	s_or_b64 exec, exec, s[78:79]
	s_and_saveexec_b64 s[78:79], s[62:63]
	s_cbranch_execz .LBB112_45
.LBB112_77:                             ;   in Loop: Header=BB112_43 Depth=1
	v_readlane_b32 s82, v40, 11
	s_nop 1
	v_mov_b32_e32 v2, s82
	ds_read_b32 v2, v2
	s_waitcnt lgkmcnt(0)
	v_add_u32_e32 v12, v12, v2
	s_or_b64 exec, exec, s[78:79]
	s_and_saveexec_b64 s[78:79], s[0:1]
	s_cbranch_execz .LBB112_46
.LBB112_78:                             ;   in Loop: Header=BB112_43 Depth=1
	v_readlane_b32 s82, v40, 12
	s_nop 1
	v_mov_b32_e32 v2, s82
	ds_read_b32 v2, v2
	s_waitcnt lgkmcnt(0)
	v_add_u32_e32 v12, v12, v2
	s_or_b64 exec, exec, s[78:79]
	s_and_saveexec_b64 s[78:79], s[2:3]
	s_cbranch_execz .LBB112_47
.LBB112_79:                             ;   in Loop: Header=BB112_43 Depth=1
	v_readlane_b32 s82, v40, 13
	s_nop 1
	v_mov_b32_e32 v2, s82
	ds_read_b32 v2, v2
	s_waitcnt lgkmcnt(0)
	v_add_u32_e32 v12, v12, v2
	s_or_b64 exec, exec, s[78:79]
	s_and_saveexec_b64 s[78:79], s[4:5]
	s_cbranch_execz .LBB112_48
.LBB112_80:                             ;   in Loop: Header=BB112_43 Depth=1
	v_mov_b32_e32 v2, s81
	ds_read_b32 v2, v2
	s_waitcnt lgkmcnt(0)
	v_add_u32_e32 v12, v12, v2
	s_or_b64 exec, exec, s[78:79]
	s_and_saveexec_b64 s[78:79], s[6:7]
	s_cbranch_execz .LBB112_49
.LBB112_81:                             ;   in Loop: Header=BB112_43 Depth=1
	v_readlane_b32 s82, v40, 14
	s_nop 1
	v_mov_b32_e32 v2, s82
	ds_read_b32 v2, v2
	s_waitcnt lgkmcnt(0)
	v_add_u32_e32 v12, v12, v2
	s_or_b64 exec, exec, s[78:79]
	s_and_saveexec_b64 s[78:79], s[8:9]
	s_cbranch_execz .LBB112_50
.LBB112_82:                             ;   in Loop: Header=BB112_43 Depth=1
	v_mov_b32_e32 v2, s84
	ds_read_b32 v2, v2
	s_waitcnt lgkmcnt(0)
	v_add_u32_e32 v12, v12, v2
	s_or_b64 exec, exec, s[78:79]
	s_and_saveexec_b64 s[78:79], s[10:11]
	s_cbranch_execz .LBB112_51
.LBB112_83:                             ;   in Loop: Header=BB112_43 Depth=1
	v_mov_b32_e32 v2, s85
	ds_read_b32 v2, v2
	s_waitcnt lgkmcnt(0)
	v_add_u32_e32 v12, v12, v2
	s_or_b64 exec, exec, s[78:79]
	s_and_saveexec_b64 s[78:79], s[12:13]
	s_cbranch_execz .LBB112_52
.LBB112_84:                             ;   in Loop: Header=BB112_43 Depth=1
	v_mov_b32_e32 v2, s86
	ds_read_b32 v2, v2
	s_waitcnt lgkmcnt(0)
	v_add_u32_e32 v12, v12, v2
	s_or_b64 exec, exec, s[78:79]
	s_and_saveexec_b64 s[78:79], s[14:15]
	s_cbranch_execz .LBB112_53
.LBB112_85:                             ;   in Loop: Header=BB112_43 Depth=1
	v_mov_b32_e32 v2, s87
	ds_read_b32 v2, v2
	s_waitcnt lgkmcnt(0)
	v_add_u32_e32 v12, v12, v2
	s_or_b64 exec, exec, s[78:79]
	s_and_saveexec_b64 s[78:79], s[16:17]
	s_cbranch_execz .LBB112_54
.LBB112_86:                             ;   in Loop: Header=BB112_43 Depth=1
	v_mov_b32_e32 v2, s88
	ds_read_b32 v2, v2
	s_waitcnt lgkmcnt(0)
	v_add_u32_e32 v12, v12, v2
	s_or_b64 exec, exec, s[78:79]
	s_and_saveexec_b64 s[78:79], s[18:19]
	s_cbranch_execz .LBB112_55
.LBB112_87:                             ;   in Loop: Header=BB112_43 Depth=1
	v_mov_b32_e32 v2, s89
	ds_read_b32 v2, v2
	s_waitcnt lgkmcnt(0)
	v_add_u32_e32 v12, v12, v2
	s_or_b64 exec, exec, s[78:79]
	s_and_saveexec_b64 s[78:79], s[20:21]
	s_cbranch_execz .LBB112_56
.LBB112_88:                             ;   in Loop: Header=BB112_43 Depth=1
	v_mov_b32_e32 v2, s90
	ds_read_b32 v2, v2
	s_waitcnt lgkmcnt(0)
	v_add_u32_e32 v12, v12, v2
	s_or_b64 exec, exec, s[78:79]
	s_and_saveexec_b64 s[78:79], s[22:23]
	s_cbranch_execz .LBB112_57
.LBB112_89:                             ;   in Loop: Header=BB112_43 Depth=1
	v_mov_b32_e32 v2, s91
	ds_read_b32 v2, v2
	s_waitcnt lgkmcnt(0)
	v_add_u32_e32 v12, v12, v2
	s_or_b64 exec, exec, s[78:79]
	s_and_saveexec_b64 s[78:79], s[24:25]
	s_cbranch_execz .LBB112_58
.LBB112_90:                             ;   in Loop: Header=BB112_43 Depth=1
	v_mov_b32_e32 v2, s92
	ds_read_b32 v2, v2
	s_waitcnt lgkmcnt(0)
	v_add_u32_e32 v12, v12, v2
	s_or_b64 exec, exec, s[78:79]
	s_and_saveexec_b64 s[78:79], s[26:27]
	s_cbranch_execz .LBB112_59
.LBB112_91:                             ;   in Loop: Header=BB112_43 Depth=1
	v_mov_b32_e32 v2, s93
	ds_read_b32 v2, v2
	s_waitcnt lgkmcnt(0)
	v_add_u32_e32 v12, v12, v2
	s_or_b64 exec, exec, s[78:79]
	s_and_saveexec_b64 s[78:79], s[28:29]
	s_cbranch_execz .LBB112_60
.LBB112_92:                             ;   in Loop: Header=BB112_43 Depth=1
	v_mov_b32_e32 v2, s94
	ds_read_b32 v2, v2
	s_waitcnt lgkmcnt(0)
	v_add_u32_e32 v12, v12, v2
	s_or_b64 exec, exec, s[78:79]
	s_and_saveexec_b64 s[78:79], s[30:31]
	s_cbranch_execz .LBB112_61
.LBB112_93:                             ;   in Loop: Header=BB112_43 Depth=1
	v_mov_b32_e32 v2, s95
	ds_read_b32 v2, v2
	s_waitcnt lgkmcnt(0)
	v_add_u32_e32 v12, v12, v2
	s_or_b64 exec, exec, s[78:79]
	s_and_saveexec_b64 s[78:79], s[34:35]
	s_cbranch_execz .LBB112_62
.LBB112_94:                             ;   in Loop: Header=BB112_43 Depth=1
	v_mov_b32_e32 v2, s96
	ds_read_b32 v2, v2
	s_waitcnt lgkmcnt(0)
	v_add_u32_e32 v12, v12, v2
	s_or_b64 exec, exec, s[78:79]
	s_and_saveexec_b64 s[78:79], s[36:37]
	s_cbranch_execz .LBB112_63
.LBB112_95:                             ;   in Loop: Header=BB112_43 Depth=1
	v_mov_b32_e32 v2, s97
	ds_read_b32 v2, v2
	s_waitcnt lgkmcnt(0)
	v_add_u32_e32 v12, v12, v2
	s_or_b64 exec, exec, s[78:79]
	s_and_saveexec_b64 s[78:79], s[38:39]
	s_cbranch_execz .LBB112_64
.LBB112_96:                             ;   in Loop: Header=BB112_43 Depth=1
	v_mov_b32_e32 v2, s98
	ds_read_b32 v2, v2
	s_waitcnt lgkmcnt(0)
	v_add_u32_e32 v12, v12, v2
	s_or_b64 exec, exec, s[78:79]
	s_and_saveexec_b64 s[78:79], s[40:41]
	s_cbranch_execz .LBB112_65
.LBB112_97:                             ;   in Loop: Header=BB112_43 Depth=1
	v_mov_b32_e32 v2, s99
	ds_read_b32 v2, v2
	s_waitcnt lgkmcnt(0)
	v_add_u32_e32 v12, v12, v2
	s_or_b64 exec, exec, s[78:79]
	s_and_saveexec_b64 s[78:79], s[42:43]
	s_cbranch_execz .LBB112_66
.LBB112_98:                             ;   in Loop: Header=BB112_43 Depth=1
	v_mov_b32_e32 v2, s70
	ds_read_b32 v2, v2
	s_waitcnt lgkmcnt(0)
	v_add_u32_e32 v12, v12, v2
	s_or_b64 exec, exec, s[78:79]
	s_and_saveexec_b64 s[78:79], s[44:45]
	s_cbranch_execz .LBB112_67
.LBB112_99:                             ;   in Loop: Header=BB112_43 Depth=1
	v_mov_b32_e32 v2, s71
	ds_read_b32 v2, v2
	s_waitcnt lgkmcnt(0)
	v_add_u32_e32 v12, v12, v2
	s_or_b64 exec, exec, s[78:79]
	s_and_saveexec_b64 s[78:79], s[46:47]
	s_cbranch_execz .LBB112_68
.LBB112_100:                            ;   in Loop: Header=BB112_43 Depth=1
	v_mov_b32_e32 v2, s74
	ds_read_b32 v2, v2
	s_waitcnt lgkmcnt(0)
	v_add_u32_e32 v12, v12, v2
	s_or_b64 exec, exec, s[78:79]
	s_and_saveexec_b64 s[78:79], s[48:49]
	s_cbranch_execz .LBB112_69
.LBB112_101:                            ;   in Loop: Header=BB112_43 Depth=1
	v_mov_b32_e32 v2, s75
	ds_read_b32 v2, v2
	s_waitcnt lgkmcnt(0)
	v_add_u32_e32 v12, v12, v2
	s_or_b64 exec, exec, s[78:79]
	s_and_saveexec_b64 s[78:79], s[50:51]
	s_cbranch_execz .LBB112_70
.LBB112_102:                            ;   in Loop: Header=BB112_43 Depth=1
	v_mov_b32_e32 v2, s66
	ds_read_b32 v2, v2
	s_waitcnt lgkmcnt(0)
	v_add_u32_e32 v12, v12, v2
	s_or_b64 exec, exec, s[78:79]
	s_and_saveexec_b64 s[78:79], s[52:53]
	s_cbranch_execz .LBB112_71
.LBB112_103:                            ;   in Loop: Header=BB112_43 Depth=1
	v_mov_b32_e32 v2, s72
	ds_read_b32 v2, v2
	s_waitcnt lgkmcnt(0)
	v_add_u32_e32 v12, v12, v2
	s_or_b64 exec, exec, s[78:79]
	s_and_saveexec_b64 s[78:79], s[54:55]
	s_cbranch_execz .LBB112_72
.LBB112_104:                            ;   in Loop: Header=BB112_43 Depth=1
	v_mov_b32_e32 v2, s73
	ds_read_b32 v2, v2
	s_waitcnt lgkmcnt(0)
	v_add_u32_e32 v12, v12, v2
	s_or_b64 exec, exec, s[78:79]
	s_and_saveexec_b64 s[78:79], s[56:57]
	s_cbranch_execz .LBB112_73
.LBB112_105:                            ;   in Loop: Header=BB112_43 Depth=1
	v_mov_b32_e32 v2, s33
	ds_read_b32 v2, v2
	s_waitcnt lgkmcnt(0)
	v_add_u32_e32 v12, v12, v2
	s_or_b64 exec, exec, s[78:79]
	s_and_saveexec_b64 s[78:79], s[58:59]
	s_cbranch_execz .LBB112_74
.LBB112_106:                            ;   in Loop: Header=BB112_43 Depth=1
	v_mov_b32_e32 v2, s67
	ds_read_b32 v2, v2
	s_waitcnt lgkmcnt(0)
	v_add_u32_e32 v12, v12, v2
	s_or_b64 exec, exec, s[78:79]
	v_ashrrev_i32_e32 v13, 31, v12
	s_and_saveexec_b64 s[78:79], s[64:65]
	s_cbranch_execz .LBB112_75
.LBB112_107:                            ;   in Loop: Header=BB112_43 Depth=1
	v_add3_u32 v2, v6, -1, v12
	v_lshl_add_u32 v2, v2, 3, 0
	v_add_u32_e32 v16, v6, v12
	v_lshl_add_u32 v16, v16, 3, 0
	ds_write_b64 v2, v[8:9]
	ds_write_b64 v16, v[10:11] offset:65528
	s_or_b64 exec, exec, s[78:79]
	s_and_saveexec_b64 s[64:65], vcc
	s_cbranch_execz .LBB112_42
.LBB112_108:                            ;   in Loop: Header=BB112_43 Depth=1
	v_mov_b32_e32 v2, s80
	ds_write_b64 v2, v[12:13]
	s_branch .LBB112_42
.LBB112_109:
	s_or_b64 exec, exec, s[76:77]
	v_readlane_b32 s0, v40, 4
	v_readlane_b32 s1, v40, 5
	s_lshl_b64 s[0:1], s[0:1], 3
	v_readlane_b32 s2, v40, 0
	v_readlane_b32 s3, v40, 1
	s_add_u32 s4, s2, s0
	s_addc_u32 s5, s3, s1
	s_load_dwordx4 s[0:3], s[4:5], 0x0
	v_mov_b32_e32 v1, 0
	s_waitcnt lgkmcnt(0)
	s_sub_u32 s4, s2, s0
	s_subb_u32 s5, s3, s1
	v_cmp_gt_i64_e32 vcc, s[4:5], v[0:1]
	s_and_saveexec_b64 s[6:7], vcc
	v_readlane_b32 s20, v40, 2
	v_readlane_b32 s21, v40, 3
	s_cbranch_execz .LBB112_119
; %bb.110:
	v_readlane_b32 s8, v40, 6
	v_readlane_b32 s10, v40, 8
	;; [unrolled: 1-line block ×3, first 2 shown]
	s_sub_u32 s8, s0, s10
	s_subb_u32 s9, s1, 0
	s_and_b32 s6, s4, 7
	s_sub_u32 s0, s0, s2
	s_mov_b32 s7, 0
	s_subb_u32 s1, s1, s3
	s_and_b32 s10, s4, -8
	s_cmp_lg_u64 s[6:7], 0
	v_cmp_lt_u64_e64 s[0:1], s[0:1], -7
	s_cselect_b64 s[2:3], -1, 0
	v_readlane_b32 s11, v40, 9
	v_cndmask_b32_e64 v2, 0, 1, s[0:1]
	v_cmp_ne_u32_e64 s[0:1], 1, v2
	v_cndmask_b32_e64 v2, 0, 1, s[2:3]
	s_mov_b32 s11, s5
	s_mov_b64 s[12:13], 0
	v_cmp_ne_u32_e64 s[2:3], 1, v2
	s_mov_b64 s[14:15], 0x400
	s_branch .LBB112_112
.LBB112_111:                            ;   in Loop: Header=BB112_112 Depth=1
	v_lshl_add_u64 v[0:1], v[0:1], 0, s[14:15]
	v_cmp_le_i64_e32 vcc, s[4:5], v[0:1]
	s_waitcnt lgkmcnt(1)
	v_lshl_add_u64 v[4:5], v[6:7], 3, s[20:21]
	s_or_b64 s[12:13], vcc, s[12:13]
	s_waitcnt lgkmcnt(0)
	global_store_dwordx2 v[4:5], v[2:3], off
	s_andn2_b64 exec, exec, s[12:13]
	s_cbranch_execz .LBB112_119
.LBB112_112:                            ; =>This Loop Header: Depth=1
                                        ;     Child Loop BB112_114 Depth 2
                                        ;     Child Loop BB112_118 Depth 2
	v_lshl_add_u32 v2, v0, 3, 0
	v_add_u32_e32 v3, 0x10000, v2
	ds_read_b64 v[4:5], v2
	ds_read_b64 v[2:3], v3
	s_and_b64 vcc, exec, s[0:1]
	v_mov_b64_e32 v[6:7], s[8:9]
	s_mov_b64 s[16:17], 0
	s_cbranch_vccnz .LBB112_116
; %bb.113:                              ;   in Loop: Header=BB112_112 Depth=1
	s_mov_b32 s18, 0
	v_mov_b64_e32 v[6:7], s[8:9]
.LBB112_114:                            ;   Parent Loop BB112_112 Depth=1
                                        ; =>  This Inner Loop Header: Depth=2
	v_mov_b32_e32 v20, s18
	ds_read2_b64 v[8:11], v20 offset1:1
	ds_read2_b64 v[12:15], v20 offset0:2 offset1:3
	ds_read2_b64 v[16:19], v20 offset0:4 offset1:5
	;; [unrolled: 1-line block ×3, first 2 shown]
	v_mov_b32_e32 v25, s7
	s_waitcnt lgkmcnt(3)
	v_cmp_gt_i64_e32 vcc, v[4:5], v[8:9]
	v_mov_b32_e32 v27, s7
	v_mov_b32_e32 v29, s7
	v_cndmask_b32_e64 v24, 0, 1, vcc
	v_cmp_gt_i64_e32 vcc, v[4:5], v[10:11]
	v_lshl_add_u64 v[6:7], v[6:7], 0, v[24:25]
	v_mov_b32_e32 v31, s7
	v_cndmask_b32_e64 v26, 0, 1, vcc
	s_waitcnt lgkmcnt(2)
	v_cmp_gt_i64_e32 vcc, v[4:5], v[12:13]
	v_lshl_add_u64 v[6:7], v[6:7], 0, v[26:27]
	v_mov_b32_e32 v33, s7
	v_cndmask_b32_e64 v28, 0, 1, vcc
	v_cmp_gt_i64_e32 vcc, v[4:5], v[14:15]
	v_lshl_add_u64 v[6:7], v[6:7], 0, v[28:29]
	v_mov_b32_e32 v35, s7
	v_cndmask_b32_e64 v30, 0, 1, vcc
	s_waitcnt lgkmcnt(1)
	v_cmp_gt_i64_e32 vcc, v[4:5], v[16:17]
	v_lshl_add_u64 v[6:7], v[6:7], 0, v[30:31]
	v_mov_b32_e32 v37, s7
	v_cndmask_b32_e64 v32, 0, 1, vcc
	v_cmp_gt_i64_e32 vcc, v[4:5], v[18:19]
	v_lshl_add_u64 v[6:7], v[6:7], 0, v[32:33]
	s_add_u32 s16, s16, 8
	v_cndmask_b32_e64 v34, 0, 1, vcc
	s_waitcnt lgkmcnt(0)
	v_cmp_gt_i64_e32 vcc, v[4:5], v[20:21]
	v_lshl_add_u64 v[6:7], v[6:7], 0, v[34:35]
	v_mov_b32_e32 v39, s7
	v_cndmask_b32_e64 v36, 0, 1, vcc
	v_cmp_gt_i64_e32 vcc, v[4:5], v[22:23]
	s_addc_u32 s17, s17, 0
	s_add_i32 s18, s18, 64
	v_cndmask_b32_e64 v38, 0, 1, vcc
	v_lshl_add_u64 v[6:7], v[6:7], 0, v[36:37]
	s_cmp_eq_u64 s[10:11], s[16:17]
	v_lshl_add_u64 v[6:7], v[6:7], 0, v[38:39]
	s_cbranch_scc0 .LBB112_114
; %bb.115:                              ;   in Loop: Header=BB112_112 Depth=1
	s_mov_b64 s[16:17], s[10:11]
.LBB112_116:                            ;   in Loop: Header=BB112_112 Depth=1
	s_and_b64 vcc, exec, s[2:3]
	s_cbranch_vccnz .LBB112_111
; %bb.117:                              ;   in Loop: Header=BB112_112 Depth=1
	s_lshl_b32 s16, s16, 3
	s_add_i32 s18, s16, 0
	s_mov_b64 s[16:17], s[6:7]
.LBB112_118:                            ;   Parent Loop BB112_112 Depth=1
                                        ; =>  This Inner Loop Header: Depth=2
	v_mov_b32_e32 v8, s18
	ds_read_b64 v[10:11], v8
	s_add_i32 s18, s18, 8
	s_add_u32 s16, s16, -1
	v_mov_b32_e32 v9, s7
	s_addc_u32 s17, s17, -1
	s_waitcnt lgkmcnt(0)
	v_cmp_gt_i64_e32 vcc, v[4:5], v[10:11]
	s_cmp_lg_u64 s[16:17], 0
	s_nop 0
	v_cndmask_b32_e64 v8, 0, 1, vcc
	v_lshl_add_u64 v[6:7], v[6:7], 0, v[8:9]
	s_cbranch_scc1 .LBB112_118
	s_branch .LBB112_111
.LBB112_119:
	s_endpgm
	.section	.rodata,"a",@progbits
	.p2align	6, 0x0
	.amdhsa_kernel _ZN9rocsparseL41csrgemm_numeric_fill_block_per_row_kernelILj1024ELj64ELj8192ELj137ELj32ElldEEvT5_PKS1_S3_NS_24const_host_device_scalarIT6_EEPKT4_S3_PKS5_S9_S3_SB_S6_S9_S3_SB_S9_S3_PS5_21rocsparse_index_base_SD_SD_SD_bbb
		.amdhsa_group_segment_fixed_size 0
		.amdhsa_private_segment_fixed_size 0
		.amdhsa_kernarg_size 156
		.amdhsa_user_sgpr_count 2
		.amdhsa_user_sgpr_dispatch_ptr 0
		.amdhsa_user_sgpr_queue_ptr 0
		.amdhsa_user_sgpr_kernarg_segment_ptr 1
		.amdhsa_user_sgpr_dispatch_id 0
		.amdhsa_user_sgpr_kernarg_preload_length 0
		.amdhsa_user_sgpr_kernarg_preload_offset 0
		.amdhsa_user_sgpr_private_segment_size 0
		.amdhsa_uses_dynamic_stack 0
		.amdhsa_enable_private_segment 0
		.amdhsa_system_sgpr_workgroup_id_x 1
		.amdhsa_system_sgpr_workgroup_id_y 0
		.amdhsa_system_sgpr_workgroup_id_z 0
		.amdhsa_system_sgpr_workgroup_info 0
		.amdhsa_system_vgpr_workitem_id 0
		.amdhsa_next_free_vgpr 41
		.amdhsa_next_free_sgpr 100
		.amdhsa_accum_offset 44
		.amdhsa_reserve_vcc 1
		.amdhsa_float_round_mode_32 0
		.amdhsa_float_round_mode_16_64 0
		.amdhsa_float_denorm_mode_32 3
		.amdhsa_float_denorm_mode_16_64 3
		.amdhsa_dx10_clamp 1
		.amdhsa_ieee_mode 1
		.amdhsa_fp16_overflow 0
		.amdhsa_tg_split 0
		.amdhsa_exception_fp_ieee_invalid_op 0
		.amdhsa_exception_fp_denorm_src 0
		.amdhsa_exception_fp_ieee_div_zero 0
		.amdhsa_exception_fp_ieee_overflow 0
		.amdhsa_exception_fp_ieee_underflow 0
		.amdhsa_exception_fp_ieee_inexact 0
		.amdhsa_exception_int_div_zero 0
	.end_amdhsa_kernel
	.section	.text._ZN9rocsparseL41csrgemm_numeric_fill_block_per_row_kernelILj1024ELj64ELj8192ELj137ELj32ElldEEvT5_PKS1_S3_NS_24const_host_device_scalarIT6_EEPKT4_S3_PKS5_S9_S3_SB_S6_S9_S3_SB_S9_S3_PS5_21rocsparse_index_base_SD_SD_SD_bbb,"axG",@progbits,_ZN9rocsparseL41csrgemm_numeric_fill_block_per_row_kernelILj1024ELj64ELj8192ELj137ELj32ElldEEvT5_PKS1_S3_NS_24const_host_device_scalarIT6_EEPKT4_S3_PKS5_S9_S3_SB_S6_S9_S3_SB_S9_S3_PS5_21rocsparse_index_base_SD_SD_SD_bbb,comdat
.Lfunc_end112:
	.size	_ZN9rocsparseL41csrgemm_numeric_fill_block_per_row_kernelILj1024ELj64ELj8192ELj137ELj32ElldEEvT5_PKS1_S3_NS_24const_host_device_scalarIT6_EEPKT4_S3_PKS5_S9_S3_SB_S6_S9_S3_SB_S9_S3_PS5_21rocsparse_index_base_SD_SD_SD_bbb, .Lfunc_end112-_ZN9rocsparseL41csrgemm_numeric_fill_block_per_row_kernelILj1024ELj64ELj8192ELj137ELj32ElldEEvT5_PKS1_S3_NS_24const_host_device_scalarIT6_EEPKT4_S3_PKS5_S9_S3_SB_S6_S9_S3_SB_S9_S3_PS5_21rocsparse_index_base_SD_SD_SD_bbb
                                        ; -- End function
	.set _ZN9rocsparseL41csrgemm_numeric_fill_block_per_row_kernelILj1024ELj64ELj8192ELj137ELj32ElldEEvT5_PKS1_S3_NS_24const_host_device_scalarIT6_EEPKT4_S3_PKS5_S9_S3_SB_S6_S9_S3_SB_S9_S3_PS5_21rocsparse_index_base_SD_SD_SD_bbb.num_vgpr, 41
	.set _ZN9rocsparseL41csrgemm_numeric_fill_block_per_row_kernelILj1024ELj64ELj8192ELj137ELj32ElldEEvT5_PKS1_S3_NS_24const_host_device_scalarIT6_EEPKT4_S3_PKS5_S9_S3_SB_S6_S9_S3_SB_S9_S3_PS5_21rocsparse_index_base_SD_SD_SD_bbb.num_agpr, 0
	.set _ZN9rocsparseL41csrgemm_numeric_fill_block_per_row_kernelILj1024ELj64ELj8192ELj137ELj32ElldEEvT5_PKS1_S3_NS_24const_host_device_scalarIT6_EEPKT4_S3_PKS5_S9_S3_SB_S6_S9_S3_SB_S9_S3_PS5_21rocsparse_index_base_SD_SD_SD_bbb.numbered_sgpr, 100
	.set _ZN9rocsparseL41csrgemm_numeric_fill_block_per_row_kernelILj1024ELj64ELj8192ELj137ELj32ElldEEvT5_PKS1_S3_NS_24const_host_device_scalarIT6_EEPKT4_S3_PKS5_S9_S3_SB_S6_S9_S3_SB_S9_S3_PS5_21rocsparse_index_base_SD_SD_SD_bbb.num_named_barrier, 0
	.set _ZN9rocsparseL41csrgemm_numeric_fill_block_per_row_kernelILj1024ELj64ELj8192ELj137ELj32ElldEEvT5_PKS1_S3_NS_24const_host_device_scalarIT6_EEPKT4_S3_PKS5_S9_S3_SB_S6_S9_S3_SB_S9_S3_PS5_21rocsparse_index_base_SD_SD_SD_bbb.private_seg_size, 0
	.set _ZN9rocsparseL41csrgemm_numeric_fill_block_per_row_kernelILj1024ELj64ELj8192ELj137ELj32ElldEEvT5_PKS1_S3_NS_24const_host_device_scalarIT6_EEPKT4_S3_PKS5_S9_S3_SB_S6_S9_S3_SB_S9_S3_PS5_21rocsparse_index_base_SD_SD_SD_bbb.uses_vcc, 1
	.set _ZN9rocsparseL41csrgemm_numeric_fill_block_per_row_kernelILj1024ELj64ELj8192ELj137ELj32ElldEEvT5_PKS1_S3_NS_24const_host_device_scalarIT6_EEPKT4_S3_PKS5_S9_S3_SB_S6_S9_S3_SB_S9_S3_PS5_21rocsparse_index_base_SD_SD_SD_bbb.uses_flat_scratch, 0
	.set _ZN9rocsparseL41csrgemm_numeric_fill_block_per_row_kernelILj1024ELj64ELj8192ELj137ELj32ElldEEvT5_PKS1_S3_NS_24const_host_device_scalarIT6_EEPKT4_S3_PKS5_S9_S3_SB_S6_S9_S3_SB_S9_S3_PS5_21rocsparse_index_base_SD_SD_SD_bbb.has_dyn_sized_stack, 0
	.set _ZN9rocsparseL41csrgemm_numeric_fill_block_per_row_kernelILj1024ELj64ELj8192ELj137ELj32ElldEEvT5_PKS1_S3_NS_24const_host_device_scalarIT6_EEPKT4_S3_PKS5_S9_S3_SB_S6_S9_S3_SB_S9_S3_PS5_21rocsparse_index_base_SD_SD_SD_bbb.has_recursion, 0
	.set _ZN9rocsparseL41csrgemm_numeric_fill_block_per_row_kernelILj1024ELj64ELj8192ELj137ELj32ElldEEvT5_PKS1_S3_NS_24const_host_device_scalarIT6_EEPKT4_S3_PKS5_S9_S3_SB_S6_S9_S3_SB_S9_S3_PS5_21rocsparse_index_base_SD_SD_SD_bbb.has_indirect_call, 0
	.section	.AMDGPU.csdata,"",@progbits
; Kernel info:
; codeLenInByte = 4720
; TotalNumSgprs: 106
; NumVgprs: 41
; NumAgprs: 0
; TotalNumVgprs: 41
; ScratchSize: 0
; MemoryBound: 0
; FloatMode: 240
; IeeeMode: 1
; LDSByteSize: 0 bytes/workgroup (compile time only)
; SGPRBlocks: 13
; VGPRBlocks: 5
; NumSGPRsForWavesPerEU: 106
; NumVGPRsForWavesPerEU: 41
; AccumOffset: 44
; Occupancy: 7
; WaveLimiterHint : 1
; COMPUTE_PGM_RSRC2:SCRATCH_EN: 0
; COMPUTE_PGM_RSRC2:USER_SGPR: 2
; COMPUTE_PGM_RSRC2:TRAP_HANDLER: 0
; COMPUTE_PGM_RSRC2:TGID_X_EN: 1
; COMPUTE_PGM_RSRC2:TGID_Y_EN: 0
; COMPUTE_PGM_RSRC2:TGID_Z_EN: 0
; COMPUTE_PGM_RSRC2:TIDIG_COMP_CNT: 0
; COMPUTE_PGM_RSRC3_GFX90A:ACCUM_OFFSET: 10
; COMPUTE_PGM_RSRC3_GFX90A:TG_SPLIT: 0
	.section	.text._ZN9rocsparseL41csrgemm_numeric_fill_block_per_row_kernelILj1024ELj64ELj8192ELj137ELj64ElldEEvT5_PKS1_S3_NS_24const_host_device_scalarIT6_EEPKT4_S3_PKS5_S9_S3_SB_S6_S9_S3_SB_S9_S3_PS5_21rocsparse_index_base_SD_SD_SD_bbb,"axG",@progbits,_ZN9rocsparseL41csrgemm_numeric_fill_block_per_row_kernelILj1024ELj64ELj8192ELj137ELj64ElldEEvT5_PKS1_S3_NS_24const_host_device_scalarIT6_EEPKT4_S3_PKS5_S9_S3_SB_S6_S9_S3_SB_S9_S3_PS5_21rocsparse_index_base_SD_SD_SD_bbb,comdat
	.globl	_ZN9rocsparseL41csrgemm_numeric_fill_block_per_row_kernelILj1024ELj64ELj8192ELj137ELj64ElldEEvT5_PKS1_S3_NS_24const_host_device_scalarIT6_EEPKT4_S3_PKS5_S9_S3_SB_S6_S9_S3_SB_S9_S3_PS5_21rocsparse_index_base_SD_SD_SD_bbb ; -- Begin function _ZN9rocsparseL41csrgemm_numeric_fill_block_per_row_kernelILj1024ELj64ELj8192ELj137ELj64ElldEEvT5_PKS1_S3_NS_24const_host_device_scalarIT6_EEPKT4_S3_PKS5_S9_S3_SB_S6_S9_S3_SB_S9_S3_PS5_21rocsparse_index_base_SD_SD_SD_bbb
	.p2align	8
	.type	_ZN9rocsparseL41csrgemm_numeric_fill_block_per_row_kernelILj1024ELj64ELj8192ELj137ELj64ElldEEvT5_PKS1_S3_NS_24const_host_device_scalarIT6_EEPKT4_S3_PKS5_S9_S3_SB_S6_S9_S3_SB_S9_S3_PS5_21rocsparse_index_base_SD_SD_SD_bbb,@function
_ZN9rocsparseL41csrgemm_numeric_fill_block_per_row_kernelILj1024ELj64ELj8192ELj137ELj64ElldEEvT5_PKS1_S3_NS_24const_host_device_scalarIT6_EEPKT4_S3_PKS5_S9_S3_SB_S6_S9_S3_SB_S9_S3_PS5_21rocsparse_index_base_SD_SD_SD_bbb: ; @_ZN9rocsparseL41csrgemm_numeric_fill_block_per_row_kernelILj1024ELj64ELj8192ELj137ELj64ElldEEvT5_PKS1_S3_NS_24const_host_device_scalarIT6_EEPKT4_S3_PKS5_S9_S3_SB_S6_S9_S3_SB_S9_S3_PS5_21rocsparse_index_base_SD_SD_SD_bbb
; %bb.0:
	s_load_dword s3, s[0:1], 0x98
	s_load_dwordx4 s[4:7], s[0:1], 0x8
	s_load_dwordx2 s[12:13], s[0:1], 0x18
	s_load_dwordx4 s[36:39], s[0:1], 0x88
	s_load_dwordx2 s[10:11], s[0:1], 0x50
	s_waitcnt lgkmcnt(0)
	s_bitcmp1_b32 s3, 0
	s_cselect_b64 s[8:9], -1, 0
	s_bitcmp1_b32 s3, 16
	s_cselect_b64 s[14:15], -1, 0
	s_xor_b64 s[16:17], s[8:9], -1
	s_or_b64 s[16:17], s[14:15], s[16:17]
	s_and_b64 s[18:19], s[8:9], exec
	s_cselect_b32 s19, s13, 0
	s_cselect_b32 s18, s12, 0
	s_and_b64 vcc, exec, s[16:17]
	v_mov_b64_e32 v[4:5], s[18:19]
	s_cbranch_vccnz .LBB113_2
; %bb.1:
	v_mov_b64_e32 v[2:3], s[12:13]
	flat_load_dwordx2 v[4:5], v[2:3]
.LBB113_2:
	s_bitcmp1_b32 s3, 8
	s_cselect_b64 s[12:13], -1, 0
	s_xor_b64 s[16:17], s[12:13], -1
	s_or_b64 s[14:15], s[14:15], s[16:17]
	s_and_b64 s[16:17], s[12:13], exec
	s_cselect_b32 s17, s11, 0
	s_cselect_b32 s16, s10, 0
	s_and_b64 vcc, exec, s[14:15]
	v_mov_b64_e32 v[2:3], s[16:17]
	s_cbranch_vccnz .LBB113_4
; %bb.3:
	v_mov_b64_e32 v[2:3], s[10:11]
	flat_load_dwordx2 v[2:3], v[2:3]
.LBB113_4:
	s_load_dwordx2 s[34:35], s[0:1], 0x0
	s_mov_b32 s10, 0
	v_lshl_add_u32 v1, v0, 3, 0
	s_mov_b32 s11, s10
	v_add_u32_e32 v12, 0x10000, v1
	s_waitcnt lgkmcnt(0)
	v_mov_b64_e32 v[6:7], s[34:35]
	v_mov_b64_e32 v[10:11], s[34:35]
	;; [unrolled: 1-line block ×3, first 2 shown]
	ds_write2st64_b64 v1, v[6:7], v[10:11] offset1:16
	ds_write2st64_b64 v12, v[8:9], v[8:9] offset1:16
	ds_write2st64_b64 v1, v[6:7], v[10:11] offset0:32 offset1:48
	ds_write2st64_b64 v12, v[8:9], v[8:9] offset0:32 offset1:48
	;; [unrolled: 1-line block ×6, first 2 shown]
	s_waitcnt lgkmcnt(0)
	s_barrier
	s_load_dwordx2 s[4:5], s[4:5], 0x0
	s_mov_b32 s3, s10
	v_lshrrev_b32_e32 v26, 6, v0
	s_waitcnt lgkmcnt(0)
	s_lshl_b64 s[4:5], s[4:5], 3
	s_add_u32 s4, s6, s4
	s_addc_u32 s5, s7, s5
	s_lshl_b64 s[2:3], s[2:3], 3
	s_add_u32 s2, s4, s2
	s_addc_u32 s3, s5, s3
	s_load_dwordx2 s[40:41], s[2:3], 0x0
	s_andn2_b64 vcc, exec, s[8:9]
	s_cbranch_vccnz .LBB113_24
; %bb.5:
	s_load_dwordx2 s[2:3], s[0:1], 0x20
	s_waitcnt lgkmcnt(0)
	s_lshl_b64 s[4:5], s[40:41], 3
	v_subrev_co_u32_e32 v6, vcc, s36, v26
	s_add_u32 s2, s2, s4
	s_addc_u32 s3, s3, s5
	s_load_dwordx4 s[4:7], s[2:3], 0x0
	v_subb_co_u32_e64 v7, s[2:3], 0, 0, vcc
	s_waitcnt lgkmcnt(0)
	s_sub_u32 s2, s6, s36
	s_subb_u32 s3, s7, 0
	v_lshl_add_u64 v[6:7], s[4:5], 0, v[6:7]
	v_cmp_gt_i64_e32 vcc, s[2:3], v[6:7]
	s_and_saveexec_b64 s[14:15], vcc
	s_cbranch_execz .LBB113_23
; %bb.6:
	s_load_dwordx8 s[4:11], s[0:1], 0x28
	s_load_dwordx2 s[16:17], s[0:1], 0x48
	v_and_b32_e32 v8, 63, v0
	v_subrev_co_u32_e32 v8, vcc, s37, v8
	s_mov_b32 s33, s37
	s_nop 0
	v_subb_co_u32_e64 v9, s[18:19], 0, 0, vcc
	s_mov_b64 s[18:19], 0
	s_movk_i32 s37, 0x89
	s_branch .LBB113_8
.LBB113_7:                              ;   in Loop: Header=BB113_8 Depth=1
	s_or_b64 exec, exec, s[20:21]
	v_lshl_add_u64 v[6:7], v[6:7], 0, 16
	v_cmp_le_i64_e32 vcc, s[2:3], v[6:7]
	s_or_b64 s[18:19], vcc, s[18:19]
	s_andn2_b64 exec, exec, s[18:19]
	s_cbranch_execz .LBB113_23
.LBB113_8:                              ; =>This Loop Header: Depth=1
                                        ;     Child Loop BB113_12 Depth 2
                                        ;       Child Loop BB113_15 Depth 3
	s_waitcnt lgkmcnt(0)
	v_lshl_add_u64 v[10:11], v[6:7], 3, s[4:5]
	global_load_dwordx2 v[10:11], v[10:11], off
	s_waitcnt vmcnt(0)
	v_subrev_co_u32_e32 v10, vcc, s36, v10
	s_nop 1
	v_subbrev_co_u32_e32 v11, vcc, 0, v11, vcc
	v_lshl_add_u64 v[10:11], v[10:11], 3, s[8:9]
	global_load_dwordx4 v[12:15], v[10:11], off
	s_waitcnt vmcnt(0)
	v_subrev_co_u32_e32 v10, vcc, s33, v14
	s_nop 1
	v_subbrev_co_u32_e32 v11, vcc, 0, v15, vcc
	v_lshl_add_u64 v[12:13], v[12:13], 0, v[8:9]
	v_cmp_lt_i64_e32 vcc, v[12:13], v[10:11]
	s_and_saveexec_b64 s[20:21], vcc
	s_cbranch_execz .LBB113_7
; %bb.9:                                ;   in Loop: Header=BB113_8 Depth=1
	v_lshl_add_u64 v[14:15], v[6:7], 3, s[6:7]
	global_load_dwordx2 v[14:15], v[14:15], off
	s_mov_b64 s[22:23], 0
	s_waitcnt vmcnt(0)
	v_mul_f64 v[14:15], v[4:5], v[14:15]
	s_branch .LBB113_12
.LBB113_10:                             ;   in Loop: Header=BB113_12 Depth=2
	s_or_b64 exec, exec, s[26:27]
.LBB113_11:                             ;   in Loop: Header=BB113_12 Depth=2
	s_or_b64 exec, exec, s[24:25]
	v_lshl_add_u32 v18, v20, 3, 0
	s_waitcnt vmcnt(0)
	v_mul_f64 v[16:17], v[14:15], v[16:17]
	v_add_u32_e32 v18, 0x10000, v18
	ds_add_f64 v18, v[16:17]
	v_lshl_add_u64 v[12:13], v[12:13], 0, 64
	v_cmp_ge_i64_e32 vcc, v[12:13], v[10:11]
	s_or_b64 s[22:23], vcc, s[22:23]
	s_andn2_b64 exec, exec, s[22:23]
	s_cbranch_execz .LBB113_7
.LBB113_12:                             ;   Parent Loop BB113_8 Depth=1
                                        ; =>  This Loop Header: Depth=2
                                        ;       Child Loop BB113_15 Depth 3
	v_lshlrev_b64 v[16:17], 3, v[12:13]
	v_lshl_add_u64 v[18:19], s[10:11], 0, v[16:17]
	global_load_dwordx2 v[18:19], v[18:19], off
	v_lshl_add_u64 v[16:17], s[16:17], 0, v[16:17]
	global_load_dwordx2 v[16:17], v[16:17], off
	s_waitcnt vmcnt(1)
	v_subrev_co_u32_e32 v18, vcc, s33, v18
	v_mul_lo_u32 v20, v18, s37
	v_and_b32_e32 v20, 0x1fff, v20
	v_lshl_add_u32 v27, v20, 3, 0
	ds_read_b64 v[24:25], v27
	v_subbrev_co_u32_e32 v19, vcc, 0, v19, vcc
	s_waitcnt lgkmcnt(0)
	v_cmp_ne_u64_e32 vcc, v[24:25], v[18:19]
	s_and_saveexec_b64 s[24:25], vcc
	s_cbranch_execz .LBB113_11
; %bb.13:                               ;   in Loop: Header=BB113_12 Depth=2
	s_mov_b64 s[26:27], 0
                                        ; implicit-def: $sgpr28_sgpr29
                                        ; implicit-def: $sgpr30_sgpr31
	s_branch .LBB113_15
.LBB113_14:                             ;   in Loop: Header=BB113_15 Depth=3
	s_or_b64 exec, exec, s[46:47]
	s_and_b64 s[42:43], exec, s[44:45]
	s_or_b64 s[26:27], s[42:43], s[26:27]
	s_andn2_b64 s[28:29], s[28:29], exec
	s_and_b64 s[42:43], s[30:31], exec
	s_or_b64 s[28:29], s[28:29], s[42:43]
	s_andn2_b64 exec, exec, s[26:27]
	s_cbranch_execz .LBB113_21
.LBB113_15:                             ;   Parent Loop BB113_8 Depth=1
                                        ;     Parent Loop BB113_12 Depth=2
                                        ; =>    This Inner Loop Header: Depth=3
	v_mov_b64_e32 v[22:23], v[20:21]
	v_cmp_ne_u64_e32 vcc, s[34:35], v[24:25]
	s_mov_b64 s[42:43], 0
                                        ; implicit-def: $vgpr20_vgpr21
	s_and_saveexec_b64 s[44:45], vcc
	s_xor_b64 s[44:45], exec, s[44:45]
; %bb.16:                               ;   in Loop: Header=BB113_15 Depth=3
	v_add_u32_e32 v20, 1, v22
	s_mov_b64 s[42:43], exec
	v_and_b32_e32 v20, 0x1fff, v20
                                        ; implicit-def: $vgpr27
; %bb.17:                               ;   in Loop: Header=BB113_15 Depth=3
	s_andn2_saveexec_b64 s[44:45], s[44:45]
	s_cbranch_execz .LBB113_19
; %bb.18:                               ;   in Loop: Header=BB113_15 Depth=3
	v_mov_b64_e32 v[20:21], s[34:35]
	ds_cmpst_rtn_b64 v[20:21], v27, v[20:21], v[18:19]
	s_andn2_b64 s[42:43], s[42:43], exec
	s_waitcnt lgkmcnt(0)
	v_cmp_ne_u64_e32 vcc, s[34:35], v[20:21]
	s_and_b64 s[46:47], vcc, exec
	s_or_b64 s[42:43], s[42:43], s[46:47]
	v_mov_b64_e32 v[20:21], v[22:23]
.LBB113_19:                             ;   in Loop: Header=BB113_15 Depth=3
	s_or_b64 exec, exec, s[44:45]
	s_mov_b64 s[44:45], -1
	s_or_b64 s[30:31], s[30:31], exec
                                        ; implicit-def: $vgpr27
                                        ; implicit-def: $vgpr24_vgpr25
	s_and_saveexec_b64 s[46:47], s[42:43]
	s_cbranch_execz .LBB113_14
; %bb.20:                               ;   in Loop: Header=BB113_15 Depth=3
	v_lshl_add_u32 v27, v20, 3, 0
	ds_read_b64 v[24:25], v27
	s_andn2_b64 s[30:31], s[30:31], exec
	s_waitcnt lgkmcnt(0)
	v_cmp_eq_u64_e32 vcc, v[24:25], v[18:19]
	s_orn2_b64 s[44:45], vcc, exec
	s_branch .LBB113_14
.LBB113_21:                             ;   in Loop: Header=BB113_12 Depth=2
	s_or_b64 exec, exec, s[26:27]
	s_and_saveexec_b64 s[26:27], s[28:29]
	s_xor_b64 s[26:27], exec, s[26:27]
	s_cbranch_execz .LBB113_10
; %bb.22:                               ;   in Loop: Header=BB113_12 Depth=2
	v_mov_b32_e32 v20, v22
	s_branch .LBB113_10
.LBB113_23:
	s_or_b64 exec, exec, s[14:15]
.LBB113_24:
	s_load_dwordx2 s[36:37], s[0:1], 0x80
	s_load_dwordx2 s[42:43], s[0:1], 0x70
	s_andn2_b64 vcc, exec, s[12:13]
	s_cbranch_vccnz .LBB113_41
; %bb.25:
	s_load_dwordx2 s[2:3], s[0:1], 0x58
	s_waitcnt lgkmcnt(0)
	s_lshl_b64 s[4:5], s[40:41], 3
	s_waitcnt vmcnt(0)
	v_subrev_co_u32_e32 v4, vcc, s39, v0
	s_add_u32 s2, s2, s4
	s_addc_u32 s3, s3, s5
	s_load_dwordx4 s[4:7], s[2:3], 0x0
	v_subb_co_u32_e64 v5, s[2:3], 0, 0, vcc
	s_waitcnt lgkmcnt(0)
	s_sub_u32 s2, s6, s39
	s_subb_u32 s3, s7, 0
	v_lshl_add_u64 v[4:5], s[4:5], 0, v[4:5]
	v_cmp_gt_i64_e32 vcc, s[2:3], v[4:5]
	s_and_saveexec_b64 s[8:9], vcc
	s_cbranch_execz .LBB113_40
; %bb.26:
	s_load_dwordx4 s[4:7], s[0:1], 0x60
	s_mov_b32 s26, s39
	s_mov_b64 s[0:1], 0
	s_movk_i32 s27, 0x89
	s_mov_b64 s[10:11], 0x400
	s_branch .LBB113_29
.LBB113_27:                             ;   in Loop: Header=BB113_29 Depth=1
	s_or_b64 exec, exec, s[14:15]
.LBB113_28:                             ;   in Loop: Header=BB113_29 Depth=1
	s_or_b64 exec, exec, s[12:13]
	v_lshl_add_u32 v8, v10, 3, 0
	s_waitcnt vmcnt(0)
	v_mul_f64 v[6:7], v[2:3], v[6:7]
	v_add_u32_e32 v8, 0x10000, v8
	ds_add_f64 v8, v[6:7]
	v_lshl_add_u64 v[4:5], v[4:5], 0, s[10:11]
	v_cmp_le_i64_e32 vcc, s[2:3], v[4:5]
	s_or_b64 s[0:1], vcc, s[0:1]
	s_andn2_b64 exec, exec, s[0:1]
	s_cbranch_execz .LBB113_40
.LBB113_29:                             ; =>This Loop Header: Depth=1
                                        ;     Child Loop BB113_32 Depth 2
	v_lshlrev_b64 v[6:7], 3, v[4:5]
	s_waitcnt lgkmcnt(0)
	v_lshl_add_u64 v[8:9], s[4:5], 0, v[6:7]
	global_load_dwordx2 v[8:9], v[8:9], off
	v_lshl_add_u64 v[6:7], s[6:7], 0, v[6:7]
	global_load_dwordx2 v[6:7], v[6:7], off
	s_waitcnt vmcnt(1)
	v_subrev_co_u32_e32 v8, vcc, s26, v8
	v_mul_lo_u32 v10, v8, s27
	v_and_b32_e32 v10, 0x1fff, v10
	v_lshl_add_u32 v16, v10, 3, 0
	ds_read_b64 v[14:15], v16
	v_subbrev_co_u32_e32 v9, vcc, 0, v9, vcc
	s_waitcnt lgkmcnt(0)
	v_cmp_ne_u64_e32 vcc, v[14:15], v[8:9]
	s_and_saveexec_b64 s[12:13], vcc
	s_cbranch_execz .LBB113_28
; %bb.30:                               ;   in Loop: Header=BB113_29 Depth=1
	s_mov_b64 s[14:15], 0
                                        ; implicit-def: $sgpr16_sgpr17
                                        ; implicit-def: $sgpr18_sgpr19
	s_branch .LBB113_32
.LBB113_31:                             ;   in Loop: Header=BB113_32 Depth=2
	s_or_b64 exec, exec, s[24:25]
	s_and_b64 s[20:21], exec, s[22:23]
	s_or_b64 s[14:15], s[20:21], s[14:15]
	s_andn2_b64 s[16:17], s[16:17], exec
	s_and_b64 s[20:21], s[18:19], exec
	s_or_b64 s[16:17], s[16:17], s[20:21]
	s_andn2_b64 exec, exec, s[14:15]
	s_cbranch_execz .LBB113_38
.LBB113_32:                             ;   Parent Loop BB113_29 Depth=1
                                        ; =>  This Inner Loop Header: Depth=2
	v_mov_b64_e32 v[12:13], v[10:11]
	v_cmp_ne_u64_e32 vcc, s[34:35], v[14:15]
	s_mov_b64 s[20:21], 0
                                        ; implicit-def: $vgpr10_vgpr11
	s_and_saveexec_b64 s[22:23], vcc
	s_xor_b64 s[22:23], exec, s[22:23]
; %bb.33:                               ;   in Loop: Header=BB113_32 Depth=2
	v_add_u32_e32 v10, 1, v12
	s_mov_b64 s[20:21], exec
	v_and_b32_e32 v10, 0x1fff, v10
                                        ; implicit-def: $vgpr16
; %bb.34:                               ;   in Loop: Header=BB113_32 Depth=2
	s_andn2_saveexec_b64 s[22:23], s[22:23]
	s_cbranch_execz .LBB113_36
; %bb.35:                               ;   in Loop: Header=BB113_32 Depth=2
	v_mov_b64_e32 v[10:11], s[34:35]
	ds_cmpst_rtn_b64 v[10:11], v16, v[10:11], v[8:9]
	s_andn2_b64 s[20:21], s[20:21], exec
	s_waitcnt lgkmcnt(0)
	v_cmp_ne_u64_e32 vcc, s[34:35], v[10:11]
	s_and_b64 s[24:25], vcc, exec
	s_or_b64 s[20:21], s[20:21], s[24:25]
	v_mov_b64_e32 v[10:11], v[12:13]
.LBB113_36:                             ;   in Loop: Header=BB113_32 Depth=2
	s_or_b64 exec, exec, s[22:23]
	s_mov_b64 s[22:23], -1
	s_or_b64 s[18:19], s[18:19], exec
                                        ; implicit-def: $vgpr16
                                        ; implicit-def: $vgpr14_vgpr15
	s_and_saveexec_b64 s[24:25], s[20:21]
	s_cbranch_execz .LBB113_31
; %bb.37:                               ;   in Loop: Header=BB113_32 Depth=2
	v_lshl_add_u32 v16, v10, 3, 0
	ds_read_b64 v[14:15], v16
	s_andn2_b64 s[18:19], s[18:19], exec
	s_waitcnt lgkmcnt(0)
	v_cmp_eq_u64_e32 vcc, v[14:15], v[8:9]
	s_orn2_b64 s[22:23], vcc, exec
	s_branch .LBB113_31
.LBB113_38:                             ;   in Loop: Header=BB113_29 Depth=1
	s_or_b64 exec, exec, s[14:15]
	s_and_saveexec_b64 s[14:15], s[16:17]
	s_xor_b64 s[14:15], exec, s[14:15]
	s_cbranch_execz .LBB113_27
; %bb.39:                               ;   in Loop: Header=BB113_29 Depth=1
	v_mov_b32_e32 v10, v12
	s_branch .LBB113_27
.LBB113_40:
	s_or_b64 exec, exec, s[8:9]
.LBB113_41:
	s_waitcnt vmcnt(0)
	v_mbcnt_lo_u32_b32 v2, -1, 0
	v_mbcnt_hi_u32_b32 v2, -1, v2
	v_sub_u32_e32 v2, 63, v2
	s_add_i32 s33, 0, 0x20000
	s_movk_i32 s0, 0x3ff
	s_movk_i32 s2, 0x7f
	;; [unrolled: 1-line block ×15, first 2 shown]
	s_add_i32 s61, 0, 0x20078
	v_mov_b32_e32 v3, 0
	v_lshrrev_b64 v[4:5], v2, -1
	v_lshl_add_u32 v14, v26, 3, s33
	v_cmp_eq_u32_e32 vcc, s0, v0
	v_cmp_lt_u32_e64 s[0:1], 63, v0
	v_cmp_lt_u32_e64 s[2:3], s2, v0
	;; [unrolled: 1-line block ×15, first 2 shown]
	v_or_b32_e32 v15, 0xfffffc00, v0
	s_mov_b64 s[44:45], 0
	v_mov_b64_e32 v[6:7], 0
	s_add_i32 s39, 0, 0x20008
	s_add_i32 s48, 0, 0x20010
	;; [unrolled: 1-line block ×14, first 2 shown]
	v_mov_b32_e32 v16, s61
	s_movk_i32 s62, 0x1bff
	s_waitcnt lgkmcnt(0)
	s_barrier
	s_branch .LBB113_43
.LBB113_42:                             ;   in Loop: Header=BB113_43 Depth=1
	s_or_b64 exec, exec, s[30:31]
	s_waitcnt lgkmcnt(0)
	s_barrier
	ds_read_b64 v[8:9], v16
	v_add_u32_e32 v15, 0x400, v15
	v_cmp_lt_u32_e64 s[30:31], s62, v15
	s_or_b64 s[44:45], s[30:31], s[44:45]
	v_add_u32_e32 v1, 0x2000, v1
	s_waitcnt lgkmcnt(0)
	v_lshl_add_u64 v[6:7], v[8:9], 0, v[6:7]
	s_andn2_b64 exec, exec, s[44:45]
	s_cbranch_execz .LBB113_77
.LBB113_43:                             ; =>This Inner Loop Header: Depth=1
	ds_read_b64 v[8:9], v1
	v_add_u32_e32 v2, 0x10000, v1
	ds_read_b64 v[10:11], v2
	s_waitcnt lgkmcnt(0)
	s_barrier
	v_cmp_gt_i64_e64 s[30:31], s[34:35], v[8:9]
	s_bcnt1_i32_b64 s46, s[30:31]
	v_mov_b32_e32 v2, s46
	v_and_b32_e32 v13, s30, v4
	v_and_b32_e32 v12, s31, v5
	v_bcnt_u32_b32 v13, v13, 0
	v_bcnt_u32_b32 v12, v12, v13
	ds_write_b64 v14, v[2:3]
	s_waitcnt lgkmcnt(0)
	s_barrier
	s_and_saveexec_b64 s[46:47], s[0:1]
	s_cbranch_execnz .LBB113_60
; %bb.44:                               ;   in Loop: Header=BB113_43 Depth=1
	s_or_b64 exec, exec, s[46:47]
	s_and_saveexec_b64 s[46:47], s[2:3]
	s_cbranch_execnz .LBB113_61
.LBB113_45:                             ;   in Loop: Header=BB113_43 Depth=1
	s_or_b64 exec, exec, s[46:47]
	s_and_saveexec_b64 s[46:47], s[4:5]
	s_cbranch_execnz .LBB113_62
.LBB113_46:                             ;   in Loop: Header=BB113_43 Depth=1
	s_or_b64 exec, exec, s[46:47]
	s_and_saveexec_b64 s[46:47], s[6:7]
	s_cbranch_execnz .LBB113_63
.LBB113_47:                             ;   in Loop: Header=BB113_43 Depth=1
	s_or_b64 exec, exec, s[46:47]
	s_and_saveexec_b64 s[46:47], s[8:9]
	s_cbranch_execnz .LBB113_64
.LBB113_48:                             ;   in Loop: Header=BB113_43 Depth=1
	s_or_b64 exec, exec, s[46:47]
	s_and_saveexec_b64 s[46:47], s[10:11]
	s_cbranch_execnz .LBB113_65
.LBB113_49:                             ;   in Loop: Header=BB113_43 Depth=1
	s_or_b64 exec, exec, s[46:47]
	s_and_saveexec_b64 s[46:47], s[12:13]
	s_cbranch_execnz .LBB113_66
.LBB113_50:                             ;   in Loop: Header=BB113_43 Depth=1
	s_or_b64 exec, exec, s[46:47]
	s_and_saveexec_b64 s[46:47], s[14:15]
	s_cbranch_execnz .LBB113_67
.LBB113_51:                             ;   in Loop: Header=BB113_43 Depth=1
	s_or_b64 exec, exec, s[46:47]
	s_and_saveexec_b64 s[46:47], s[16:17]
	s_cbranch_execnz .LBB113_68
.LBB113_52:                             ;   in Loop: Header=BB113_43 Depth=1
	s_or_b64 exec, exec, s[46:47]
	s_and_saveexec_b64 s[46:47], s[18:19]
	s_cbranch_execnz .LBB113_69
.LBB113_53:                             ;   in Loop: Header=BB113_43 Depth=1
	s_or_b64 exec, exec, s[46:47]
	s_and_saveexec_b64 s[46:47], s[20:21]
	s_cbranch_execnz .LBB113_70
.LBB113_54:                             ;   in Loop: Header=BB113_43 Depth=1
	s_or_b64 exec, exec, s[46:47]
	s_and_saveexec_b64 s[46:47], s[22:23]
	s_cbranch_execnz .LBB113_71
.LBB113_55:                             ;   in Loop: Header=BB113_43 Depth=1
	s_or_b64 exec, exec, s[46:47]
	s_and_saveexec_b64 s[46:47], s[24:25]
	s_cbranch_execnz .LBB113_72
.LBB113_56:                             ;   in Loop: Header=BB113_43 Depth=1
	s_or_b64 exec, exec, s[46:47]
	s_and_saveexec_b64 s[46:47], s[26:27]
	s_cbranch_execnz .LBB113_73
.LBB113_57:                             ;   in Loop: Header=BB113_43 Depth=1
	s_or_b64 exec, exec, s[46:47]
	s_and_saveexec_b64 s[46:47], s[28:29]
	s_cbranch_execnz .LBB113_74
.LBB113_58:                             ;   in Loop: Header=BB113_43 Depth=1
	s_or_b64 exec, exec, s[46:47]
	v_ashrrev_i32_e32 v13, 31, v12
	s_and_saveexec_b64 s[46:47], s[30:31]
	s_cbranch_execnz .LBB113_75
.LBB113_59:                             ;   in Loop: Header=BB113_43 Depth=1
	s_or_b64 exec, exec, s[46:47]
	s_and_saveexec_b64 s[30:31], vcc
	s_cbranch_execz .LBB113_42
	s_branch .LBB113_76
.LBB113_60:                             ;   in Loop: Header=BB113_43 Depth=1
	v_mov_b32_e32 v2, s33
	ds_read_b32 v2, v2
	s_waitcnt lgkmcnt(0)
	v_add_u32_e32 v12, v2, v12
	s_or_b64 exec, exec, s[46:47]
	s_and_saveexec_b64 s[46:47], s[2:3]
	s_cbranch_execz .LBB113_45
.LBB113_61:                             ;   in Loop: Header=BB113_43 Depth=1
	v_mov_b32_e32 v2, s39
	ds_read_b32 v2, v2
	s_waitcnt lgkmcnt(0)
	v_add_u32_e32 v12, v12, v2
	s_or_b64 exec, exec, s[46:47]
	s_and_saveexec_b64 s[46:47], s[4:5]
	s_cbranch_execz .LBB113_46
.LBB113_62:                             ;   in Loop: Header=BB113_43 Depth=1
	v_mov_b32_e32 v2, s48
	ds_read_b32 v2, v2
	s_waitcnt lgkmcnt(0)
	v_add_u32_e32 v12, v12, v2
	s_or_b64 exec, exec, s[46:47]
	s_and_saveexec_b64 s[46:47], s[6:7]
	s_cbranch_execz .LBB113_47
.LBB113_63:                             ;   in Loop: Header=BB113_43 Depth=1
	v_mov_b32_e32 v2, s49
	ds_read_b32 v2, v2
	s_waitcnt lgkmcnt(0)
	v_add_u32_e32 v12, v12, v2
	s_or_b64 exec, exec, s[46:47]
	s_and_saveexec_b64 s[46:47], s[8:9]
	s_cbranch_execz .LBB113_48
.LBB113_64:                             ;   in Loop: Header=BB113_43 Depth=1
	v_mov_b32_e32 v2, s50
	ds_read_b32 v2, v2
	s_waitcnt lgkmcnt(0)
	v_add_u32_e32 v12, v12, v2
	s_or_b64 exec, exec, s[46:47]
	s_and_saveexec_b64 s[46:47], s[10:11]
	s_cbranch_execz .LBB113_49
.LBB113_65:                             ;   in Loop: Header=BB113_43 Depth=1
	v_mov_b32_e32 v2, s51
	ds_read_b32 v2, v2
	s_waitcnt lgkmcnt(0)
	v_add_u32_e32 v12, v12, v2
	s_or_b64 exec, exec, s[46:47]
	s_and_saveexec_b64 s[46:47], s[12:13]
	s_cbranch_execz .LBB113_50
.LBB113_66:                             ;   in Loop: Header=BB113_43 Depth=1
	v_mov_b32_e32 v2, s52
	ds_read_b32 v2, v2
	s_waitcnt lgkmcnt(0)
	v_add_u32_e32 v12, v12, v2
	s_or_b64 exec, exec, s[46:47]
	s_and_saveexec_b64 s[46:47], s[14:15]
	s_cbranch_execz .LBB113_51
.LBB113_67:                             ;   in Loop: Header=BB113_43 Depth=1
	v_mov_b32_e32 v2, s53
	ds_read_b32 v2, v2
	s_waitcnt lgkmcnt(0)
	v_add_u32_e32 v12, v12, v2
	s_or_b64 exec, exec, s[46:47]
	s_and_saveexec_b64 s[46:47], s[16:17]
	s_cbranch_execz .LBB113_52
.LBB113_68:                             ;   in Loop: Header=BB113_43 Depth=1
	v_mov_b32_e32 v2, s54
	ds_read_b32 v2, v2
	s_waitcnt lgkmcnt(0)
	v_add_u32_e32 v12, v12, v2
	s_or_b64 exec, exec, s[46:47]
	s_and_saveexec_b64 s[46:47], s[18:19]
	s_cbranch_execz .LBB113_53
.LBB113_69:                             ;   in Loop: Header=BB113_43 Depth=1
	v_mov_b32_e32 v2, s55
	ds_read_b32 v2, v2
	s_waitcnt lgkmcnt(0)
	v_add_u32_e32 v12, v12, v2
	s_or_b64 exec, exec, s[46:47]
	s_and_saveexec_b64 s[46:47], s[20:21]
	s_cbranch_execz .LBB113_54
.LBB113_70:                             ;   in Loop: Header=BB113_43 Depth=1
	v_mov_b32_e32 v2, s56
	ds_read_b32 v2, v2
	s_waitcnt lgkmcnt(0)
	v_add_u32_e32 v12, v12, v2
	s_or_b64 exec, exec, s[46:47]
	s_and_saveexec_b64 s[46:47], s[22:23]
	s_cbranch_execz .LBB113_55
.LBB113_71:                             ;   in Loop: Header=BB113_43 Depth=1
	v_mov_b32_e32 v2, s57
	ds_read_b32 v2, v2
	s_waitcnt lgkmcnt(0)
	v_add_u32_e32 v12, v12, v2
	s_or_b64 exec, exec, s[46:47]
	s_and_saveexec_b64 s[46:47], s[24:25]
	s_cbranch_execz .LBB113_56
.LBB113_72:                             ;   in Loop: Header=BB113_43 Depth=1
	v_mov_b32_e32 v2, s58
	ds_read_b32 v2, v2
	s_waitcnt lgkmcnt(0)
	v_add_u32_e32 v12, v12, v2
	s_or_b64 exec, exec, s[46:47]
	s_and_saveexec_b64 s[46:47], s[26:27]
	s_cbranch_execz .LBB113_57
.LBB113_73:                             ;   in Loop: Header=BB113_43 Depth=1
	v_mov_b32_e32 v2, s59
	ds_read_b32 v2, v2
	s_waitcnt lgkmcnt(0)
	v_add_u32_e32 v12, v12, v2
	s_or_b64 exec, exec, s[46:47]
	s_and_saveexec_b64 s[46:47], s[28:29]
	s_cbranch_execz .LBB113_58
.LBB113_74:                             ;   in Loop: Header=BB113_43 Depth=1
	v_mov_b32_e32 v2, s60
	ds_read_b32 v2, v2
	s_waitcnt lgkmcnt(0)
	v_add_u32_e32 v12, v12, v2
	s_or_b64 exec, exec, s[46:47]
	v_ashrrev_i32_e32 v13, 31, v12
	s_and_saveexec_b64 s[46:47], s[30:31]
	s_cbranch_execz .LBB113_59
.LBB113_75:                             ;   in Loop: Header=BB113_43 Depth=1
	v_add3_u32 v2, v6, -1, v12
	v_lshl_add_u32 v2, v2, 3, 0
	v_add_u32_e32 v17, v6, v12
	v_lshl_add_u32 v17, v17, 3, 0
	ds_write_b64 v2, v[8:9]
	ds_write_b64 v17, v[10:11] offset:65528
	s_or_b64 exec, exec, s[46:47]
	s_and_saveexec_b64 s[30:31], vcc
	s_cbranch_execz .LBB113_42
.LBB113_76:                             ;   in Loop: Header=BB113_43 Depth=1
	v_mov_b32_e32 v2, s61
	ds_write_b64 v2, v[12:13]
	s_branch .LBB113_42
.LBB113_77:
	s_or_b64 exec, exec, s[44:45]
	s_lshl_b64 s[0:1], s[40:41], 3
	s_add_u32 s4, s42, s0
	s_addc_u32 s5, s43, s1
	s_load_dwordx4 s[0:3], s[4:5], 0x0
	v_mov_b32_e32 v1, 0
	s_waitcnt lgkmcnt(0)
	s_sub_u32 s4, s2, s0
	s_subb_u32 s5, s3, s1
	v_cmp_gt_i64_e32 vcc, s[4:5], v[0:1]
	s_and_saveexec_b64 s[6:7], vcc
	s_cbranch_execz .LBB113_87
; %bb.78:
	s_sub_u32 s8, s0, s38
	s_subb_u32 s9, s1, 0
	s_and_b32 s6, s4, 7
	s_sub_u32 s0, s0, s2
	s_mov_b32 s7, 0
	s_subb_u32 s1, s1, s3
	s_and_b32 s10, s4, -8
	s_cmp_lg_u64 s[6:7], 0
	v_cmp_lt_u64_e64 s[0:1], s[0:1], -7
	s_cselect_b64 s[2:3], -1, 0
	s_mov_b32 s11, s5
	v_cndmask_b32_e64 v2, 0, 1, s[0:1]
	v_cmp_ne_u32_e64 s[0:1], 1, v2
	v_cndmask_b32_e64 v2, 0, 1, s[2:3]
	s_mov_b64 s[12:13], 0
	v_cmp_ne_u32_e64 s[2:3], 1, v2
	s_mov_b64 s[14:15], 0x400
	s_branch .LBB113_80
.LBB113_79:                             ;   in Loop: Header=BB113_80 Depth=1
	v_lshl_add_u64 v[0:1], v[0:1], 0, s[14:15]
	v_cmp_le_i64_e32 vcc, s[4:5], v[0:1]
	s_waitcnt lgkmcnt(1)
	v_lshl_add_u64 v[4:5], v[6:7], 3, s[36:37]
	s_or_b64 s[12:13], vcc, s[12:13]
	s_waitcnt lgkmcnt(0)
	global_store_dwordx2 v[4:5], v[2:3], off
	s_andn2_b64 exec, exec, s[12:13]
	s_cbranch_execz .LBB113_87
.LBB113_80:                             ; =>This Loop Header: Depth=1
                                        ;     Child Loop BB113_82 Depth 2
                                        ;     Child Loop BB113_86 Depth 2
	v_lshl_add_u32 v2, v0, 3, 0
	v_add_u32_e32 v3, 0x10000, v2
	ds_read_b64 v[4:5], v2
	ds_read_b64 v[2:3], v3
	s_and_b64 vcc, exec, s[0:1]
	v_mov_b64_e32 v[6:7], s[8:9]
	s_mov_b64 s[16:17], 0
	s_cbranch_vccnz .LBB113_84
; %bb.81:                               ;   in Loop: Header=BB113_80 Depth=1
	s_mov_b32 s18, 0
	v_mov_b64_e32 v[6:7], s[8:9]
.LBB113_82:                             ;   Parent Loop BB113_80 Depth=1
                                        ; =>  This Inner Loop Header: Depth=2
	v_mov_b32_e32 v20, s18
	ds_read2_b64 v[8:11], v20 offset1:1
	ds_read2_b64 v[12:15], v20 offset0:2 offset1:3
	ds_read2_b64 v[16:19], v20 offset0:4 offset1:5
	;; [unrolled: 1-line block ×3, first 2 shown]
	v_mov_b32_e32 v25, s7
	s_waitcnt lgkmcnt(3)
	v_cmp_gt_i64_e32 vcc, v[4:5], v[8:9]
	v_mov_b32_e32 v27, s7
	v_mov_b32_e32 v29, s7
	v_cndmask_b32_e64 v24, 0, 1, vcc
	v_cmp_gt_i64_e32 vcc, v[4:5], v[10:11]
	v_lshl_add_u64 v[6:7], v[6:7], 0, v[24:25]
	v_mov_b32_e32 v31, s7
	v_cndmask_b32_e64 v26, 0, 1, vcc
	s_waitcnt lgkmcnt(2)
	v_cmp_gt_i64_e32 vcc, v[4:5], v[12:13]
	v_lshl_add_u64 v[6:7], v[6:7], 0, v[26:27]
	v_mov_b32_e32 v33, s7
	v_cndmask_b32_e64 v28, 0, 1, vcc
	v_cmp_gt_i64_e32 vcc, v[4:5], v[14:15]
	v_lshl_add_u64 v[6:7], v[6:7], 0, v[28:29]
	v_mov_b32_e32 v35, s7
	v_cndmask_b32_e64 v30, 0, 1, vcc
	s_waitcnt lgkmcnt(1)
	v_cmp_gt_i64_e32 vcc, v[4:5], v[16:17]
	v_lshl_add_u64 v[6:7], v[6:7], 0, v[30:31]
	v_mov_b32_e32 v37, s7
	v_cndmask_b32_e64 v32, 0, 1, vcc
	v_cmp_gt_i64_e32 vcc, v[4:5], v[18:19]
	v_lshl_add_u64 v[6:7], v[6:7], 0, v[32:33]
	s_add_u32 s16, s16, 8
	v_cndmask_b32_e64 v34, 0, 1, vcc
	s_waitcnt lgkmcnt(0)
	v_cmp_gt_i64_e32 vcc, v[4:5], v[20:21]
	v_lshl_add_u64 v[6:7], v[6:7], 0, v[34:35]
	v_mov_b32_e32 v39, s7
	v_cndmask_b32_e64 v36, 0, 1, vcc
	v_cmp_gt_i64_e32 vcc, v[4:5], v[22:23]
	s_addc_u32 s17, s17, 0
	s_add_i32 s18, s18, 64
	v_cndmask_b32_e64 v38, 0, 1, vcc
	v_lshl_add_u64 v[6:7], v[6:7], 0, v[36:37]
	s_cmp_eq_u64 s[10:11], s[16:17]
	v_lshl_add_u64 v[6:7], v[6:7], 0, v[38:39]
	s_cbranch_scc0 .LBB113_82
; %bb.83:                               ;   in Loop: Header=BB113_80 Depth=1
	s_mov_b64 s[16:17], s[10:11]
.LBB113_84:                             ;   in Loop: Header=BB113_80 Depth=1
	s_and_b64 vcc, exec, s[2:3]
	s_cbranch_vccnz .LBB113_79
; %bb.85:                               ;   in Loop: Header=BB113_80 Depth=1
	s_lshl_b32 s16, s16, 3
	s_add_i32 s18, s16, 0
	s_mov_b64 s[16:17], s[6:7]
.LBB113_86:                             ;   Parent Loop BB113_80 Depth=1
                                        ; =>  This Inner Loop Header: Depth=2
	v_mov_b32_e32 v8, s18
	ds_read_b64 v[10:11], v8
	s_add_i32 s18, s18, 8
	s_add_u32 s16, s16, -1
	v_mov_b32_e32 v9, s7
	s_addc_u32 s17, s17, -1
	s_waitcnt lgkmcnt(0)
	v_cmp_gt_i64_e32 vcc, v[4:5], v[10:11]
	s_cmp_lg_u64 s[16:17], 0
	s_nop 0
	v_cndmask_b32_e64 v8, 0, 1, vcc
	v_lshl_add_u64 v[6:7], v[6:7], 0, v[8:9]
	s_cbranch_scc1 .LBB113_86
	s_branch .LBB113_79
.LBB113_87:
	s_endpgm
	.section	.rodata,"a",@progbits
	.p2align	6, 0x0
	.amdhsa_kernel _ZN9rocsparseL41csrgemm_numeric_fill_block_per_row_kernelILj1024ELj64ELj8192ELj137ELj64ElldEEvT5_PKS1_S3_NS_24const_host_device_scalarIT6_EEPKT4_S3_PKS5_S9_S3_SB_S6_S9_S3_SB_S9_S3_PS5_21rocsparse_index_base_SD_SD_SD_bbb
		.amdhsa_group_segment_fixed_size 0
		.amdhsa_private_segment_fixed_size 0
		.amdhsa_kernarg_size 156
		.amdhsa_user_sgpr_count 2
		.amdhsa_user_sgpr_dispatch_ptr 0
		.amdhsa_user_sgpr_queue_ptr 0
		.amdhsa_user_sgpr_kernarg_segment_ptr 1
		.amdhsa_user_sgpr_dispatch_id 0
		.amdhsa_user_sgpr_kernarg_preload_length 0
		.amdhsa_user_sgpr_kernarg_preload_offset 0
		.amdhsa_user_sgpr_private_segment_size 0
		.amdhsa_uses_dynamic_stack 0
		.amdhsa_enable_private_segment 0
		.amdhsa_system_sgpr_workgroup_id_x 1
		.amdhsa_system_sgpr_workgroup_id_y 0
		.amdhsa_system_sgpr_workgroup_id_z 0
		.amdhsa_system_sgpr_workgroup_info 0
		.amdhsa_system_vgpr_workitem_id 0
		.amdhsa_next_free_vgpr 40
		.amdhsa_next_free_sgpr 63
		.amdhsa_accum_offset 40
		.amdhsa_reserve_vcc 1
		.amdhsa_float_round_mode_32 0
		.amdhsa_float_round_mode_16_64 0
		.amdhsa_float_denorm_mode_32 3
		.amdhsa_float_denorm_mode_16_64 3
		.amdhsa_dx10_clamp 1
		.amdhsa_ieee_mode 1
		.amdhsa_fp16_overflow 0
		.amdhsa_tg_split 0
		.amdhsa_exception_fp_ieee_invalid_op 0
		.amdhsa_exception_fp_denorm_src 0
		.amdhsa_exception_fp_ieee_div_zero 0
		.amdhsa_exception_fp_ieee_overflow 0
		.amdhsa_exception_fp_ieee_underflow 0
		.amdhsa_exception_fp_ieee_inexact 0
		.amdhsa_exception_int_div_zero 0
	.end_amdhsa_kernel
	.section	.text._ZN9rocsparseL41csrgemm_numeric_fill_block_per_row_kernelILj1024ELj64ELj8192ELj137ELj64ElldEEvT5_PKS1_S3_NS_24const_host_device_scalarIT6_EEPKT4_S3_PKS5_S9_S3_SB_S6_S9_S3_SB_S9_S3_PS5_21rocsparse_index_base_SD_SD_SD_bbb,"axG",@progbits,_ZN9rocsparseL41csrgemm_numeric_fill_block_per_row_kernelILj1024ELj64ELj8192ELj137ELj64ElldEEvT5_PKS1_S3_NS_24const_host_device_scalarIT6_EEPKT4_S3_PKS5_S9_S3_SB_S6_S9_S3_SB_S9_S3_PS5_21rocsparse_index_base_SD_SD_SD_bbb,comdat
.Lfunc_end113:
	.size	_ZN9rocsparseL41csrgemm_numeric_fill_block_per_row_kernelILj1024ELj64ELj8192ELj137ELj64ElldEEvT5_PKS1_S3_NS_24const_host_device_scalarIT6_EEPKT4_S3_PKS5_S9_S3_SB_S6_S9_S3_SB_S9_S3_PS5_21rocsparse_index_base_SD_SD_SD_bbb, .Lfunc_end113-_ZN9rocsparseL41csrgemm_numeric_fill_block_per_row_kernelILj1024ELj64ELj8192ELj137ELj64ElldEEvT5_PKS1_S3_NS_24const_host_device_scalarIT6_EEPKT4_S3_PKS5_S9_S3_SB_S6_S9_S3_SB_S9_S3_PS5_21rocsparse_index_base_SD_SD_SD_bbb
                                        ; -- End function
	.set _ZN9rocsparseL41csrgemm_numeric_fill_block_per_row_kernelILj1024ELj64ELj8192ELj137ELj64ElldEEvT5_PKS1_S3_NS_24const_host_device_scalarIT6_EEPKT4_S3_PKS5_S9_S3_SB_S6_S9_S3_SB_S9_S3_PS5_21rocsparse_index_base_SD_SD_SD_bbb.num_vgpr, 40
	.set _ZN9rocsparseL41csrgemm_numeric_fill_block_per_row_kernelILj1024ELj64ELj8192ELj137ELj64ElldEEvT5_PKS1_S3_NS_24const_host_device_scalarIT6_EEPKT4_S3_PKS5_S9_S3_SB_S6_S9_S3_SB_S9_S3_PS5_21rocsparse_index_base_SD_SD_SD_bbb.num_agpr, 0
	.set _ZN9rocsparseL41csrgemm_numeric_fill_block_per_row_kernelILj1024ELj64ELj8192ELj137ELj64ElldEEvT5_PKS1_S3_NS_24const_host_device_scalarIT6_EEPKT4_S3_PKS5_S9_S3_SB_S6_S9_S3_SB_S9_S3_PS5_21rocsparse_index_base_SD_SD_SD_bbb.numbered_sgpr, 63
	.set _ZN9rocsparseL41csrgemm_numeric_fill_block_per_row_kernelILj1024ELj64ELj8192ELj137ELj64ElldEEvT5_PKS1_S3_NS_24const_host_device_scalarIT6_EEPKT4_S3_PKS5_S9_S3_SB_S6_S9_S3_SB_S9_S3_PS5_21rocsparse_index_base_SD_SD_SD_bbb.num_named_barrier, 0
	.set _ZN9rocsparseL41csrgemm_numeric_fill_block_per_row_kernelILj1024ELj64ELj8192ELj137ELj64ElldEEvT5_PKS1_S3_NS_24const_host_device_scalarIT6_EEPKT4_S3_PKS5_S9_S3_SB_S6_S9_S3_SB_S9_S3_PS5_21rocsparse_index_base_SD_SD_SD_bbb.private_seg_size, 0
	.set _ZN9rocsparseL41csrgemm_numeric_fill_block_per_row_kernelILj1024ELj64ELj8192ELj137ELj64ElldEEvT5_PKS1_S3_NS_24const_host_device_scalarIT6_EEPKT4_S3_PKS5_S9_S3_SB_S6_S9_S3_SB_S9_S3_PS5_21rocsparse_index_base_SD_SD_SD_bbb.uses_vcc, 1
	.set _ZN9rocsparseL41csrgemm_numeric_fill_block_per_row_kernelILj1024ELj64ELj8192ELj137ELj64ElldEEvT5_PKS1_S3_NS_24const_host_device_scalarIT6_EEPKT4_S3_PKS5_S9_S3_SB_S6_S9_S3_SB_S9_S3_PS5_21rocsparse_index_base_SD_SD_SD_bbb.uses_flat_scratch, 0
	.set _ZN9rocsparseL41csrgemm_numeric_fill_block_per_row_kernelILj1024ELj64ELj8192ELj137ELj64ElldEEvT5_PKS1_S3_NS_24const_host_device_scalarIT6_EEPKT4_S3_PKS5_S9_S3_SB_S6_S9_S3_SB_S9_S3_PS5_21rocsparse_index_base_SD_SD_SD_bbb.has_dyn_sized_stack, 0
	.set _ZN9rocsparseL41csrgemm_numeric_fill_block_per_row_kernelILj1024ELj64ELj8192ELj137ELj64ElldEEvT5_PKS1_S3_NS_24const_host_device_scalarIT6_EEPKT4_S3_PKS5_S9_S3_SB_S6_S9_S3_SB_S9_S3_PS5_21rocsparse_index_base_SD_SD_SD_bbb.has_recursion, 0
	.set _ZN9rocsparseL41csrgemm_numeric_fill_block_per_row_kernelILj1024ELj64ELj8192ELj137ELj64ElldEEvT5_PKS1_S3_NS_24const_host_device_scalarIT6_EEPKT4_S3_PKS5_S9_S3_SB_S6_S9_S3_SB_S9_S3_PS5_21rocsparse_index_base_SD_SD_SD_bbb.has_indirect_call, 0
	.section	.AMDGPU.csdata,"",@progbits
; Kernel info:
; codeLenInByte = 3424
; TotalNumSgprs: 69
; NumVgprs: 40
; NumAgprs: 0
; TotalNumVgprs: 40
; ScratchSize: 0
; MemoryBound: 0
; FloatMode: 240
; IeeeMode: 1
; LDSByteSize: 0 bytes/workgroup (compile time only)
; SGPRBlocks: 8
; VGPRBlocks: 4
; NumSGPRsForWavesPerEU: 69
; NumVGPRsForWavesPerEU: 40
; AccumOffset: 40
; Occupancy: 8
; WaveLimiterHint : 1
; COMPUTE_PGM_RSRC2:SCRATCH_EN: 0
; COMPUTE_PGM_RSRC2:USER_SGPR: 2
; COMPUTE_PGM_RSRC2:TRAP_HANDLER: 0
; COMPUTE_PGM_RSRC2:TGID_X_EN: 1
; COMPUTE_PGM_RSRC2:TGID_Y_EN: 0
; COMPUTE_PGM_RSRC2:TGID_Z_EN: 0
; COMPUTE_PGM_RSRC2:TIDIG_COMP_CNT: 0
; COMPUTE_PGM_RSRC3_GFX90A:ACCUM_OFFSET: 9
; COMPUTE_PGM_RSRC3_GFX90A:TG_SPLIT: 0
	.section	.text._ZN9rocsparseL41csrgemm_numeric_fill_block_per_row_kernelILj1024ELj64ELj16384ELj137ELj32ElldEEvT5_PKS1_S3_NS_24const_host_device_scalarIT6_EEPKT4_S3_PKS5_S9_S3_SB_S6_S9_S3_SB_S9_S3_PS5_21rocsparse_index_base_SD_SD_SD_bbb,"axG",@progbits,_ZN9rocsparseL41csrgemm_numeric_fill_block_per_row_kernelILj1024ELj64ELj16384ELj137ELj32ElldEEvT5_PKS1_S3_NS_24const_host_device_scalarIT6_EEPKT4_S3_PKS5_S9_S3_SB_S6_S9_S3_SB_S9_S3_PS5_21rocsparse_index_base_SD_SD_SD_bbb,comdat
	.globl	_ZN9rocsparseL41csrgemm_numeric_fill_block_per_row_kernelILj1024ELj64ELj16384ELj137ELj32ElldEEvT5_PKS1_S3_NS_24const_host_device_scalarIT6_EEPKT4_S3_PKS5_S9_S3_SB_S6_S9_S3_SB_S9_S3_PS5_21rocsparse_index_base_SD_SD_SD_bbb ; -- Begin function _ZN9rocsparseL41csrgemm_numeric_fill_block_per_row_kernelILj1024ELj64ELj16384ELj137ELj32ElldEEvT5_PKS1_S3_NS_24const_host_device_scalarIT6_EEPKT4_S3_PKS5_S9_S3_SB_S6_S9_S3_SB_S9_S3_PS5_21rocsparse_index_base_SD_SD_SD_bbb
	.p2align	8
	.type	_ZN9rocsparseL41csrgemm_numeric_fill_block_per_row_kernelILj1024ELj64ELj16384ELj137ELj32ElldEEvT5_PKS1_S3_NS_24const_host_device_scalarIT6_EEPKT4_S3_PKS5_S9_S3_SB_S6_S9_S3_SB_S9_S3_PS5_21rocsparse_index_base_SD_SD_SD_bbb,@function
_ZN9rocsparseL41csrgemm_numeric_fill_block_per_row_kernelILj1024ELj64ELj16384ELj137ELj32ElldEEvT5_PKS1_S3_NS_24const_host_device_scalarIT6_EEPKT4_S3_PKS5_S9_S3_SB_S6_S9_S3_SB_S9_S3_PS5_21rocsparse_index_base_SD_SD_SD_bbb: ; @_ZN9rocsparseL41csrgemm_numeric_fill_block_per_row_kernelILj1024ELj64ELj16384ELj137ELj32ElldEEvT5_PKS1_S3_NS_24const_host_device_scalarIT6_EEPKT4_S3_PKS5_S9_S3_SB_S6_S9_S3_SB_S9_S3_PS5_21rocsparse_index_base_SD_SD_SD_bbb
; %bb.0:
	s_load_dword s3, s[0:1], 0x98
	s_load_dwordx4 s[48:51], s[0:1], 0x88
	s_load_dwordx2 s[4:5], s[0:1], 0x18
	s_load_dwordx2 s[12:13], s[0:1], 0x50
	s_waitcnt lgkmcnt(0)
	s_bitcmp1_b32 s3, 0
	s_cselect_b64 s[28:29], -1, 0
	s_bitcmp1_b32 s3, 16
	s_cselect_b64 s[14:15], -1, 0
	s_xor_b64 s[6:7], s[28:29], -1
	s_or_b64 s[6:7], s[14:15], s[6:7]
	s_and_b64 s[8:9], s[28:29], exec
	s_cselect_b32 s9, s5, 0
	s_cselect_b32 s8, s4, 0
	s_and_b64 vcc, exec, s[6:7]
	v_mov_b64_e32 v[4:5], s[8:9]
	s_cbranch_vccnz .LBB114_2
; %bb.1:
	v_mov_b64_e32 v[2:3], s[4:5]
	flat_load_dwordx2 v[4:5], v[2:3]
.LBB114_2:
	s_load_dwordx2 s[4:5], s[0:1], 0x80
                                        ; implicit-def: $vgpr40 : SGPR spill to VGPR lane
	s_bitcmp1_b32 s3, 8
	s_cselect_b64 s[26:27], -1, 0
	s_xor_b64 s[16:17], s[26:27], -1
	s_or_b64 s[14:15], s[14:15], s[16:17]
	s_waitcnt lgkmcnt(0)
	v_writelane_b32 v40, s4, 0
	s_and_b64 s[16:17], s[26:27], exec
	s_cselect_b32 s17, s13, 0
	v_writelane_b32 v40, s5, 1
	s_load_dwordx2 s[4:5], s[0:1], 0x70
	s_cselect_b32 s16, s12, 0
	s_and_b64 vcc, exec, s[14:15]
	v_mov_b64_e32 v[2:3], s[16:17]
	s_waitcnt lgkmcnt(0)
	v_writelane_b32 v40, s4, 2
	s_nop 1
	v_writelane_b32 v40, s5, 3
	s_load_dwordx2 s[24:25], s[0:1], 0x58
	s_load_dwordx4 s[20:23], s[0:1], 0x8
	s_load_dwordx8 s[4:11], s[0:1], 0x20
	s_cbranch_vccnz .LBB114_4
; %bb.3:
	v_mov_b64_e32 v[2:3], s[12:13]
	flat_load_dwordx2 v[2:3], v[2:3]
.LBB114_4:
	s_load_dwordx4 s[12:15], s[0:1], 0x60
	s_load_dwordx4 s[16:19], s[0:1], 0x40
	s_load_dwordx2 s[72:73], s[0:1], 0x0
	v_or_b32_e32 v1, 0xfffffc00, v0
	v_mov_b32_e32 v6, 0
	v_lshl_add_u32 v26, v0, 3, 0
	s_mov_b64 s[0:1], 0
	s_waitcnt lgkmcnt(0)
	v_mov_b64_e32 v[10:11], s[72:73]
	v_mov_b32_e32 v7, v6
	s_movk_i32 s3, 0x3bff
	v_mov_b32_e32 v8, v26
	v_mov_b32_e32 v9, v1
.LBB114_5:                              ; =>This Inner Loop Header: Depth=1
	v_add_u32_e32 v9, 0x400, v9
	v_cmp_lt_u32_e32 vcc, s3, v9
	ds_write_b64 v8, v[10:11]
	v_add_u32_e32 v12, 0x20000, v8
	v_add_u32_e32 v8, 0x2000, v8
	s_or_b64 s[0:1], vcc, s[0:1]
	ds_write_b64 v12, v[6:7]
	s_andn2_b64 exec, exec, s[0:1]
	s_cbranch_execnz .LBB114_5
; %bb.6:
	s_or_b64 exec, exec, s[0:1]
	s_waitcnt lgkmcnt(0)
	s_barrier
	s_load_dwordx2 s[0:1], s[20:21], 0x0
	s_mov_b32 s3, 0
	s_waitcnt lgkmcnt(0)
	s_lshl_b64 s[0:1], s[0:1], 3
	s_add_u32 s20, s22, s0
	s_addc_u32 s21, s23, s1
	s_lshl_b64 s[0:1], s[2:3], 3
	s_add_u32 s0, s20, s0
	s_addc_u32 s1, s21, s1
	s_load_dwordx2 s[46:47], s[0:1], 0x0
	s_and_b64 vcc, exec, s[28:29]
	s_cbranch_vccz .LBB114_26
; %bb.7:
	s_waitcnt lgkmcnt(0)
	s_lshl_b64 s[0:1], s[46:47], 3
	s_add_u32 s0, s4, s0
	s_addc_u32 s1, s5, s1
	s_load_dwordx4 s[20:23], s[0:1], 0x0
	v_lshrrev_b32_e32 v6, 6, v0
	v_subrev_co_u32_e32 v6, vcc, s48, v6
	s_waitcnt lgkmcnt(0)
	s_sub_u32 s0, s22, s48
	v_subb_co_u32_e64 v7, s[2:3], 0, 0, vcc
	s_subb_u32 s1, s23, 0
	v_lshl_add_u64 v[6:7], s[20:21], 0, v[6:7]
	v_cmp_gt_i64_e32 vcc, s[0:1], v[6:7]
	s_and_saveexec_b64 s[2:3], vcc
	s_cbranch_execz .LBB114_25
; %bb.8:
	v_and_b32_e32 v8, 63, v0
	v_subrev_co_u32_e32 v8, vcc, s49, v8
	s_mov_b32 s33, s49
	s_nop 0
	v_subb_co_u32_e64 v9, s[4:5], 0, 0, vcc
	s_mov_b64 s[4:5], 0
	s_movk_i32 s44, 0x89
	s_branch .LBB114_10
.LBB114_9:                              ;   in Loop: Header=BB114_10 Depth=1
	s_or_b64 exec, exec, s[20:21]
	v_lshl_add_u64 v[6:7], v[6:7], 0, 16
	v_cmp_le_i64_e32 vcc, s[0:1], v[6:7]
	s_or_b64 s[4:5], vcc, s[4:5]
	s_andn2_b64 exec, exec, s[4:5]
	s_cbranch_execz .LBB114_25
.LBB114_10:                             ; =>This Loop Header: Depth=1
                                        ;     Child Loop BB114_14 Depth 2
                                        ;       Child Loop BB114_17 Depth 3
	v_lshl_add_u64 v[10:11], v[6:7], 3, s[6:7]
	global_load_dwordx2 v[10:11], v[10:11], off
	s_waitcnt vmcnt(0)
	v_subrev_co_u32_e32 v10, vcc, s48, v10
	s_nop 1
	v_subbrev_co_u32_e32 v11, vcc, 0, v11, vcc
	v_lshl_add_u64 v[10:11], v[10:11], 3, s[10:11]
	global_load_dwordx4 v[12:15], v[10:11], off
	s_waitcnt vmcnt(0)
	v_subrev_co_u32_e32 v10, vcc, s33, v14
	s_nop 1
	v_subbrev_co_u32_e32 v11, vcc, 0, v15, vcc
	v_lshl_add_u64 v[12:13], v[12:13], 0, v[8:9]
	v_cmp_lt_i64_e32 vcc, v[12:13], v[10:11]
	s_and_saveexec_b64 s[20:21], vcc
	s_cbranch_execz .LBB114_9
; %bb.11:                               ;   in Loop: Header=BB114_10 Depth=1
	v_lshl_add_u64 v[14:15], v[6:7], 3, s[8:9]
	global_load_dwordx2 v[14:15], v[14:15], off
	s_mov_b64 s[22:23], 0
	s_waitcnt vmcnt(0)
	v_mul_f64 v[14:15], v[4:5], v[14:15]
	s_branch .LBB114_14
.LBB114_12:                             ;   in Loop: Header=BB114_14 Depth=2
	s_or_b64 exec, exec, s[30:31]
.LBB114_13:                             ;   in Loop: Header=BB114_14 Depth=2
	s_or_b64 exec, exec, s[28:29]
	v_lshl_add_u32 v18, v20, 3, 0
	s_waitcnt vmcnt(0)
	v_mul_f64 v[16:17], v[14:15], v[16:17]
	v_add_u32_e32 v18, 0x20000, v18
	ds_add_f64 v18, v[16:17]
	v_lshl_add_u64 v[12:13], v[12:13], 0, 64
	v_cmp_ge_i64_e32 vcc, v[12:13], v[10:11]
	s_or_b64 s[22:23], vcc, s[22:23]
	s_andn2_b64 exec, exec, s[22:23]
	s_cbranch_execz .LBB114_9
.LBB114_14:                             ;   Parent Loop BB114_10 Depth=1
                                        ; =>  This Loop Header: Depth=2
                                        ;       Child Loop BB114_17 Depth 3
	v_lshlrev_b64 v[16:17], 3, v[12:13]
	v_lshl_add_u64 v[18:19], s[16:17], 0, v[16:17]
	global_load_dwordx2 v[18:19], v[18:19], off
	v_lshl_add_u64 v[16:17], s[18:19], 0, v[16:17]
	global_load_dwordx2 v[16:17], v[16:17], off
	s_waitcnt vmcnt(1)
	v_subrev_co_u32_e32 v18, vcc, s33, v18
	v_mul_lo_u32 v20, v18, s44
	v_and_b32_e32 v20, 0x3fff, v20
	v_lshl_add_u32 v27, v20, 3, 0
	ds_read_b64 v[24:25], v27
	v_subbrev_co_u32_e32 v19, vcc, 0, v19, vcc
	s_waitcnt lgkmcnt(0)
	v_cmp_ne_u64_e32 vcc, v[24:25], v[18:19]
	s_and_saveexec_b64 s[28:29], vcc
	s_cbranch_execz .LBB114_13
; %bb.15:                               ;   in Loop: Header=BB114_14 Depth=2
	s_mov_b64 s[30:31], 0
                                        ; implicit-def: $sgpr34_sgpr35
                                        ; implicit-def: $sgpr36_sgpr37
	s_branch .LBB114_17
.LBB114_16:                             ;   in Loop: Header=BB114_17 Depth=3
	s_or_b64 exec, exec, s[42:43]
	s_and_b64 s[38:39], exec, s[40:41]
	s_or_b64 s[30:31], s[38:39], s[30:31]
	s_andn2_b64 s[34:35], s[34:35], exec
	s_and_b64 s[38:39], s[36:37], exec
	s_or_b64 s[34:35], s[34:35], s[38:39]
	s_andn2_b64 exec, exec, s[30:31]
	s_cbranch_execz .LBB114_23
.LBB114_17:                             ;   Parent Loop BB114_10 Depth=1
                                        ;     Parent Loop BB114_14 Depth=2
                                        ; =>    This Inner Loop Header: Depth=3
	v_mov_b64_e32 v[22:23], v[20:21]
	v_cmp_ne_u64_e32 vcc, s[72:73], v[24:25]
	s_mov_b64 s[38:39], 0
                                        ; implicit-def: $vgpr20_vgpr21
	s_and_saveexec_b64 s[40:41], vcc
	s_xor_b64 s[40:41], exec, s[40:41]
; %bb.18:                               ;   in Loop: Header=BB114_17 Depth=3
	v_add_u32_e32 v20, 1, v22
	s_mov_b64 s[38:39], exec
	v_and_b32_e32 v20, 0x3fff, v20
                                        ; implicit-def: $vgpr27
; %bb.19:                               ;   in Loop: Header=BB114_17 Depth=3
	s_andn2_saveexec_b64 s[40:41], s[40:41]
	s_cbranch_execz .LBB114_21
; %bb.20:                               ;   in Loop: Header=BB114_17 Depth=3
	v_mov_b64_e32 v[20:21], s[72:73]
	ds_cmpst_rtn_b64 v[20:21], v27, v[20:21], v[18:19]
	s_andn2_b64 s[38:39], s[38:39], exec
	s_waitcnt lgkmcnt(0)
	v_cmp_ne_u64_e32 vcc, s[72:73], v[20:21]
	s_and_b64 s[42:43], vcc, exec
	s_or_b64 s[38:39], s[38:39], s[42:43]
	v_mov_b64_e32 v[20:21], v[22:23]
.LBB114_21:                             ;   in Loop: Header=BB114_17 Depth=3
	s_or_b64 exec, exec, s[40:41]
	s_mov_b64 s[40:41], -1
	s_or_b64 s[36:37], s[36:37], exec
                                        ; implicit-def: $vgpr27
                                        ; implicit-def: $vgpr24_vgpr25
	s_and_saveexec_b64 s[42:43], s[38:39]
	s_cbranch_execz .LBB114_16
; %bb.22:                               ;   in Loop: Header=BB114_17 Depth=3
	v_lshl_add_u32 v27, v20, 3, 0
	ds_read_b64 v[24:25], v27
	s_andn2_b64 s[36:37], s[36:37], exec
	s_waitcnt lgkmcnt(0)
	v_cmp_eq_u64_e32 vcc, v[24:25], v[18:19]
	s_orn2_b64 s[40:41], vcc, exec
	s_branch .LBB114_16
.LBB114_23:                             ;   in Loop: Header=BB114_14 Depth=2
	s_or_b64 exec, exec, s[30:31]
	s_and_saveexec_b64 s[30:31], s[34:35]
	s_xor_b64 s[30:31], exec, s[30:31]
	s_cbranch_execz .LBB114_12
; %bb.24:                               ;   in Loop: Header=BB114_14 Depth=2
	v_mov_b32_e32 v20, v22
	s_branch .LBB114_12
.LBB114_25:
	s_or_b64 exec, exec, s[2:3]
.LBB114_26:
	s_andn2_b64 vcc, exec, s[26:27]
	s_cbranch_vccnz .LBB114_43
; %bb.27:
	s_waitcnt lgkmcnt(0)
	s_lshl_b64 s[0:1], s[46:47], 3
	s_add_u32 s0, s24, s0
	s_addc_u32 s1, s25, s1
	s_load_dwordx4 s[4:7], s[0:1], 0x0
	s_waitcnt vmcnt(0)
	v_subrev_co_u32_e32 v4, vcc, s51, v0
	s_waitcnt lgkmcnt(0)
	s_sub_u32 s0, s6, s51
	v_subb_co_u32_e64 v5, s[2:3], 0, 0, vcc
	s_subb_u32 s1, s7, 0
	v_lshl_add_u64 v[4:5], s[4:5], 0, v[4:5]
	v_cmp_gt_i64_e32 vcc, s[0:1], v[4:5]
	s_and_saveexec_b64 s[2:3], vcc
	s_cbranch_execz .LBB114_42
; %bb.28:
	s_mov_b32 s26, s51
	s_mov_b64 s[4:5], 0
	s_movk_i32 s27, 0x89
	s_mov_b64 s[6:7], 0x400
	s_branch .LBB114_31
.LBB114_29:                             ;   in Loop: Header=BB114_31 Depth=1
	s_or_b64 exec, exec, s[10:11]
.LBB114_30:                             ;   in Loop: Header=BB114_31 Depth=1
	s_or_b64 exec, exec, s[8:9]
	v_lshl_add_u32 v8, v10, 3, 0
	s_waitcnt vmcnt(0)
	v_mul_f64 v[6:7], v[2:3], v[6:7]
	v_add_u32_e32 v8, 0x20000, v8
	ds_add_f64 v8, v[6:7]
	v_lshl_add_u64 v[4:5], v[4:5], 0, s[6:7]
	v_cmp_le_i64_e32 vcc, s[0:1], v[4:5]
	s_or_b64 s[4:5], vcc, s[4:5]
	s_andn2_b64 exec, exec, s[4:5]
	s_cbranch_execz .LBB114_42
.LBB114_31:                             ; =>This Loop Header: Depth=1
                                        ;     Child Loop BB114_34 Depth 2
	v_lshlrev_b64 v[6:7], 3, v[4:5]
	v_lshl_add_u64 v[8:9], s[12:13], 0, v[6:7]
	global_load_dwordx2 v[8:9], v[8:9], off
	v_lshl_add_u64 v[6:7], s[14:15], 0, v[6:7]
	global_load_dwordx2 v[6:7], v[6:7], off
	s_waitcnt vmcnt(1)
	v_subrev_co_u32_e32 v8, vcc, s26, v8
	v_mul_lo_u32 v10, v8, s27
	v_and_b32_e32 v10, 0x3fff, v10
	v_lshl_add_u32 v16, v10, 3, 0
	ds_read_b64 v[14:15], v16
	v_subbrev_co_u32_e32 v9, vcc, 0, v9, vcc
	s_waitcnt lgkmcnt(0)
	v_cmp_ne_u64_e32 vcc, v[14:15], v[8:9]
	s_and_saveexec_b64 s[8:9], vcc
	s_cbranch_execz .LBB114_30
; %bb.32:                               ;   in Loop: Header=BB114_31 Depth=1
	s_mov_b64 s[10:11], 0
                                        ; implicit-def: $sgpr16_sgpr17
                                        ; implicit-def: $sgpr18_sgpr19
	s_branch .LBB114_34
.LBB114_33:                             ;   in Loop: Header=BB114_34 Depth=2
	s_or_b64 exec, exec, s[24:25]
	s_and_b64 s[20:21], exec, s[22:23]
	s_or_b64 s[10:11], s[20:21], s[10:11]
	s_andn2_b64 s[16:17], s[16:17], exec
	s_and_b64 s[20:21], s[18:19], exec
	s_or_b64 s[16:17], s[16:17], s[20:21]
	s_andn2_b64 exec, exec, s[10:11]
	s_cbranch_execz .LBB114_40
.LBB114_34:                             ;   Parent Loop BB114_31 Depth=1
                                        ; =>  This Inner Loop Header: Depth=2
	v_mov_b64_e32 v[12:13], v[10:11]
	v_cmp_ne_u64_e32 vcc, s[72:73], v[14:15]
	s_mov_b64 s[20:21], 0
                                        ; implicit-def: $vgpr10_vgpr11
	s_and_saveexec_b64 s[22:23], vcc
	s_xor_b64 s[22:23], exec, s[22:23]
; %bb.35:                               ;   in Loop: Header=BB114_34 Depth=2
	v_add_u32_e32 v10, 1, v12
	s_mov_b64 s[20:21], exec
	v_and_b32_e32 v10, 0x3fff, v10
                                        ; implicit-def: $vgpr16
; %bb.36:                               ;   in Loop: Header=BB114_34 Depth=2
	s_andn2_saveexec_b64 s[22:23], s[22:23]
	s_cbranch_execz .LBB114_38
; %bb.37:                               ;   in Loop: Header=BB114_34 Depth=2
	v_mov_b64_e32 v[10:11], s[72:73]
	ds_cmpst_rtn_b64 v[10:11], v16, v[10:11], v[8:9]
	s_andn2_b64 s[20:21], s[20:21], exec
	s_waitcnt lgkmcnt(0)
	v_cmp_ne_u64_e32 vcc, s[72:73], v[10:11]
	s_and_b64 s[24:25], vcc, exec
	s_or_b64 s[20:21], s[20:21], s[24:25]
	v_mov_b64_e32 v[10:11], v[12:13]
.LBB114_38:                             ;   in Loop: Header=BB114_34 Depth=2
	s_or_b64 exec, exec, s[22:23]
	s_mov_b64 s[22:23], -1
	s_or_b64 s[18:19], s[18:19], exec
                                        ; implicit-def: $vgpr16
                                        ; implicit-def: $vgpr14_vgpr15
	s_and_saveexec_b64 s[24:25], s[20:21]
	s_cbranch_execz .LBB114_33
; %bb.39:                               ;   in Loop: Header=BB114_34 Depth=2
	v_lshl_add_u32 v16, v10, 3, 0
	ds_read_b64 v[14:15], v16
	s_andn2_b64 s[18:19], s[18:19], exec
	s_waitcnt lgkmcnt(0)
	v_cmp_eq_u64_e32 vcc, v[14:15], v[8:9]
	s_orn2_b64 s[22:23], vcc, exec
	s_branch .LBB114_33
.LBB114_40:                             ;   in Loop: Header=BB114_31 Depth=1
	s_or_b64 exec, exec, s[10:11]
	s_and_saveexec_b64 s[10:11], s[16:17]
	s_xor_b64 s[10:11], exec, s[10:11]
	s_cbranch_execz .LBB114_29
; %bb.41:                               ;   in Loop: Header=BB114_31 Depth=1
	v_mov_b32_e32 v10, v12
	s_branch .LBB114_29
.LBB114_42:
	s_or_b64 exec, exec, s[2:3]
.LBB114_43:
	s_movk_i32 s33, 0x25f
	v_cmp_lt_u32_e64 s[34:35], s33, v0
	s_movk_i32 s33, 0x27f
	v_cmp_lt_u32_e64 s[36:37], s33, v0
	s_movk_i32 s33, 0x29f
	s_waitcnt lgkmcnt(0)
	v_writelane_b32 v40, s46, 4
	v_cmp_lt_u32_e64 s[38:39], s33, v0
	s_movk_i32 s33, 0x2bf
	v_writelane_b32 v40, s47, 5
	v_cmp_lt_u32_e64 s[40:41], s33, v0
	s_movk_i32 s33, 0x2df
	;; [unrolled: 3-line block ×6, first 2 shown]
	v_cmp_lt_u32_e64 s[50:51], s33, v0
	s_movk_i32 s33, 0x37f
	s_waitcnt vmcnt(0)
	v_mbcnt_lo_u32_b32 v2, -1, 0
	v_cmp_lt_u32_e64 s[52:53], s33, v0
	s_movk_i32 s33, 0x39f
	v_mbcnt_hi_u32_b32 v2, -1, v2
	v_cmp_lt_u32_e64 s[54:55], s33, v0
	s_movk_i32 s33, 0x3bf
	v_sub_u32_e32 v2, 63, v2
	s_add_i32 s0, 0, 0x40000
	v_cmp_lt_u32_e64 s[56:57], s33, v0
	s_movk_i32 s33, 0x3df
	v_lshrrev_b64 v[4:5], v2, -1
	v_lshrrev_b32_e32 v2, 2, v0
	v_writelane_b32 v40, s0, 10
	v_cmp_lt_u32_e64 s[58:59], s33, v0
	s_add_i32 s33, 0, 0x40008
	v_and_b32_e32 v2, 0xf8, v2
	v_writelane_b32 v40, s33, 11
	s_add_i32 s33, 0, 0x40010
	v_add_u32_e32 v14, s0, v2
	s_movk_i32 s0, 0x3ff
	v_writelane_b32 v40, s33, 12
	s_add_i32 s33, 0, 0x40018
	v_cmp_eq_u32_e32 vcc, s0, v0
	s_movk_i32 s0, 0x5f
	s_movk_i32 s2, 0x7f
	;; [unrolled: 1-line block ×16, first 2 shown]
	v_writelane_b32 v40, s33, 13
	s_add_i32 s33, 0, 0x40028
	v_mov_b32_e32 v3, 0
	v_cmp_lt_u32_e64 s[0:1], s0, v0
	v_cmp_lt_u32_e64 s[2:3], s2, v0
	;; [unrolled: 1-line block ×16, first 2 shown]
	v_mov_b64_e32 v[6:7], 0
	s_add_i32 s81, 0, 0x40020
	v_writelane_b32 v40, s33, 14
	s_add_i32 s84, 0, 0x40030
	s_add_i32 s85, 0, 0x40038
	s_add_i32 s86, 0, 0x40040
	s_add_i32 s87, 0, 0x40048
	s_add_i32 s88, 0, 0x40050
	s_add_i32 s89, 0, 0x40058
	s_add_i32 s90, 0, 0x40060
	s_add_i32 s91, 0, 0x40068
	s_add_i32 s92, 0, 0x40070
	s_add_i32 s93, 0, 0x40078
	s_add_i32 s94, 0, 0x40080
	s_add_i32 s95, 0, 0x40088
	s_add_i32 s96, 0, 0x40090
	s_add_i32 s97, 0, 0x40098
	s_add_i32 s98, 0, 0x400a0
	s_add_i32 s99, 0, 0x400a8
	s_add_i32 s70, 0, 0x400b0
	s_add_i32 s71, 0, 0x400b8
	s_add_i32 s74, 0, 0x400c0
	s_add_i32 s75, 0, 0x400c8
	s_add_i32 s66, 0, 0x400d0
	s_add_i32 s68, 0, 0x400d8
	s_add_i32 s69, 0, 0x400e0
	s_add_i32 s33, 0, 0x400e8
	s_add_i32 s67, 0, 0x400f0
	s_add_i32 s80, 0, 0x400f8
	v_cmp_lt_u32_e64 s[60:61], 31, v0
	v_cmp_lt_u32_e64 s[62:63], 63, v0
	s_mov_b64 s[76:77], 0
	s_barrier
	s_branch .LBB114_45
.LBB114_44:                             ;   in Loop: Header=BB114_45 Depth=1
	s_or_b64 exec, exec, s[64:65]
	v_mov_b32_e32 v2, s80
	s_waitcnt lgkmcnt(0)
	s_barrier
	ds_read_b64 v[8:9], v2
	v_add_u32_e32 v1, 0x400, v1
	s_movk_i32 s64, 0x3bff
	v_cmp_lt_u32_e64 s[64:65], s64, v1
	s_or_b64 s[76:77], s[64:65], s[76:77]
	s_waitcnt lgkmcnt(0)
	v_lshl_add_u64 v[6:7], v[8:9], 0, v[6:7]
	v_add_u32_e32 v26, 0x2000, v26
	s_andn2_b64 exec, exec, s[76:77]
	s_cbranch_execz .LBB114_111
.LBB114_45:                             ; =>This Inner Loop Header: Depth=1
	ds_read_b64 v[8:9], v26
	v_add_u32_e32 v2, 0x20000, v26
	ds_read_b64 v[10:11], v2
	s_waitcnt lgkmcnt(0)
	s_barrier
	v_cmp_gt_i64_e64 s[64:65], s[72:73], v[8:9]
	s_bcnt1_i32_b64 s78, s[64:65]
	v_mov_b32_e32 v2, s78
	v_and_b32_e32 v13, s64, v4
	v_and_b32_e32 v12, s65, v5
	v_bcnt_u32_b32 v13, v13, 0
	v_bcnt_u32_b32 v12, v12, v13
	ds_write_b64 v14, v[2:3]
	s_waitcnt lgkmcnt(0)
	s_barrier
	s_and_saveexec_b64 s[78:79], s[60:61]
	s_cbranch_execnz .LBB114_78
; %bb.46:                               ;   in Loop: Header=BB114_45 Depth=1
	s_or_b64 exec, exec, s[78:79]
	s_and_saveexec_b64 s[78:79], s[62:63]
	s_cbranch_execnz .LBB114_79
.LBB114_47:                             ;   in Loop: Header=BB114_45 Depth=1
	s_or_b64 exec, exec, s[78:79]
	s_and_saveexec_b64 s[78:79], s[0:1]
	s_cbranch_execnz .LBB114_80
.LBB114_48:                             ;   in Loop: Header=BB114_45 Depth=1
	s_or_b64 exec, exec, s[78:79]
	s_and_saveexec_b64 s[78:79], s[2:3]
	s_cbranch_execnz .LBB114_81
.LBB114_49:                             ;   in Loop: Header=BB114_45 Depth=1
	s_or_b64 exec, exec, s[78:79]
	s_and_saveexec_b64 s[78:79], s[4:5]
	s_cbranch_execnz .LBB114_82
.LBB114_50:                             ;   in Loop: Header=BB114_45 Depth=1
	s_or_b64 exec, exec, s[78:79]
	s_and_saveexec_b64 s[78:79], s[6:7]
	s_cbranch_execnz .LBB114_83
.LBB114_51:                             ;   in Loop: Header=BB114_45 Depth=1
	s_or_b64 exec, exec, s[78:79]
	s_and_saveexec_b64 s[78:79], s[8:9]
	s_cbranch_execnz .LBB114_84
.LBB114_52:                             ;   in Loop: Header=BB114_45 Depth=1
	s_or_b64 exec, exec, s[78:79]
	s_and_saveexec_b64 s[78:79], s[10:11]
	s_cbranch_execnz .LBB114_85
.LBB114_53:                             ;   in Loop: Header=BB114_45 Depth=1
	s_or_b64 exec, exec, s[78:79]
	s_and_saveexec_b64 s[78:79], s[12:13]
	s_cbranch_execnz .LBB114_86
.LBB114_54:                             ;   in Loop: Header=BB114_45 Depth=1
	s_or_b64 exec, exec, s[78:79]
	s_and_saveexec_b64 s[78:79], s[14:15]
	s_cbranch_execnz .LBB114_87
.LBB114_55:                             ;   in Loop: Header=BB114_45 Depth=1
	s_or_b64 exec, exec, s[78:79]
	s_and_saveexec_b64 s[78:79], s[16:17]
	s_cbranch_execnz .LBB114_88
.LBB114_56:                             ;   in Loop: Header=BB114_45 Depth=1
	s_or_b64 exec, exec, s[78:79]
	s_and_saveexec_b64 s[78:79], s[18:19]
	s_cbranch_execnz .LBB114_89
.LBB114_57:                             ;   in Loop: Header=BB114_45 Depth=1
	s_or_b64 exec, exec, s[78:79]
	s_and_saveexec_b64 s[78:79], s[20:21]
	s_cbranch_execnz .LBB114_90
.LBB114_58:                             ;   in Loop: Header=BB114_45 Depth=1
	s_or_b64 exec, exec, s[78:79]
	s_and_saveexec_b64 s[78:79], s[22:23]
	s_cbranch_execnz .LBB114_91
.LBB114_59:                             ;   in Loop: Header=BB114_45 Depth=1
	s_or_b64 exec, exec, s[78:79]
	s_and_saveexec_b64 s[78:79], s[24:25]
	s_cbranch_execnz .LBB114_92
.LBB114_60:                             ;   in Loop: Header=BB114_45 Depth=1
	s_or_b64 exec, exec, s[78:79]
	s_and_saveexec_b64 s[78:79], s[26:27]
	s_cbranch_execnz .LBB114_93
.LBB114_61:                             ;   in Loop: Header=BB114_45 Depth=1
	s_or_b64 exec, exec, s[78:79]
	s_and_saveexec_b64 s[78:79], s[28:29]
	s_cbranch_execnz .LBB114_94
.LBB114_62:                             ;   in Loop: Header=BB114_45 Depth=1
	s_or_b64 exec, exec, s[78:79]
	s_and_saveexec_b64 s[78:79], s[30:31]
	s_cbranch_execnz .LBB114_95
.LBB114_63:                             ;   in Loop: Header=BB114_45 Depth=1
	s_or_b64 exec, exec, s[78:79]
	s_and_saveexec_b64 s[78:79], s[34:35]
	s_cbranch_execnz .LBB114_96
.LBB114_64:                             ;   in Loop: Header=BB114_45 Depth=1
	s_or_b64 exec, exec, s[78:79]
	s_and_saveexec_b64 s[78:79], s[36:37]
	s_cbranch_execnz .LBB114_97
.LBB114_65:                             ;   in Loop: Header=BB114_45 Depth=1
	s_or_b64 exec, exec, s[78:79]
	s_and_saveexec_b64 s[78:79], s[38:39]
	s_cbranch_execnz .LBB114_98
.LBB114_66:                             ;   in Loop: Header=BB114_45 Depth=1
	s_or_b64 exec, exec, s[78:79]
	s_and_saveexec_b64 s[78:79], s[40:41]
	s_cbranch_execnz .LBB114_99
.LBB114_67:                             ;   in Loop: Header=BB114_45 Depth=1
	s_or_b64 exec, exec, s[78:79]
	s_and_saveexec_b64 s[78:79], s[42:43]
	s_cbranch_execnz .LBB114_100
.LBB114_68:                             ;   in Loop: Header=BB114_45 Depth=1
	s_or_b64 exec, exec, s[78:79]
	s_and_saveexec_b64 s[78:79], s[44:45]
	s_cbranch_execnz .LBB114_101
.LBB114_69:                             ;   in Loop: Header=BB114_45 Depth=1
	s_or_b64 exec, exec, s[78:79]
	s_and_saveexec_b64 s[78:79], s[46:47]
	s_cbranch_execnz .LBB114_102
.LBB114_70:                             ;   in Loop: Header=BB114_45 Depth=1
	s_or_b64 exec, exec, s[78:79]
	s_and_saveexec_b64 s[78:79], s[48:49]
	s_cbranch_execnz .LBB114_103
.LBB114_71:                             ;   in Loop: Header=BB114_45 Depth=1
	s_or_b64 exec, exec, s[78:79]
	s_and_saveexec_b64 s[78:79], s[50:51]
	s_cbranch_execnz .LBB114_104
.LBB114_72:                             ;   in Loop: Header=BB114_45 Depth=1
	s_or_b64 exec, exec, s[78:79]
	s_and_saveexec_b64 s[78:79], s[52:53]
	s_cbranch_execnz .LBB114_105
.LBB114_73:                             ;   in Loop: Header=BB114_45 Depth=1
	s_or_b64 exec, exec, s[78:79]
	s_and_saveexec_b64 s[78:79], s[54:55]
	s_cbranch_execnz .LBB114_106
.LBB114_74:                             ;   in Loop: Header=BB114_45 Depth=1
	s_or_b64 exec, exec, s[78:79]
	s_and_saveexec_b64 s[78:79], s[56:57]
	s_cbranch_execnz .LBB114_107
.LBB114_75:                             ;   in Loop: Header=BB114_45 Depth=1
	s_or_b64 exec, exec, s[78:79]
	s_and_saveexec_b64 s[78:79], s[58:59]
	s_cbranch_execnz .LBB114_108
.LBB114_76:                             ;   in Loop: Header=BB114_45 Depth=1
	s_or_b64 exec, exec, s[78:79]
	v_ashrrev_i32_e32 v13, 31, v12
	s_and_saveexec_b64 s[78:79], s[64:65]
	s_cbranch_execnz .LBB114_109
.LBB114_77:                             ;   in Loop: Header=BB114_45 Depth=1
	s_or_b64 exec, exec, s[78:79]
	s_and_saveexec_b64 s[64:65], vcc
	s_cbranch_execz .LBB114_44
	s_branch .LBB114_110
.LBB114_78:                             ;   in Loop: Header=BB114_45 Depth=1
	v_readlane_b32 s82, v40, 10
	s_nop 1
	v_mov_b32_e32 v2, s82
	ds_read_b32 v2, v2
	s_waitcnt lgkmcnt(0)
	v_add_u32_e32 v12, v2, v12
	s_or_b64 exec, exec, s[78:79]
	s_and_saveexec_b64 s[78:79], s[62:63]
	s_cbranch_execz .LBB114_47
.LBB114_79:                             ;   in Loop: Header=BB114_45 Depth=1
	v_readlane_b32 s82, v40, 11
	s_nop 1
	v_mov_b32_e32 v2, s82
	ds_read_b32 v2, v2
	s_waitcnt lgkmcnt(0)
	v_add_u32_e32 v12, v12, v2
	s_or_b64 exec, exec, s[78:79]
	s_and_saveexec_b64 s[78:79], s[0:1]
	s_cbranch_execz .LBB114_48
.LBB114_80:                             ;   in Loop: Header=BB114_45 Depth=1
	v_readlane_b32 s82, v40, 12
	s_nop 1
	v_mov_b32_e32 v2, s82
	ds_read_b32 v2, v2
	s_waitcnt lgkmcnt(0)
	v_add_u32_e32 v12, v12, v2
	s_or_b64 exec, exec, s[78:79]
	s_and_saveexec_b64 s[78:79], s[2:3]
	s_cbranch_execz .LBB114_49
.LBB114_81:                             ;   in Loop: Header=BB114_45 Depth=1
	v_readlane_b32 s82, v40, 13
	s_nop 1
	v_mov_b32_e32 v2, s82
	ds_read_b32 v2, v2
	s_waitcnt lgkmcnt(0)
	v_add_u32_e32 v12, v12, v2
	s_or_b64 exec, exec, s[78:79]
	s_and_saveexec_b64 s[78:79], s[4:5]
	s_cbranch_execz .LBB114_50
.LBB114_82:                             ;   in Loop: Header=BB114_45 Depth=1
	v_mov_b32_e32 v2, s81
	ds_read_b32 v2, v2
	s_waitcnt lgkmcnt(0)
	v_add_u32_e32 v12, v12, v2
	s_or_b64 exec, exec, s[78:79]
	s_and_saveexec_b64 s[78:79], s[6:7]
	s_cbranch_execz .LBB114_51
.LBB114_83:                             ;   in Loop: Header=BB114_45 Depth=1
	v_readlane_b32 s82, v40, 14
	s_nop 1
	v_mov_b32_e32 v2, s82
	ds_read_b32 v2, v2
	s_waitcnt lgkmcnt(0)
	v_add_u32_e32 v12, v12, v2
	s_or_b64 exec, exec, s[78:79]
	s_and_saveexec_b64 s[78:79], s[8:9]
	s_cbranch_execz .LBB114_52
.LBB114_84:                             ;   in Loop: Header=BB114_45 Depth=1
	v_mov_b32_e32 v2, s84
	ds_read_b32 v2, v2
	s_waitcnt lgkmcnt(0)
	v_add_u32_e32 v12, v12, v2
	s_or_b64 exec, exec, s[78:79]
	s_and_saveexec_b64 s[78:79], s[10:11]
	s_cbranch_execz .LBB114_53
.LBB114_85:                             ;   in Loop: Header=BB114_45 Depth=1
	v_mov_b32_e32 v2, s85
	ds_read_b32 v2, v2
	s_waitcnt lgkmcnt(0)
	v_add_u32_e32 v12, v12, v2
	s_or_b64 exec, exec, s[78:79]
	s_and_saveexec_b64 s[78:79], s[12:13]
	s_cbranch_execz .LBB114_54
.LBB114_86:                             ;   in Loop: Header=BB114_45 Depth=1
	v_mov_b32_e32 v2, s86
	ds_read_b32 v2, v2
	s_waitcnt lgkmcnt(0)
	v_add_u32_e32 v12, v12, v2
	s_or_b64 exec, exec, s[78:79]
	s_and_saveexec_b64 s[78:79], s[14:15]
	s_cbranch_execz .LBB114_55
.LBB114_87:                             ;   in Loop: Header=BB114_45 Depth=1
	v_mov_b32_e32 v2, s87
	ds_read_b32 v2, v2
	s_waitcnt lgkmcnt(0)
	v_add_u32_e32 v12, v12, v2
	s_or_b64 exec, exec, s[78:79]
	s_and_saveexec_b64 s[78:79], s[16:17]
	s_cbranch_execz .LBB114_56
.LBB114_88:                             ;   in Loop: Header=BB114_45 Depth=1
	v_mov_b32_e32 v2, s88
	ds_read_b32 v2, v2
	s_waitcnt lgkmcnt(0)
	v_add_u32_e32 v12, v12, v2
	s_or_b64 exec, exec, s[78:79]
	s_and_saveexec_b64 s[78:79], s[18:19]
	s_cbranch_execz .LBB114_57
.LBB114_89:                             ;   in Loop: Header=BB114_45 Depth=1
	v_mov_b32_e32 v2, s89
	ds_read_b32 v2, v2
	s_waitcnt lgkmcnt(0)
	v_add_u32_e32 v12, v12, v2
	s_or_b64 exec, exec, s[78:79]
	s_and_saveexec_b64 s[78:79], s[20:21]
	s_cbranch_execz .LBB114_58
.LBB114_90:                             ;   in Loop: Header=BB114_45 Depth=1
	v_mov_b32_e32 v2, s90
	ds_read_b32 v2, v2
	s_waitcnt lgkmcnt(0)
	v_add_u32_e32 v12, v12, v2
	s_or_b64 exec, exec, s[78:79]
	s_and_saveexec_b64 s[78:79], s[22:23]
	s_cbranch_execz .LBB114_59
.LBB114_91:                             ;   in Loop: Header=BB114_45 Depth=1
	v_mov_b32_e32 v2, s91
	ds_read_b32 v2, v2
	s_waitcnt lgkmcnt(0)
	v_add_u32_e32 v12, v12, v2
	s_or_b64 exec, exec, s[78:79]
	s_and_saveexec_b64 s[78:79], s[24:25]
	s_cbranch_execz .LBB114_60
.LBB114_92:                             ;   in Loop: Header=BB114_45 Depth=1
	v_mov_b32_e32 v2, s92
	ds_read_b32 v2, v2
	s_waitcnt lgkmcnt(0)
	v_add_u32_e32 v12, v12, v2
	s_or_b64 exec, exec, s[78:79]
	s_and_saveexec_b64 s[78:79], s[26:27]
	s_cbranch_execz .LBB114_61
.LBB114_93:                             ;   in Loop: Header=BB114_45 Depth=1
	v_mov_b32_e32 v2, s93
	ds_read_b32 v2, v2
	s_waitcnt lgkmcnt(0)
	v_add_u32_e32 v12, v12, v2
	s_or_b64 exec, exec, s[78:79]
	s_and_saveexec_b64 s[78:79], s[28:29]
	s_cbranch_execz .LBB114_62
.LBB114_94:                             ;   in Loop: Header=BB114_45 Depth=1
	v_mov_b32_e32 v2, s94
	ds_read_b32 v2, v2
	s_waitcnt lgkmcnt(0)
	v_add_u32_e32 v12, v12, v2
	s_or_b64 exec, exec, s[78:79]
	s_and_saveexec_b64 s[78:79], s[30:31]
	s_cbranch_execz .LBB114_63
.LBB114_95:                             ;   in Loop: Header=BB114_45 Depth=1
	v_mov_b32_e32 v2, s95
	ds_read_b32 v2, v2
	s_waitcnt lgkmcnt(0)
	v_add_u32_e32 v12, v12, v2
	s_or_b64 exec, exec, s[78:79]
	s_and_saveexec_b64 s[78:79], s[34:35]
	s_cbranch_execz .LBB114_64
.LBB114_96:                             ;   in Loop: Header=BB114_45 Depth=1
	v_mov_b32_e32 v2, s96
	ds_read_b32 v2, v2
	s_waitcnt lgkmcnt(0)
	v_add_u32_e32 v12, v12, v2
	s_or_b64 exec, exec, s[78:79]
	s_and_saveexec_b64 s[78:79], s[36:37]
	s_cbranch_execz .LBB114_65
.LBB114_97:                             ;   in Loop: Header=BB114_45 Depth=1
	v_mov_b32_e32 v2, s97
	ds_read_b32 v2, v2
	s_waitcnt lgkmcnt(0)
	v_add_u32_e32 v12, v12, v2
	s_or_b64 exec, exec, s[78:79]
	s_and_saveexec_b64 s[78:79], s[38:39]
	s_cbranch_execz .LBB114_66
.LBB114_98:                             ;   in Loop: Header=BB114_45 Depth=1
	v_mov_b32_e32 v2, s98
	ds_read_b32 v2, v2
	s_waitcnt lgkmcnt(0)
	v_add_u32_e32 v12, v12, v2
	s_or_b64 exec, exec, s[78:79]
	s_and_saveexec_b64 s[78:79], s[40:41]
	s_cbranch_execz .LBB114_67
.LBB114_99:                             ;   in Loop: Header=BB114_45 Depth=1
	v_mov_b32_e32 v2, s99
	ds_read_b32 v2, v2
	s_waitcnt lgkmcnt(0)
	v_add_u32_e32 v12, v12, v2
	s_or_b64 exec, exec, s[78:79]
	s_and_saveexec_b64 s[78:79], s[42:43]
	s_cbranch_execz .LBB114_68
.LBB114_100:                            ;   in Loop: Header=BB114_45 Depth=1
	v_mov_b32_e32 v2, s70
	ds_read_b32 v2, v2
	s_waitcnt lgkmcnt(0)
	v_add_u32_e32 v12, v12, v2
	s_or_b64 exec, exec, s[78:79]
	s_and_saveexec_b64 s[78:79], s[44:45]
	s_cbranch_execz .LBB114_69
.LBB114_101:                            ;   in Loop: Header=BB114_45 Depth=1
	v_mov_b32_e32 v2, s71
	ds_read_b32 v2, v2
	s_waitcnt lgkmcnt(0)
	v_add_u32_e32 v12, v12, v2
	s_or_b64 exec, exec, s[78:79]
	s_and_saveexec_b64 s[78:79], s[46:47]
	s_cbranch_execz .LBB114_70
.LBB114_102:                            ;   in Loop: Header=BB114_45 Depth=1
	v_mov_b32_e32 v2, s74
	ds_read_b32 v2, v2
	s_waitcnt lgkmcnt(0)
	v_add_u32_e32 v12, v12, v2
	s_or_b64 exec, exec, s[78:79]
	s_and_saveexec_b64 s[78:79], s[48:49]
	s_cbranch_execz .LBB114_71
.LBB114_103:                            ;   in Loop: Header=BB114_45 Depth=1
	v_mov_b32_e32 v2, s75
	ds_read_b32 v2, v2
	s_waitcnt lgkmcnt(0)
	v_add_u32_e32 v12, v12, v2
	s_or_b64 exec, exec, s[78:79]
	s_and_saveexec_b64 s[78:79], s[50:51]
	s_cbranch_execz .LBB114_72
.LBB114_104:                            ;   in Loop: Header=BB114_45 Depth=1
	v_mov_b32_e32 v2, s66
	ds_read_b32 v2, v2
	s_waitcnt lgkmcnt(0)
	v_add_u32_e32 v12, v12, v2
	s_or_b64 exec, exec, s[78:79]
	s_and_saveexec_b64 s[78:79], s[52:53]
	s_cbranch_execz .LBB114_73
.LBB114_105:                            ;   in Loop: Header=BB114_45 Depth=1
	v_mov_b32_e32 v2, s68
	ds_read_b32 v2, v2
	s_waitcnt lgkmcnt(0)
	v_add_u32_e32 v12, v12, v2
	s_or_b64 exec, exec, s[78:79]
	s_and_saveexec_b64 s[78:79], s[54:55]
	s_cbranch_execz .LBB114_74
.LBB114_106:                            ;   in Loop: Header=BB114_45 Depth=1
	v_mov_b32_e32 v2, s69
	ds_read_b32 v2, v2
	s_waitcnt lgkmcnt(0)
	v_add_u32_e32 v12, v12, v2
	s_or_b64 exec, exec, s[78:79]
	s_and_saveexec_b64 s[78:79], s[56:57]
	s_cbranch_execz .LBB114_75
.LBB114_107:                            ;   in Loop: Header=BB114_45 Depth=1
	v_mov_b32_e32 v2, s33
	ds_read_b32 v2, v2
	s_waitcnt lgkmcnt(0)
	v_add_u32_e32 v12, v12, v2
	s_or_b64 exec, exec, s[78:79]
	s_and_saveexec_b64 s[78:79], s[58:59]
	s_cbranch_execz .LBB114_76
.LBB114_108:                            ;   in Loop: Header=BB114_45 Depth=1
	v_mov_b32_e32 v2, s67
	ds_read_b32 v2, v2
	s_waitcnt lgkmcnt(0)
	v_add_u32_e32 v12, v12, v2
	s_or_b64 exec, exec, s[78:79]
	v_ashrrev_i32_e32 v13, 31, v12
	s_and_saveexec_b64 s[78:79], s[64:65]
	s_cbranch_execz .LBB114_77
.LBB114_109:                            ;   in Loop: Header=BB114_45 Depth=1
	v_add3_u32 v2, v6, -1, v12
	v_lshl_add_u32 v2, v2, 3, 0
	v_add_u32_e32 v15, 0x20000, v2
	ds_write_b64 v2, v[8:9]
	ds_write_b64 v15, v[10:11]
	s_or_b64 exec, exec, s[78:79]
	s_and_saveexec_b64 s[64:65], vcc
	s_cbranch_execz .LBB114_44
.LBB114_110:                            ;   in Loop: Header=BB114_45 Depth=1
	v_mov_b32_e32 v2, s80
	ds_write_b64 v2, v[12:13]
	s_branch .LBB114_44
.LBB114_111:
	s_or_b64 exec, exec, s[76:77]
	v_readlane_b32 s0, v40, 4
	v_readlane_b32 s1, v40, 5
	s_lshl_b64 s[0:1], s[0:1], 3
	v_readlane_b32 s2, v40, 2
	v_readlane_b32 s3, v40, 3
	s_add_u32 s4, s2, s0
	s_addc_u32 s5, s3, s1
	s_load_dwordx4 s[0:3], s[4:5], 0x0
	v_mov_b32_e32 v1, 0
	s_waitcnt lgkmcnt(0)
	s_sub_u32 s4, s2, s0
	s_subb_u32 s5, s3, s1
	v_cmp_gt_i64_e32 vcc, s[4:5], v[0:1]
	s_and_saveexec_b64 s[6:7], vcc
	s_cbranch_execz .LBB114_121
; %bb.112:
	v_readlane_b32 s8, v40, 6
	v_readlane_b32 s10, v40, 8
	v_readlane_b32 s9, v40, 7
	s_sub_u32 s8, s0, s10
	s_subb_u32 s9, s1, 0
	s_and_b32 s6, s4, 7
	s_sub_u32 s0, s0, s2
	s_mov_b32 s7, 0
	s_subb_u32 s1, s1, s3
	s_and_b32 s10, s4, -8
	s_cmp_lg_u64 s[6:7], 0
	v_cmp_lt_u64_e64 s[0:1], s[0:1], -7
	s_cselect_b64 s[2:3], -1, 0
	v_readlane_b32 s11, v40, 9
	v_cndmask_b32_e64 v2, 0, 1, s[0:1]
	v_cmp_ne_u32_e64 s[0:1], 1, v2
	v_cndmask_b32_e64 v2, 0, 1, s[2:3]
	s_mov_b32 s11, s5
	s_mov_b64 s[12:13], 0
	v_cmp_ne_u32_e64 s[2:3], 1, v2
	s_mov_b64 s[14:15], 0x400
	s_branch .LBB114_114
.LBB114_113:                            ;   in Loop: Header=BB114_114 Depth=1
	v_readlane_b32 s16, v40, 0
	v_lshl_add_u64 v[0:1], v[0:1], 0, s[14:15]
	v_readlane_b32 s17, v40, 1
	v_cmp_le_i64_e32 vcc, s[4:5], v[0:1]
	s_or_b64 s[12:13], vcc, s[12:13]
	s_waitcnt lgkmcnt(1)
	v_lshl_add_u64 v[4:5], v[6:7], 3, s[16:17]
	s_waitcnt lgkmcnt(0)
	global_store_dwordx2 v[4:5], v[2:3], off
	s_andn2_b64 exec, exec, s[12:13]
	s_cbranch_execz .LBB114_121
.LBB114_114:                            ; =>This Loop Header: Depth=1
                                        ;     Child Loop BB114_116 Depth 2
                                        ;     Child Loop BB114_120 Depth 2
	v_lshl_add_u32 v2, v0, 3, 0
	v_add_u32_e32 v3, 0x20000, v2
	ds_read_b64 v[4:5], v2
	ds_read_b64 v[2:3], v3
	s_and_b64 vcc, exec, s[0:1]
	v_mov_b64_e32 v[6:7], s[8:9]
	s_mov_b64 s[16:17], 0
	s_cbranch_vccnz .LBB114_118
; %bb.115:                              ;   in Loop: Header=BB114_114 Depth=1
	s_mov_b32 s18, 0
	v_mov_b64_e32 v[6:7], s[8:9]
.LBB114_116:                            ;   Parent Loop BB114_114 Depth=1
                                        ; =>  This Inner Loop Header: Depth=2
	v_mov_b32_e32 v20, s18
	ds_read2_b64 v[8:11], v20 offset1:1
	ds_read2_b64 v[12:15], v20 offset0:2 offset1:3
	ds_read2_b64 v[16:19], v20 offset0:4 offset1:5
	;; [unrolled: 1-line block ×3, first 2 shown]
	v_mov_b32_e32 v25, s7
	s_waitcnt lgkmcnt(3)
	v_cmp_gt_i64_e32 vcc, v[4:5], v[8:9]
	v_mov_b32_e32 v27, s7
	v_mov_b32_e32 v29, s7
	v_cndmask_b32_e64 v24, 0, 1, vcc
	v_cmp_gt_i64_e32 vcc, v[4:5], v[10:11]
	v_lshl_add_u64 v[6:7], v[6:7], 0, v[24:25]
	v_mov_b32_e32 v31, s7
	v_cndmask_b32_e64 v26, 0, 1, vcc
	s_waitcnt lgkmcnt(2)
	v_cmp_gt_i64_e32 vcc, v[4:5], v[12:13]
	v_lshl_add_u64 v[6:7], v[6:7], 0, v[26:27]
	v_mov_b32_e32 v33, s7
	v_cndmask_b32_e64 v28, 0, 1, vcc
	v_cmp_gt_i64_e32 vcc, v[4:5], v[14:15]
	v_lshl_add_u64 v[6:7], v[6:7], 0, v[28:29]
	v_mov_b32_e32 v35, s7
	v_cndmask_b32_e64 v30, 0, 1, vcc
	s_waitcnt lgkmcnt(1)
	v_cmp_gt_i64_e32 vcc, v[4:5], v[16:17]
	v_lshl_add_u64 v[6:7], v[6:7], 0, v[30:31]
	v_mov_b32_e32 v37, s7
	v_cndmask_b32_e64 v32, 0, 1, vcc
	v_cmp_gt_i64_e32 vcc, v[4:5], v[18:19]
	v_lshl_add_u64 v[6:7], v[6:7], 0, v[32:33]
	s_add_u32 s16, s16, 8
	v_cndmask_b32_e64 v34, 0, 1, vcc
	s_waitcnt lgkmcnt(0)
	v_cmp_gt_i64_e32 vcc, v[4:5], v[20:21]
	v_lshl_add_u64 v[6:7], v[6:7], 0, v[34:35]
	v_mov_b32_e32 v39, s7
	v_cndmask_b32_e64 v36, 0, 1, vcc
	v_cmp_gt_i64_e32 vcc, v[4:5], v[22:23]
	s_addc_u32 s17, s17, 0
	s_add_i32 s18, s18, 64
	v_cndmask_b32_e64 v38, 0, 1, vcc
	v_lshl_add_u64 v[6:7], v[6:7], 0, v[36:37]
	s_cmp_eq_u64 s[10:11], s[16:17]
	v_lshl_add_u64 v[6:7], v[6:7], 0, v[38:39]
	s_cbranch_scc0 .LBB114_116
; %bb.117:                              ;   in Loop: Header=BB114_114 Depth=1
	s_mov_b64 s[16:17], s[10:11]
.LBB114_118:                            ;   in Loop: Header=BB114_114 Depth=1
	s_and_b64 vcc, exec, s[2:3]
	s_cbranch_vccnz .LBB114_113
; %bb.119:                              ;   in Loop: Header=BB114_114 Depth=1
	s_lshl_b32 s16, s16, 3
	s_add_i32 s18, s16, 0
	s_mov_b64 s[16:17], s[6:7]
.LBB114_120:                            ;   Parent Loop BB114_114 Depth=1
                                        ; =>  This Inner Loop Header: Depth=2
	v_mov_b32_e32 v8, s18
	ds_read_b64 v[10:11], v8
	s_add_i32 s18, s18, 8
	s_add_u32 s16, s16, -1
	v_mov_b32_e32 v9, s7
	s_addc_u32 s17, s17, -1
	s_waitcnt lgkmcnt(0)
	v_cmp_gt_i64_e32 vcc, v[4:5], v[10:11]
	s_cmp_lg_u64 s[16:17], 0
	s_nop 0
	v_cndmask_b32_e64 v8, 0, 1, vcc
	v_lshl_add_u64 v[6:7], v[6:7], 0, v[8:9]
	s_cbranch_scc1 .LBB114_120
	s_branch .LBB114_113
.LBB114_121:
	s_endpgm
	.section	.rodata,"a",@progbits
	.p2align	6, 0x0
	.amdhsa_kernel _ZN9rocsparseL41csrgemm_numeric_fill_block_per_row_kernelILj1024ELj64ELj16384ELj137ELj32ElldEEvT5_PKS1_S3_NS_24const_host_device_scalarIT6_EEPKT4_S3_PKS5_S9_S3_SB_S6_S9_S3_SB_S9_S3_PS5_21rocsparse_index_base_SD_SD_SD_bbb
		.amdhsa_group_segment_fixed_size 0
		.amdhsa_private_segment_fixed_size 0
		.amdhsa_kernarg_size 156
		.amdhsa_user_sgpr_count 2
		.amdhsa_user_sgpr_dispatch_ptr 0
		.amdhsa_user_sgpr_queue_ptr 0
		.amdhsa_user_sgpr_kernarg_segment_ptr 1
		.amdhsa_user_sgpr_dispatch_id 0
		.amdhsa_user_sgpr_kernarg_preload_length 0
		.amdhsa_user_sgpr_kernarg_preload_offset 0
		.amdhsa_user_sgpr_private_segment_size 0
		.amdhsa_uses_dynamic_stack 0
		.amdhsa_enable_private_segment 0
		.amdhsa_system_sgpr_workgroup_id_x 1
		.amdhsa_system_sgpr_workgroup_id_y 0
		.amdhsa_system_sgpr_workgroup_id_z 0
		.amdhsa_system_sgpr_workgroup_info 0
		.amdhsa_system_vgpr_workitem_id 0
		.amdhsa_next_free_vgpr 41
		.amdhsa_next_free_sgpr 100
		.amdhsa_accum_offset 44
		.amdhsa_reserve_vcc 1
		.amdhsa_float_round_mode_32 0
		.amdhsa_float_round_mode_16_64 0
		.amdhsa_float_denorm_mode_32 3
		.amdhsa_float_denorm_mode_16_64 3
		.amdhsa_dx10_clamp 1
		.amdhsa_ieee_mode 1
		.amdhsa_fp16_overflow 0
		.amdhsa_tg_split 0
		.amdhsa_exception_fp_ieee_invalid_op 0
		.amdhsa_exception_fp_denorm_src 0
		.amdhsa_exception_fp_ieee_div_zero 0
		.amdhsa_exception_fp_ieee_overflow 0
		.amdhsa_exception_fp_ieee_underflow 0
		.amdhsa_exception_fp_ieee_inexact 0
		.amdhsa_exception_int_div_zero 0
	.end_amdhsa_kernel
	.section	.text._ZN9rocsparseL41csrgemm_numeric_fill_block_per_row_kernelILj1024ELj64ELj16384ELj137ELj32ElldEEvT5_PKS1_S3_NS_24const_host_device_scalarIT6_EEPKT4_S3_PKS5_S9_S3_SB_S6_S9_S3_SB_S9_S3_PS5_21rocsparse_index_base_SD_SD_SD_bbb,"axG",@progbits,_ZN9rocsparseL41csrgemm_numeric_fill_block_per_row_kernelILj1024ELj64ELj16384ELj137ELj32ElldEEvT5_PKS1_S3_NS_24const_host_device_scalarIT6_EEPKT4_S3_PKS5_S9_S3_SB_S6_S9_S3_SB_S9_S3_PS5_21rocsparse_index_base_SD_SD_SD_bbb,comdat
.Lfunc_end114:
	.size	_ZN9rocsparseL41csrgemm_numeric_fill_block_per_row_kernelILj1024ELj64ELj16384ELj137ELj32ElldEEvT5_PKS1_S3_NS_24const_host_device_scalarIT6_EEPKT4_S3_PKS5_S9_S3_SB_S6_S9_S3_SB_S9_S3_PS5_21rocsparse_index_base_SD_SD_SD_bbb, .Lfunc_end114-_ZN9rocsparseL41csrgemm_numeric_fill_block_per_row_kernelILj1024ELj64ELj16384ELj137ELj32ElldEEvT5_PKS1_S3_NS_24const_host_device_scalarIT6_EEPKT4_S3_PKS5_S9_S3_SB_S6_S9_S3_SB_S9_S3_PS5_21rocsparse_index_base_SD_SD_SD_bbb
                                        ; -- End function
	.set _ZN9rocsparseL41csrgemm_numeric_fill_block_per_row_kernelILj1024ELj64ELj16384ELj137ELj32ElldEEvT5_PKS1_S3_NS_24const_host_device_scalarIT6_EEPKT4_S3_PKS5_S9_S3_SB_S6_S9_S3_SB_S9_S3_PS5_21rocsparse_index_base_SD_SD_SD_bbb.num_vgpr, 41
	.set _ZN9rocsparseL41csrgemm_numeric_fill_block_per_row_kernelILj1024ELj64ELj16384ELj137ELj32ElldEEvT5_PKS1_S3_NS_24const_host_device_scalarIT6_EEPKT4_S3_PKS5_S9_S3_SB_S6_S9_S3_SB_S9_S3_PS5_21rocsparse_index_base_SD_SD_SD_bbb.num_agpr, 0
	.set _ZN9rocsparseL41csrgemm_numeric_fill_block_per_row_kernelILj1024ELj64ELj16384ELj137ELj32ElldEEvT5_PKS1_S3_NS_24const_host_device_scalarIT6_EEPKT4_S3_PKS5_S9_S3_SB_S6_S9_S3_SB_S9_S3_PS5_21rocsparse_index_base_SD_SD_SD_bbb.numbered_sgpr, 100
	.set _ZN9rocsparseL41csrgemm_numeric_fill_block_per_row_kernelILj1024ELj64ELj16384ELj137ELj32ElldEEvT5_PKS1_S3_NS_24const_host_device_scalarIT6_EEPKT4_S3_PKS5_S9_S3_SB_S6_S9_S3_SB_S9_S3_PS5_21rocsparse_index_base_SD_SD_SD_bbb.num_named_barrier, 0
	.set _ZN9rocsparseL41csrgemm_numeric_fill_block_per_row_kernelILj1024ELj64ELj16384ELj137ELj32ElldEEvT5_PKS1_S3_NS_24const_host_device_scalarIT6_EEPKT4_S3_PKS5_S9_S3_SB_S6_S9_S3_SB_S9_S3_PS5_21rocsparse_index_base_SD_SD_SD_bbb.private_seg_size, 0
	.set _ZN9rocsparseL41csrgemm_numeric_fill_block_per_row_kernelILj1024ELj64ELj16384ELj137ELj32ElldEEvT5_PKS1_S3_NS_24const_host_device_scalarIT6_EEPKT4_S3_PKS5_S9_S3_SB_S6_S9_S3_SB_S9_S3_PS5_21rocsparse_index_base_SD_SD_SD_bbb.uses_vcc, 1
	.set _ZN9rocsparseL41csrgemm_numeric_fill_block_per_row_kernelILj1024ELj64ELj16384ELj137ELj32ElldEEvT5_PKS1_S3_NS_24const_host_device_scalarIT6_EEPKT4_S3_PKS5_S9_S3_SB_S6_S9_S3_SB_S9_S3_PS5_21rocsparse_index_base_SD_SD_SD_bbb.uses_flat_scratch, 0
	.set _ZN9rocsparseL41csrgemm_numeric_fill_block_per_row_kernelILj1024ELj64ELj16384ELj137ELj32ElldEEvT5_PKS1_S3_NS_24const_host_device_scalarIT6_EEPKT4_S3_PKS5_S9_S3_SB_S6_S9_S3_SB_S9_S3_PS5_21rocsparse_index_base_SD_SD_SD_bbb.has_dyn_sized_stack, 0
	.set _ZN9rocsparseL41csrgemm_numeric_fill_block_per_row_kernelILj1024ELj64ELj16384ELj137ELj32ElldEEvT5_PKS1_S3_NS_24const_host_device_scalarIT6_EEPKT4_S3_PKS5_S9_S3_SB_S6_S9_S3_SB_S9_S3_PS5_21rocsparse_index_base_SD_SD_SD_bbb.has_recursion, 0
	.set _ZN9rocsparseL41csrgemm_numeric_fill_block_per_row_kernelILj1024ELj64ELj16384ELj137ELj32ElldEEvT5_PKS1_S3_NS_24const_host_device_scalarIT6_EEPKT4_S3_PKS5_S9_S3_SB_S6_S9_S3_SB_S9_S3_PS5_21rocsparse_index_base_SD_SD_SD_bbb.has_indirect_call, 0
	.section	.AMDGPU.csdata,"",@progbits
; Kernel info:
; codeLenInByte = 4700
; TotalNumSgprs: 106
; NumVgprs: 41
; NumAgprs: 0
; TotalNumVgprs: 41
; ScratchSize: 0
; MemoryBound: 0
; FloatMode: 240
; IeeeMode: 1
; LDSByteSize: 0 bytes/workgroup (compile time only)
; SGPRBlocks: 13
; VGPRBlocks: 5
; NumSGPRsForWavesPerEU: 106
; NumVGPRsForWavesPerEU: 41
; AccumOffset: 44
; Occupancy: 7
; WaveLimiterHint : 1
; COMPUTE_PGM_RSRC2:SCRATCH_EN: 0
; COMPUTE_PGM_RSRC2:USER_SGPR: 2
; COMPUTE_PGM_RSRC2:TRAP_HANDLER: 0
; COMPUTE_PGM_RSRC2:TGID_X_EN: 1
; COMPUTE_PGM_RSRC2:TGID_Y_EN: 0
; COMPUTE_PGM_RSRC2:TGID_Z_EN: 0
; COMPUTE_PGM_RSRC2:TIDIG_COMP_CNT: 0
; COMPUTE_PGM_RSRC3_GFX90A:ACCUM_OFFSET: 10
; COMPUTE_PGM_RSRC3_GFX90A:TG_SPLIT: 0
	.section	.text._ZN9rocsparseL41csrgemm_numeric_fill_block_per_row_kernelILj1024ELj64ELj16384ELj137ELj64ElldEEvT5_PKS1_S3_NS_24const_host_device_scalarIT6_EEPKT4_S3_PKS5_S9_S3_SB_S6_S9_S3_SB_S9_S3_PS5_21rocsparse_index_base_SD_SD_SD_bbb,"axG",@progbits,_ZN9rocsparseL41csrgemm_numeric_fill_block_per_row_kernelILj1024ELj64ELj16384ELj137ELj64ElldEEvT5_PKS1_S3_NS_24const_host_device_scalarIT6_EEPKT4_S3_PKS5_S9_S3_SB_S6_S9_S3_SB_S9_S3_PS5_21rocsparse_index_base_SD_SD_SD_bbb,comdat
	.globl	_ZN9rocsparseL41csrgemm_numeric_fill_block_per_row_kernelILj1024ELj64ELj16384ELj137ELj64ElldEEvT5_PKS1_S3_NS_24const_host_device_scalarIT6_EEPKT4_S3_PKS5_S9_S3_SB_S6_S9_S3_SB_S9_S3_PS5_21rocsparse_index_base_SD_SD_SD_bbb ; -- Begin function _ZN9rocsparseL41csrgemm_numeric_fill_block_per_row_kernelILj1024ELj64ELj16384ELj137ELj64ElldEEvT5_PKS1_S3_NS_24const_host_device_scalarIT6_EEPKT4_S3_PKS5_S9_S3_SB_S6_S9_S3_SB_S9_S3_PS5_21rocsparse_index_base_SD_SD_SD_bbb
	.p2align	8
	.type	_ZN9rocsparseL41csrgemm_numeric_fill_block_per_row_kernelILj1024ELj64ELj16384ELj137ELj64ElldEEvT5_PKS1_S3_NS_24const_host_device_scalarIT6_EEPKT4_S3_PKS5_S9_S3_SB_S6_S9_S3_SB_S9_S3_PS5_21rocsparse_index_base_SD_SD_SD_bbb,@function
_ZN9rocsparseL41csrgemm_numeric_fill_block_per_row_kernelILj1024ELj64ELj16384ELj137ELj64ElldEEvT5_PKS1_S3_NS_24const_host_device_scalarIT6_EEPKT4_S3_PKS5_S9_S3_SB_S6_S9_S3_SB_S9_S3_PS5_21rocsparse_index_base_SD_SD_SD_bbb: ; @_ZN9rocsparseL41csrgemm_numeric_fill_block_per_row_kernelILj1024ELj64ELj16384ELj137ELj64ElldEEvT5_PKS1_S3_NS_24const_host_device_scalarIT6_EEPKT4_S3_PKS5_S9_S3_SB_S6_S9_S3_SB_S9_S3_PS5_21rocsparse_index_base_SD_SD_SD_bbb
; %bb.0:
	s_load_dword s3, s[0:1], 0x98
	s_load_dwordx4 s[36:39], s[0:1], 0x88
	s_load_dwordx2 s[4:5], s[0:1], 0x18
	s_load_dwordx2 s[12:13], s[0:1], 0x50
	s_waitcnt lgkmcnt(0)
	s_bitcmp1_b32 s3, 0
	s_cselect_b64 s[28:29], -1, 0
	s_bitcmp1_b32 s3, 16
	s_cselect_b64 s[14:15], -1, 0
	s_xor_b64 s[6:7], s[28:29], -1
	s_or_b64 s[6:7], s[14:15], s[6:7]
	s_and_b64 s[8:9], s[28:29], exec
	s_cselect_b32 s9, s5, 0
	s_cselect_b32 s8, s4, 0
	s_and_b64 vcc, exec, s[6:7]
	v_mov_b64_e32 v[4:5], s[8:9]
	s_cbranch_vccnz .LBB115_2
; %bb.1:
	v_mov_b64_e32 v[2:3], s[4:5]
	flat_load_dwordx2 v[4:5], v[2:3]
.LBB115_2:
	s_load_dwordx2 s[34:35], s[0:1], 0x80
	s_load_dwordx2 s[40:41], s[0:1], 0x70
	;; [unrolled: 1-line block ×3, first 2 shown]
	s_load_dwordx4 s[20:23], s[0:1], 0x8
	s_load_dwordx8 s[4:11], s[0:1], 0x20
	s_bitcmp1_b32 s3, 8
	s_cselect_b64 s[26:27], -1, 0
	s_xor_b64 s[16:17], s[26:27], -1
	s_or_b64 s[14:15], s[14:15], s[16:17]
	s_and_b64 s[16:17], s[26:27], exec
	s_cselect_b32 s17, s13, 0
	s_cselect_b32 s16, s12, 0
	s_and_b64 vcc, exec, s[14:15]
	v_mov_b64_e32 v[2:3], s[16:17]
	s_cbranch_vccnz .LBB115_4
; %bb.3:
	v_mov_b64_e32 v[2:3], s[12:13]
	flat_load_dwordx2 v[2:3], v[2:3]
.LBB115_4:
	s_load_dwordx4 s[12:15], s[0:1], 0x60
	s_load_dwordx4 s[16:19], s[0:1], 0x40
	s_load_dwordx2 s[42:43], s[0:1], 0x0
	v_or_b32_e32 v1, 0xfffffc00, v0
	v_mov_b32_e32 v6, 0
	v_lshl_add_u32 v26, v0, 3, 0
	s_mov_b64 s[0:1], 0
	s_waitcnt lgkmcnt(0)
	v_mov_b64_e32 v[10:11], s[42:43]
	v_mov_b32_e32 v7, v6
	s_movk_i32 s3, 0x3bff
	v_mov_b32_e32 v8, v26
	v_mov_b32_e32 v9, v1
.LBB115_5:                              ; =>This Inner Loop Header: Depth=1
	v_add_u32_e32 v9, 0x400, v9
	v_cmp_lt_u32_e32 vcc, s3, v9
	ds_write_b64 v8, v[10:11]
	v_add_u32_e32 v12, 0x20000, v8
	v_add_u32_e32 v8, 0x2000, v8
	s_or_b64 s[0:1], vcc, s[0:1]
	ds_write_b64 v12, v[6:7]
	s_andn2_b64 exec, exec, s[0:1]
	s_cbranch_execnz .LBB115_5
; %bb.6:
	s_or_b64 exec, exec, s[0:1]
	s_waitcnt lgkmcnt(0)
	s_barrier
	s_load_dwordx2 s[0:1], s[20:21], 0x0
	s_mov_b32 s3, 0
	v_lshrrev_b32_e32 v27, 6, v0
	s_waitcnt lgkmcnt(0)
	s_lshl_b64 s[0:1], s[0:1], 3
	s_add_u32 s20, s22, s0
	s_addc_u32 s21, s23, s1
	s_lshl_b64 s[0:1], s[2:3], 3
	s_add_u32 s0, s20, s0
	s_addc_u32 s1, s21, s1
	s_load_dwordx2 s[44:45], s[0:1], 0x0
	s_and_b64 vcc, exec, s[28:29]
	s_cbranch_vccz .LBB115_26
; %bb.7:
	s_waitcnt lgkmcnt(0)
	s_lshl_b64 s[0:1], s[44:45], 3
	s_add_u32 s0, s4, s0
	s_addc_u32 s1, s5, s1
	s_load_dwordx4 s[20:23], s[0:1], 0x0
	v_subrev_co_u32_e32 v6, vcc, s36, v27
	s_nop 1
	v_subb_co_u32_e64 v7, s[0:1], 0, 0, vcc
	s_waitcnt lgkmcnt(0)
	s_sub_u32 s0, s22, s36
	s_subb_u32 s1, s23, 0
	v_lshl_add_u64 v[6:7], s[20:21], 0, v[6:7]
	v_cmp_gt_i64_e32 vcc, s[0:1], v[6:7]
	s_and_saveexec_b64 s[2:3], vcc
	s_cbranch_execz .LBB115_25
; %bb.8:
	v_and_b32_e32 v8, 63, v0
	v_subrev_co_u32_e32 v8, vcc, s37, v8
	s_mov_b32 s33, s37
	s_nop 0
	v_subb_co_u32_e64 v9, s[4:5], 0, 0, vcc
	s_mov_b64 s[4:5], 0
	s_movk_i32 s37, 0x89
	s_branch .LBB115_10
.LBB115_9:                              ;   in Loop: Header=BB115_10 Depth=1
	s_or_b64 exec, exec, s[20:21]
	v_lshl_add_u64 v[6:7], v[6:7], 0, 16
	v_cmp_le_i64_e32 vcc, s[0:1], v[6:7]
	s_or_b64 s[4:5], vcc, s[4:5]
	s_andn2_b64 exec, exec, s[4:5]
	s_cbranch_execz .LBB115_25
.LBB115_10:                             ; =>This Loop Header: Depth=1
                                        ;     Child Loop BB115_14 Depth 2
                                        ;       Child Loop BB115_17 Depth 3
	v_lshl_add_u64 v[10:11], v[6:7], 3, s[6:7]
	global_load_dwordx2 v[10:11], v[10:11], off
	s_waitcnt vmcnt(0)
	v_subrev_co_u32_e32 v10, vcc, s36, v10
	s_nop 1
	v_subbrev_co_u32_e32 v11, vcc, 0, v11, vcc
	v_lshl_add_u64 v[10:11], v[10:11], 3, s[10:11]
	global_load_dwordx4 v[12:15], v[10:11], off
	s_waitcnt vmcnt(0)
	v_subrev_co_u32_e32 v10, vcc, s33, v14
	s_nop 1
	v_subbrev_co_u32_e32 v11, vcc, 0, v15, vcc
	v_lshl_add_u64 v[12:13], v[12:13], 0, v[8:9]
	v_cmp_lt_i64_e32 vcc, v[12:13], v[10:11]
	s_and_saveexec_b64 s[20:21], vcc
	s_cbranch_execz .LBB115_9
; %bb.11:                               ;   in Loop: Header=BB115_10 Depth=1
	v_lshl_add_u64 v[14:15], v[6:7], 3, s[8:9]
	global_load_dwordx2 v[14:15], v[14:15], off
	s_mov_b64 s[22:23], 0
	s_waitcnt vmcnt(0)
	v_mul_f64 v[14:15], v[4:5], v[14:15]
	s_branch .LBB115_14
.LBB115_12:                             ;   in Loop: Header=BB115_14 Depth=2
	s_or_b64 exec, exec, s[30:31]
.LBB115_13:                             ;   in Loop: Header=BB115_14 Depth=2
	s_or_b64 exec, exec, s[28:29]
	v_lshl_add_u32 v18, v20, 3, 0
	s_waitcnt vmcnt(0)
	v_mul_f64 v[16:17], v[14:15], v[16:17]
	v_add_u32_e32 v18, 0x20000, v18
	ds_add_f64 v18, v[16:17]
	v_lshl_add_u64 v[12:13], v[12:13], 0, 64
	v_cmp_ge_i64_e32 vcc, v[12:13], v[10:11]
	s_or_b64 s[22:23], vcc, s[22:23]
	s_andn2_b64 exec, exec, s[22:23]
	s_cbranch_execz .LBB115_9
.LBB115_14:                             ;   Parent Loop BB115_10 Depth=1
                                        ; =>  This Loop Header: Depth=2
                                        ;       Child Loop BB115_17 Depth 3
	v_lshlrev_b64 v[16:17], 3, v[12:13]
	v_lshl_add_u64 v[18:19], s[16:17], 0, v[16:17]
	global_load_dwordx2 v[18:19], v[18:19], off
	v_lshl_add_u64 v[16:17], s[18:19], 0, v[16:17]
	global_load_dwordx2 v[16:17], v[16:17], off
	s_waitcnt vmcnt(1)
	v_subrev_co_u32_e32 v18, vcc, s33, v18
	v_mul_lo_u32 v20, v18, s37
	v_and_b32_e32 v20, 0x3fff, v20
	v_lshl_add_u32 v28, v20, 3, 0
	ds_read_b64 v[24:25], v28
	v_subbrev_co_u32_e32 v19, vcc, 0, v19, vcc
	s_waitcnt lgkmcnt(0)
	v_cmp_ne_u64_e32 vcc, v[24:25], v[18:19]
	s_and_saveexec_b64 s[28:29], vcc
	s_cbranch_execz .LBB115_13
; %bb.15:                               ;   in Loop: Header=BB115_14 Depth=2
	s_mov_b64 s[30:31], 0
                                        ; implicit-def: $sgpr46_sgpr47
                                        ; implicit-def: $sgpr48_sgpr49
	s_branch .LBB115_17
.LBB115_16:                             ;   in Loop: Header=BB115_17 Depth=3
	s_or_b64 exec, exec, s[54:55]
	s_and_b64 s[50:51], exec, s[52:53]
	s_or_b64 s[30:31], s[50:51], s[30:31]
	s_andn2_b64 s[46:47], s[46:47], exec
	s_and_b64 s[50:51], s[48:49], exec
	s_or_b64 s[46:47], s[46:47], s[50:51]
	s_andn2_b64 exec, exec, s[30:31]
	s_cbranch_execz .LBB115_23
.LBB115_17:                             ;   Parent Loop BB115_10 Depth=1
                                        ;     Parent Loop BB115_14 Depth=2
                                        ; =>    This Inner Loop Header: Depth=3
	v_mov_b64_e32 v[22:23], v[20:21]
	v_cmp_ne_u64_e32 vcc, s[42:43], v[24:25]
	s_mov_b64 s[50:51], 0
                                        ; implicit-def: $vgpr20_vgpr21
	s_and_saveexec_b64 s[52:53], vcc
	s_xor_b64 s[52:53], exec, s[52:53]
; %bb.18:                               ;   in Loop: Header=BB115_17 Depth=3
	v_add_u32_e32 v20, 1, v22
	s_mov_b64 s[50:51], exec
	v_and_b32_e32 v20, 0x3fff, v20
                                        ; implicit-def: $vgpr28
; %bb.19:                               ;   in Loop: Header=BB115_17 Depth=3
	s_andn2_saveexec_b64 s[52:53], s[52:53]
	s_cbranch_execz .LBB115_21
; %bb.20:                               ;   in Loop: Header=BB115_17 Depth=3
	v_mov_b64_e32 v[20:21], s[42:43]
	ds_cmpst_rtn_b64 v[20:21], v28, v[20:21], v[18:19]
	s_andn2_b64 s[50:51], s[50:51], exec
	s_waitcnt lgkmcnt(0)
	v_cmp_ne_u64_e32 vcc, s[42:43], v[20:21]
	s_and_b64 s[54:55], vcc, exec
	s_or_b64 s[50:51], s[50:51], s[54:55]
	v_mov_b64_e32 v[20:21], v[22:23]
.LBB115_21:                             ;   in Loop: Header=BB115_17 Depth=3
	s_or_b64 exec, exec, s[52:53]
	s_mov_b64 s[52:53], -1
	s_or_b64 s[48:49], s[48:49], exec
                                        ; implicit-def: $vgpr28
                                        ; implicit-def: $vgpr24_vgpr25
	s_and_saveexec_b64 s[54:55], s[50:51]
	s_cbranch_execz .LBB115_16
; %bb.22:                               ;   in Loop: Header=BB115_17 Depth=3
	v_lshl_add_u32 v28, v20, 3, 0
	ds_read_b64 v[24:25], v28
	s_andn2_b64 s[48:49], s[48:49], exec
	s_waitcnt lgkmcnt(0)
	v_cmp_eq_u64_e32 vcc, v[24:25], v[18:19]
	s_orn2_b64 s[52:53], vcc, exec
	s_branch .LBB115_16
.LBB115_23:                             ;   in Loop: Header=BB115_14 Depth=2
	s_or_b64 exec, exec, s[30:31]
	s_and_saveexec_b64 s[30:31], s[46:47]
	s_xor_b64 s[30:31], exec, s[30:31]
	s_cbranch_execz .LBB115_12
; %bb.24:                               ;   in Loop: Header=BB115_14 Depth=2
	v_mov_b32_e32 v20, v22
	s_branch .LBB115_12
.LBB115_25:
	s_or_b64 exec, exec, s[2:3]
.LBB115_26:
	s_andn2_b64 vcc, exec, s[26:27]
	s_cbranch_vccnz .LBB115_43
; %bb.27:
	s_waitcnt lgkmcnt(0)
	s_lshl_b64 s[0:1], s[44:45], 3
	s_add_u32 s0, s24, s0
	s_addc_u32 s1, s25, s1
	s_load_dwordx4 s[4:7], s[0:1], 0x0
	s_waitcnt vmcnt(0)
	v_subrev_co_u32_e32 v4, vcc, s39, v0
	s_waitcnt lgkmcnt(0)
	s_sub_u32 s0, s6, s39
	v_subb_co_u32_e64 v5, s[2:3], 0, 0, vcc
	s_subb_u32 s1, s7, 0
	v_lshl_add_u64 v[4:5], s[4:5], 0, v[4:5]
	v_cmp_gt_i64_e32 vcc, s[0:1], v[4:5]
	s_and_saveexec_b64 s[2:3], vcc
	s_cbranch_execz .LBB115_42
; %bb.28:
	s_mov_b32 s26, s39
	s_mov_b64 s[4:5], 0
	s_movk_i32 s27, 0x89
	s_mov_b64 s[6:7], 0x400
	s_branch .LBB115_31
.LBB115_29:                             ;   in Loop: Header=BB115_31 Depth=1
	s_or_b64 exec, exec, s[10:11]
.LBB115_30:                             ;   in Loop: Header=BB115_31 Depth=1
	s_or_b64 exec, exec, s[8:9]
	v_lshl_add_u32 v8, v10, 3, 0
	s_waitcnt vmcnt(0)
	v_mul_f64 v[6:7], v[2:3], v[6:7]
	v_add_u32_e32 v8, 0x20000, v8
	ds_add_f64 v8, v[6:7]
	v_lshl_add_u64 v[4:5], v[4:5], 0, s[6:7]
	v_cmp_le_i64_e32 vcc, s[0:1], v[4:5]
	s_or_b64 s[4:5], vcc, s[4:5]
	s_andn2_b64 exec, exec, s[4:5]
	s_cbranch_execz .LBB115_42
.LBB115_31:                             ; =>This Loop Header: Depth=1
                                        ;     Child Loop BB115_34 Depth 2
	v_lshlrev_b64 v[6:7], 3, v[4:5]
	v_lshl_add_u64 v[8:9], s[12:13], 0, v[6:7]
	global_load_dwordx2 v[8:9], v[8:9], off
	v_lshl_add_u64 v[6:7], s[14:15], 0, v[6:7]
	global_load_dwordx2 v[6:7], v[6:7], off
	s_waitcnt vmcnt(1)
	v_subrev_co_u32_e32 v8, vcc, s26, v8
	v_mul_lo_u32 v10, v8, s27
	v_and_b32_e32 v10, 0x3fff, v10
	v_lshl_add_u32 v16, v10, 3, 0
	ds_read_b64 v[14:15], v16
	v_subbrev_co_u32_e32 v9, vcc, 0, v9, vcc
	s_waitcnt lgkmcnt(0)
	v_cmp_ne_u64_e32 vcc, v[14:15], v[8:9]
	s_and_saveexec_b64 s[8:9], vcc
	s_cbranch_execz .LBB115_30
; %bb.32:                               ;   in Loop: Header=BB115_31 Depth=1
	s_mov_b64 s[10:11], 0
                                        ; implicit-def: $sgpr16_sgpr17
                                        ; implicit-def: $sgpr18_sgpr19
	s_branch .LBB115_34
.LBB115_33:                             ;   in Loop: Header=BB115_34 Depth=2
	s_or_b64 exec, exec, s[24:25]
	s_and_b64 s[20:21], exec, s[22:23]
	s_or_b64 s[10:11], s[20:21], s[10:11]
	s_andn2_b64 s[16:17], s[16:17], exec
	s_and_b64 s[20:21], s[18:19], exec
	s_or_b64 s[16:17], s[16:17], s[20:21]
	s_andn2_b64 exec, exec, s[10:11]
	s_cbranch_execz .LBB115_40
.LBB115_34:                             ;   Parent Loop BB115_31 Depth=1
                                        ; =>  This Inner Loop Header: Depth=2
	v_mov_b64_e32 v[12:13], v[10:11]
	v_cmp_ne_u64_e32 vcc, s[42:43], v[14:15]
	s_mov_b64 s[20:21], 0
                                        ; implicit-def: $vgpr10_vgpr11
	s_and_saveexec_b64 s[22:23], vcc
	s_xor_b64 s[22:23], exec, s[22:23]
; %bb.35:                               ;   in Loop: Header=BB115_34 Depth=2
	v_add_u32_e32 v10, 1, v12
	s_mov_b64 s[20:21], exec
	v_and_b32_e32 v10, 0x3fff, v10
                                        ; implicit-def: $vgpr16
; %bb.36:                               ;   in Loop: Header=BB115_34 Depth=2
	s_andn2_saveexec_b64 s[22:23], s[22:23]
	s_cbranch_execz .LBB115_38
; %bb.37:                               ;   in Loop: Header=BB115_34 Depth=2
	v_mov_b64_e32 v[10:11], s[42:43]
	ds_cmpst_rtn_b64 v[10:11], v16, v[10:11], v[8:9]
	s_andn2_b64 s[20:21], s[20:21], exec
	s_waitcnt lgkmcnt(0)
	v_cmp_ne_u64_e32 vcc, s[42:43], v[10:11]
	s_and_b64 s[24:25], vcc, exec
	s_or_b64 s[20:21], s[20:21], s[24:25]
	v_mov_b64_e32 v[10:11], v[12:13]
.LBB115_38:                             ;   in Loop: Header=BB115_34 Depth=2
	s_or_b64 exec, exec, s[22:23]
	s_mov_b64 s[22:23], -1
	s_or_b64 s[18:19], s[18:19], exec
                                        ; implicit-def: $vgpr16
                                        ; implicit-def: $vgpr14_vgpr15
	s_and_saveexec_b64 s[24:25], s[20:21]
	s_cbranch_execz .LBB115_33
; %bb.39:                               ;   in Loop: Header=BB115_34 Depth=2
	v_lshl_add_u32 v16, v10, 3, 0
	ds_read_b64 v[14:15], v16
	s_andn2_b64 s[18:19], s[18:19], exec
	s_waitcnt lgkmcnt(0)
	v_cmp_eq_u64_e32 vcc, v[14:15], v[8:9]
	s_orn2_b64 s[22:23], vcc, exec
	s_branch .LBB115_33
.LBB115_40:                             ;   in Loop: Header=BB115_31 Depth=1
	s_or_b64 exec, exec, s[10:11]
	s_and_saveexec_b64 s[10:11], s[16:17]
	s_xor_b64 s[10:11], exec, s[10:11]
	s_cbranch_execz .LBB115_29
; %bb.41:                               ;   in Loop: Header=BB115_31 Depth=1
	v_mov_b32_e32 v10, v12
	s_branch .LBB115_29
.LBB115_42:
	s_or_b64 exec, exec, s[2:3]
.LBB115_43:
	s_waitcnt vmcnt(0)
	v_mbcnt_lo_u32_b32 v2, -1, 0
	v_mbcnt_hi_u32_b32 v2, -1, v2
	v_sub_u32_e32 v2, 63, v2
	s_add_i32 s33, 0, 0x40000
	s_movk_i32 s0, 0x3ff
	s_movk_i32 s2, 0x7f
	;; [unrolled: 1-line block ×15, first 2 shown]
	s_add_i32 s61, 0, 0x40078
	v_mov_b32_e32 v3, 0
	v_lshrrev_b64 v[4:5], v2, -1
	v_lshl_add_u32 v14, v27, 3, s33
	v_cmp_eq_u32_e32 vcc, s0, v0
	v_cmp_lt_u32_e64 s[0:1], 63, v0
	v_cmp_lt_u32_e64 s[2:3], s2, v0
	;; [unrolled: 1-line block ×15, first 2 shown]
	s_mov_b64 s[36:37], 0
	v_mov_b64_e32 v[6:7], 0
	s_add_i32 s39, 0, 0x40008
	s_add_i32 s48, 0, 0x40010
	;; [unrolled: 1-line block ×14, first 2 shown]
	v_mov_b32_e32 v15, s61
	s_movk_i32 s62, 0x3bff
	s_waitcnt lgkmcnt(0)
	s_barrier
	s_branch .LBB115_45
.LBB115_44:                             ;   in Loop: Header=BB115_45 Depth=1
	s_or_b64 exec, exec, s[30:31]
	s_waitcnt lgkmcnt(0)
	s_barrier
	ds_read_b64 v[8:9], v15
	v_add_u32_e32 v1, 0x400, v1
	v_cmp_lt_u32_e64 s[30:31], s62, v1
	s_or_b64 s[36:37], s[30:31], s[36:37]
	v_add_u32_e32 v26, 0x2000, v26
	s_waitcnt lgkmcnt(0)
	v_lshl_add_u64 v[6:7], v[8:9], 0, v[6:7]
	s_andn2_b64 exec, exec, s[36:37]
	s_cbranch_execz .LBB115_79
.LBB115_45:                             ; =>This Inner Loop Header: Depth=1
	ds_read_b64 v[8:9], v26
	v_add_u32_e32 v2, 0x20000, v26
	ds_read_b64 v[10:11], v2
	s_waitcnt lgkmcnt(0)
	s_barrier
	v_cmp_gt_i64_e64 s[30:31], s[42:43], v[8:9]
	s_bcnt1_i32_b64 s46, s[30:31]
	v_mov_b32_e32 v2, s46
	v_and_b32_e32 v13, s30, v4
	v_and_b32_e32 v12, s31, v5
	v_bcnt_u32_b32 v13, v13, 0
	v_bcnt_u32_b32 v12, v12, v13
	ds_write_b64 v14, v[2:3]
	s_waitcnt lgkmcnt(0)
	s_barrier
	s_and_saveexec_b64 s[46:47], s[0:1]
	s_cbranch_execnz .LBB115_62
; %bb.46:                               ;   in Loop: Header=BB115_45 Depth=1
	s_or_b64 exec, exec, s[46:47]
	s_and_saveexec_b64 s[46:47], s[2:3]
	s_cbranch_execnz .LBB115_63
.LBB115_47:                             ;   in Loop: Header=BB115_45 Depth=1
	s_or_b64 exec, exec, s[46:47]
	s_and_saveexec_b64 s[46:47], s[4:5]
	s_cbranch_execnz .LBB115_64
.LBB115_48:                             ;   in Loop: Header=BB115_45 Depth=1
	s_or_b64 exec, exec, s[46:47]
	s_and_saveexec_b64 s[46:47], s[6:7]
	s_cbranch_execnz .LBB115_65
.LBB115_49:                             ;   in Loop: Header=BB115_45 Depth=1
	s_or_b64 exec, exec, s[46:47]
	s_and_saveexec_b64 s[46:47], s[8:9]
	s_cbranch_execnz .LBB115_66
.LBB115_50:                             ;   in Loop: Header=BB115_45 Depth=1
	s_or_b64 exec, exec, s[46:47]
	s_and_saveexec_b64 s[46:47], s[10:11]
	s_cbranch_execnz .LBB115_67
.LBB115_51:                             ;   in Loop: Header=BB115_45 Depth=1
	s_or_b64 exec, exec, s[46:47]
	s_and_saveexec_b64 s[46:47], s[12:13]
	s_cbranch_execnz .LBB115_68
.LBB115_52:                             ;   in Loop: Header=BB115_45 Depth=1
	s_or_b64 exec, exec, s[46:47]
	s_and_saveexec_b64 s[46:47], s[14:15]
	s_cbranch_execnz .LBB115_69
.LBB115_53:                             ;   in Loop: Header=BB115_45 Depth=1
	s_or_b64 exec, exec, s[46:47]
	s_and_saveexec_b64 s[46:47], s[16:17]
	s_cbranch_execnz .LBB115_70
.LBB115_54:                             ;   in Loop: Header=BB115_45 Depth=1
	s_or_b64 exec, exec, s[46:47]
	s_and_saveexec_b64 s[46:47], s[18:19]
	s_cbranch_execnz .LBB115_71
.LBB115_55:                             ;   in Loop: Header=BB115_45 Depth=1
	s_or_b64 exec, exec, s[46:47]
	s_and_saveexec_b64 s[46:47], s[20:21]
	s_cbranch_execnz .LBB115_72
.LBB115_56:                             ;   in Loop: Header=BB115_45 Depth=1
	s_or_b64 exec, exec, s[46:47]
	s_and_saveexec_b64 s[46:47], s[22:23]
	s_cbranch_execnz .LBB115_73
.LBB115_57:                             ;   in Loop: Header=BB115_45 Depth=1
	s_or_b64 exec, exec, s[46:47]
	s_and_saveexec_b64 s[46:47], s[24:25]
	s_cbranch_execnz .LBB115_74
.LBB115_58:                             ;   in Loop: Header=BB115_45 Depth=1
	s_or_b64 exec, exec, s[46:47]
	s_and_saveexec_b64 s[46:47], s[26:27]
	s_cbranch_execnz .LBB115_75
.LBB115_59:                             ;   in Loop: Header=BB115_45 Depth=1
	s_or_b64 exec, exec, s[46:47]
	s_and_saveexec_b64 s[46:47], s[28:29]
	s_cbranch_execnz .LBB115_76
.LBB115_60:                             ;   in Loop: Header=BB115_45 Depth=1
	s_or_b64 exec, exec, s[46:47]
	v_ashrrev_i32_e32 v13, 31, v12
	s_and_saveexec_b64 s[46:47], s[30:31]
	s_cbranch_execnz .LBB115_77
.LBB115_61:                             ;   in Loop: Header=BB115_45 Depth=1
	s_or_b64 exec, exec, s[46:47]
	s_and_saveexec_b64 s[30:31], vcc
	s_cbranch_execz .LBB115_44
	s_branch .LBB115_78
.LBB115_62:                             ;   in Loop: Header=BB115_45 Depth=1
	v_mov_b32_e32 v2, s33
	ds_read_b32 v2, v2
	s_waitcnt lgkmcnt(0)
	v_add_u32_e32 v12, v2, v12
	s_or_b64 exec, exec, s[46:47]
	s_and_saveexec_b64 s[46:47], s[2:3]
	s_cbranch_execz .LBB115_47
.LBB115_63:                             ;   in Loop: Header=BB115_45 Depth=1
	v_mov_b32_e32 v2, s39
	ds_read_b32 v2, v2
	s_waitcnt lgkmcnt(0)
	v_add_u32_e32 v12, v12, v2
	s_or_b64 exec, exec, s[46:47]
	s_and_saveexec_b64 s[46:47], s[4:5]
	s_cbranch_execz .LBB115_48
.LBB115_64:                             ;   in Loop: Header=BB115_45 Depth=1
	v_mov_b32_e32 v2, s48
	ds_read_b32 v2, v2
	s_waitcnt lgkmcnt(0)
	v_add_u32_e32 v12, v12, v2
	s_or_b64 exec, exec, s[46:47]
	s_and_saveexec_b64 s[46:47], s[6:7]
	s_cbranch_execz .LBB115_49
.LBB115_65:                             ;   in Loop: Header=BB115_45 Depth=1
	v_mov_b32_e32 v2, s49
	ds_read_b32 v2, v2
	s_waitcnt lgkmcnt(0)
	v_add_u32_e32 v12, v12, v2
	s_or_b64 exec, exec, s[46:47]
	s_and_saveexec_b64 s[46:47], s[8:9]
	s_cbranch_execz .LBB115_50
.LBB115_66:                             ;   in Loop: Header=BB115_45 Depth=1
	v_mov_b32_e32 v2, s50
	ds_read_b32 v2, v2
	s_waitcnt lgkmcnt(0)
	v_add_u32_e32 v12, v12, v2
	s_or_b64 exec, exec, s[46:47]
	s_and_saveexec_b64 s[46:47], s[10:11]
	s_cbranch_execz .LBB115_51
.LBB115_67:                             ;   in Loop: Header=BB115_45 Depth=1
	v_mov_b32_e32 v2, s51
	ds_read_b32 v2, v2
	s_waitcnt lgkmcnt(0)
	v_add_u32_e32 v12, v12, v2
	s_or_b64 exec, exec, s[46:47]
	s_and_saveexec_b64 s[46:47], s[12:13]
	s_cbranch_execz .LBB115_52
.LBB115_68:                             ;   in Loop: Header=BB115_45 Depth=1
	v_mov_b32_e32 v2, s52
	ds_read_b32 v2, v2
	s_waitcnt lgkmcnt(0)
	v_add_u32_e32 v12, v12, v2
	s_or_b64 exec, exec, s[46:47]
	s_and_saveexec_b64 s[46:47], s[14:15]
	s_cbranch_execz .LBB115_53
.LBB115_69:                             ;   in Loop: Header=BB115_45 Depth=1
	v_mov_b32_e32 v2, s53
	ds_read_b32 v2, v2
	s_waitcnt lgkmcnt(0)
	v_add_u32_e32 v12, v12, v2
	s_or_b64 exec, exec, s[46:47]
	s_and_saveexec_b64 s[46:47], s[16:17]
	s_cbranch_execz .LBB115_54
.LBB115_70:                             ;   in Loop: Header=BB115_45 Depth=1
	v_mov_b32_e32 v2, s54
	ds_read_b32 v2, v2
	s_waitcnt lgkmcnt(0)
	v_add_u32_e32 v12, v12, v2
	s_or_b64 exec, exec, s[46:47]
	s_and_saveexec_b64 s[46:47], s[18:19]
	s_cbranch_execz .LBB115_55
.LBB115_71:                             ;   in Loop: Header=BB115_45 Depth=1
	v_mov_b32_e32 v2, s55
	ds_read_b32 v2, v2
	s_waitcnt lgkmcnt(0)
	v_add_u32_e32 v12, v12, v2
	s_or_b64 exec, exec, s[46:47]
	s_and_saveexec_b64 s[46:47], s[20:21]
	s_cbranch_execz .LBB115_56
.LBB115_72:                             ;   in Loop: Header=BB115_45 Depth=1
	v_mov_b32_e32 v2, s56
	ds_read_b32 v2, v2
	s_waitcnt lgkmcnt(0)
	v_add_u32_e32 v12, v12, v2
	s_or_b64 exec, exec, s[46:47]
	s_and_saveexec_b64 s[46:47], s[22:23]
	s_cbranch_execz .LBB115_57
.LBB115_73:                             ;   in Loop: Header=BB115_45 Depth=1
	v_mov_b32_e32 v2, s57
	ds_read_b32 v2, v2
	s_waitcnt lgkmcnt(0)
	v_add_u32_e32 v12, v12, v2
	s_or_b64 exec, exec, s[46:47]
	s_and_saveexec_b64 s[46:47], s[24:25]
	s_cbranch_execz .LBB115_58
.LBB115_74:                             ;   in Loop: Header=BB115_45 Depth=1
	v_mov_b32_e32 v2, s58
	ds_read_b32 v2, v2
	s_waitcnt lgkmcnt(0)
	v_add_u32_e32 v12, v12, v2
	s_or_b64 exec, exec, s[46:47]
	s_and_saveexec_b64 s[46:47], s[26:27]
	s_cbranch_execz .LBB115_59
.LBB115_75:                             ;   in Loop: Header=BB115_45 Depth=1
	v_mov_b32_e32 v2, s59
	ds_read_b32 v2, v2
	s_waitcnt lgkmcnt(0)
	v_add_u32_e32 v12, v12, v2
	s_or_b64 exec, exec, s[46:47]
	s_and_saveexec_b64 s[46:47], s[28:29]
	s_cbranch_execz .LBB115_60
.LBB115_76:                             ;   in Loop: Header=BB115_45 Depth=1
	v_mov_b32_e32 v2, s60
	ds_read_b32 v2, v2
	s_waitcnt lgkmcnt(0)
	v_add_u32_e32 v12, v12, v2
	s_or_b64 exec, exec, s[46:47]
	v_ashrrev_i32_e32 v13, 31, v12
	s_and_saveexec_b64 s[46:47], s[30:31]
	s_cbranch_execz .LBB115_61
.LBB115_77:                             ;   in Loop: Header=BB115_45 Depth=1
	v_add3_u32 v2, v6, -1, v12
	v_lshl_add_u32 v2, v2, 3, 0
	v_add_u32_e32 v16, 0x20000, v2
	ds_write_b64 v2, v[8:9]
	ds_write_b64 v16, v[10:11]
	s_or_b64 exec, exec, s[46:47]
	s_and_saveexec_b64 s[30:31], vcc
	s_cbranch_execz .LBB115_44
.LBB115_78:                             ;   in Loop: Header=BB115_45 Depth=1
	v_mov_b32_e32 v2, s61
	ds_write_b64 v2, v[12:13]
	s_branch .LBB115_44
.LBB115_79:
	s_or_b64 exec, exec, s[36:37]
	s_lshl_b64 s[0:1], s[44:45], 3
	s_add_u32 s4, s40, s0
	s_addc_u32 s5, s41, s1
	s_load_dwordx4 s[0:3], s[4:5], 0x0
	v_mov_b32_e32 v1, 0
	s_waitcnt lgkmcnt(0)
	s_sub_u32 s4, s2, s0
	s_subb_u32 s5, s3, s1
	v_cmp_gt_i64_e32 vcc, s[4:5], v[0:1]
	s_and_saveexec_b64 s[6:7], vcc
	s_cbranch_execz .LBB115_89
; %bb.80:
	s_sub_u32 s8, s0, s38
	s_subb_u32 s9, s1, 0
	s_and_b32 s6, s4, 7
	s_sub_u32 s0, s0, s2
	s_mov_b32 s7, 0
	s_subb_u32 s1, s1, s3
	s_and_b32 s10, s4, -8
	s_cmp_lg_u64 s[6:7], 0
	v_cmp_lt_u64_e64 s[0:1], s[0:1], -7
	s_cselect_b64 s[2:3], -1, 0
	s_mov_b32 s11, s5
	v_cndmask_b32_e64 v2, 0, 1, s[0:1]
	v_cmp_ne_u32_e64 s[0:1], 1, v2
	v_cndmask_b32_e64 v2, 0, 1, s[2:3]
	s_mov_b64 s[12:13], 0
	v_cmp_ne_u32_e64 s[2:3], 1, v2
	s_mov_b64 s[14:15], 0x400
	s_branch .LBB115_82
.LBB115_81:                             ;   in Loop: Header=BB115_82 Depth=1
	v_lshl_add_u64 v[0:1], v[0:1], 0, s[14:15]
	v_cmp_le_i64_e32 vcc, s[4:5], v[0:1]
	s_waitcnt lgkmcnt(1)
	v_lshl_add_u64 v[4:5], v[6:7], 3, s[34:35]
	s_or_b64 s[12:13], vcc, s[12:13]
	s_waitcnt lgkmcnt(0)
	global_store_dwordx2 v[4:5], v[2:3], off
	s_andn2_b64 exec, exec, s[12:13]
	s_cbranch_execz .LBB115_89
.LBB115_82:                             ; =>This Loop Header: Depth=1
                                        ;     Child Loop BB115_84 Depth 2
                                        ;     Child Loop BB115_88 Depth 2
	v_lshl_add_u32 v2, v0, 3, 0
	v_add_u32_e32 v3, 0x20000, v2
	ds_read_b64 v[4:5], v2
	ds_read_b64 v[2:3], v3
	s_and_b64 vcc, exec, s[0:1]
	v_mov_b64_e32 v[6:7], s[8:9]
	s_mov_b64 s[16:17], 0
	s_cbranch_vccnz .LBB115_86
; %bb.83:                               ;   in Loop: Header=BB115_82 Depth=1
	s_mov_b32 s18, 0
	v_mov_b64_e32 v[6:7], s[8:9]
.LBB115_84:                             ;   Parent Loop BB115_82 Depth=1
                                        ; =>  This Inner Loop Header: Depth=2
	v_mov_b32_e32 v20, s18
	ds_read2_b64 v[8:11], v20 offset1:1
	ds_read2_b64 v[12:15], v20 offset0:2 offset1:3
	ds_read2_b64 v[16:19], v20 offset0:4 offset1:5
	;; [unrolled: 1-line block ×3, first 2 shown]
	v_mov_b32_e32 v25, s7
	s_waitcnt lgkmcnt(3)
	v_cmp_gt_i64_e32 vcc, v[4:5], v[8:9]
	v_mov_b32_e32 v27, s7
	v_mov_b32_e32 v29, s7
	v_cndmask_b32_e64 v24, 0, 1, vcc
	v_cmp_gt_i64_e32 vcc, v[4:5], v[10:11]
	v_lshl_add_u64 v[6:7], v[6:7], 0, v[24:25]
	v_mov_b32_e32 v31, s7
	v_cndmask_b32_e64 v26, 0, 1, vcc
	s_waitcnt lgkmcnt(2)
	v_cmp_gt_i64_e32 vcc, v[4:5], v[12:13]
	v_lshl_add_u64 v[6:7], v[6:7], 0, v[26:27]
	v_mov_b32_e32 v33, s7
	v_cndmask_b32_e64 v28, 0, 1, vcc
	v_cmp_gt_i64_e32 vcc, v[4:5], v[14:15]
	v_lshl_add_u64 v[6:7], v[6:7], 0, v[28:29]
	v_mov_b32_e32 v35, s7
	v_cndmask_b32_e64 v30, 0, 1, vcc
	s_waitcnt lgkmcnt(1)
	v_cmp_gt_i64_e32 vcc, v[4:5], v[16:17]
	v_lshl_add_u64 v[6:7], v[6:7], 0, v[30:31]
	v_mov_b32_e32 v37, s7
	v_cndmask_b32_e64 v32, 0, 1, vcc
	v_cmp_gt_i64_e32 vcc, v[4:5], v[18:19]
	v_lshl_add_u64 v[6:7], v[6:7], 0, v[32:33]
	s_add_u32 s16, s16, 8
	v_cndmask_b32_e64 v34, 0, 1, vcc
	s_waitcnt lgkmcnt(0)
	v_cmp_gt_i64_e32 vcc, v[4:5], v[20:21]
	v_lshl_add_u64 v[6:7], v[6:7], 0, v[34:35]
	v_mov_b32_e32 v39, s7
	v_cndmask_b32_e64 v36, 0, 1, vcc
	v_cmp_gt_i64_e32 vcc, v[4:5], v[22:23]
	s_addc_u32 s17, s17, 0
	s_add_i32 s18, s18, 64
	v_cndmask_b32_e64 v38, 0, 1, vcc
	v_lshl_add_u64 v[6:7], v[6:7], 0, v[36:37]
	s_cmp_eq_u64 s[10:11], s[16:17]
	v_lshl_add_u64 v[6:7], v[6:7], 0, v[38:39]
	s_cbranch_scc0 .LBB115_84
; %bb.85:                               ;   in Loop: Header=BB115_82 Depth=1
	s_mov_b64 s[16:17], s[10:11]
.LBB115_86:                             ;   in Loop: Header=BB115_82 Depth=1
	s_and_b64 vcc, exec, s[2:3]
	s_cbranch_vccnz .LBB115_81
; %bb.87:                               ;   in Loop: Header=BB115_82 Depth=1
	s_lshl_b32 s16, s16, 3
	s_add_i32 s18, s16, 0
	s_mov_b64 s[16:17], s[6:7]
.LBB115_88:                             ;   Parent Loop BB115_82 Depth=1
                                        ; =>  This Inner Loop Header: Depth=2
	v_mov_b32_e32 v8, s18
	ds_read_b64 v[10:11], v8
	s_add_i32 s18, s18, 8
	s_add_u32 s16, s16, -1
	v_mov_b32_e32 v9, s7
	s_addc_u32 s17, s17, -1
	s_waitcnt lgkmcnt(0)
	v_cmp_gt_i64_e32 vcc, v[4:5], v[10:11]
	s_cmp_lg_u64 s[16:17], 0
	s_nop 0
	v_cndmask_b32_e64 v8, 0, 1, vcc
	v_lshl_add_u64 v[6:7], v[6:7], 0, v[8:9]
	s_cbranch_scc1 .LBB115_88
	s_branch .LBB115_81
.LBB115_89:
	s_endpgm
	.section	.rodata,"a",@progbits
	.p2align	6, 0x0
	.amdhsa_kernel _ZN9rocsparseL41csrgemm_numeric_fill_block_per_row_kernelILj1024ELj64ELj16384ELj137ELj64ElldEEvT5_PKS1_S3_NS_24const_host_device_scalarIT6_EEPKT4_S3_PKS5_S9_S3_SB_S6_S9_S3_SB_S9_S3_PS5_21rocsparse_index_base_SD_SD_SD_bbb
		.amdhsa_group_segment_fixed_size 0
		.amdhsa_private_segment_fixed_size 0
		.amdhsa_kernarg_size 156
		.amdhsa_user_sgpr_count 2
		.amdhsa_user_sgpr_dispatch_ptr 0
		.amdhsa_user_sgpr_queue_ptr 0
		.amdhsa_user_sgpr_kernarg_segment_ptr 1
		.amdhsa_user_sgpr_dispatch_id 0
		.amdhsa_user_sgpr_kernarg_preload_length 0
		.amdhsa_user_sgpr_kernarg_preload_offset 0
		.amdhsa_user_sgpr_private_segment_size 0
		.amdhsa_uses_dynamic_stack 0
		.amdhsa_enable_private_segment 0
		.amdhsa_system_sgpr_workgroup_id_x 1
		.amdhsa_system_sgpr_workgroup_id_y 0
		.amdhsa_system_sgpr_workgroup_id_z 0
		.amdhsa_system_sgpr_workgroup_info 0
		.amdhsa_system_vgpr_workitem_id 0
		.amdhsa_next_free_vgpr 40
		.amdhsa_next_free_sgpr 63
		.amdhsa_accum_offset 40
		.amdhsa_reserve_vcc 1
		.amdhsa_float_round_mode_32 0
		.amdhsa_float_round_mode_16_64 0
		.amdhsa_float_denorm_mode_32 3
		.amdhsa_float_denorm_mode_16_64 3
		.amdhsa_dx10_clamp 1
		.amdhsa_ieee_mode 1
		.amdhsa_fp16_overflow 0
		.amdhsa_tg_split 0
		.amdhsa_exception_fp_ieee_invalid_op 0
		.amdhsa_exception_fp_denorm_src 0
		.amdhsa_exception_fp_ieee_div_zero 0
		.amdhsa_exception_fp_ieee_overflow 0
		.amdhsa_exception_fp_ieee_underflow 0
		.amdhsa_exception_fp_ieee_inexact 0
		.amdhsa_exception_int_div_zero 0
	.end_amdhsa_kernel
	.section	.text._ZN9rocsparseL41csrgemm_numeric_fill_block_per_row_kernelILj1024ELj64ELj16384ELj137ELj64ElldEEvT5_PKS1_S3_NS_24const_host_device_scalarIT6_EEPKT4_S3_PKS5_S9_S3_SB_S6_S9_S3_SB_S9_S3_PS5_21rocsparse_index_base_SD_SD_SD_bbb,"axG",@progbits,_ZN9rocsparseL41csrgemm_numeric_fill_block_per_row_kernelILj1024ELj64ELj16384ELj137ELj64ElldEEvT5_PKS1_S3_NS_24const_host_device_scalarIT6_EEPKT4_S3_PKS5_S9_S3_SB_S6_S9_S3_SB_S9_S3_PS5_21rocsparse_index_base_SD_SD_SD_bbb,comdat
.Lfunc_end115:
	.size	_ZN9rocsparseL41csrgemm_numeric_fill_block_per_row_kernelILj1024ELj64ELj16384ELj137ELj64ElldEEvT5_PKS1_S3_NS_24const_host_device_scalarIT6_EEPKT4_S3_PKS5_S9_S3_SB_S6_S9_S3_SB_S9_S3_PS5_21rocsparse_index_base_SD_SD_SD_bbb, .Lfunc_end115-_ZN9rocsparseL41csrgemm_numeric_fill_block_per_row_kernelILj1024ELj64ELj16384ELj137ELj64ElldEEvT5_PKS1_S3_NS_24const_host_device_scalarIT6_EEPKT4_S3_PKS5_S9_S3_SB_S6_S9_S3_SB_S9_S3_PS5_21rocsparse_index_base_SD_SD_SD_bbb
                                        ; -- End function
	.set _ZN9rocsparseL41csrgemm_numeric_fill_block_per_row_kernelILj1024ELj64ELj16384ELj137ELj64ElldEEvT5_PKS1_S3_NS_24const_host_device_scalarIT6_EEPKT4_S3_PKS5_S9_S3_SB_S6_S9_S3_SB_S9_S3_PS5_21rocsparse_index_base_SD_SD_SD_bbb.num_vgpr, 40
	.set _ZN9rocsparseL41csrgemm_numeric_fill_block_per_row_kernelILj1024ELj64ELj16384ELj137ELj64ElldEEvT5_PKS1_S3_NS_24const_host_device_scalarIT6_EEPKT4_S3_PKS5_S9_S3_SB_S6_S9_S3_SB_S9_S3_PS5_21rocsparse_index_base_SD_SD_SD_bbb.num_agpr, 0
	.set _ZN9rocsparseL41csrgemm_numeric_fill_block_per_row_kernelILj1024ELj64ELj16384ELj137ELj64ElldEEvT5_PKS1_S3_NS_24const_host_device_scalarIT6_EEPKT4_S3_PKS5_S9_S3_SB_S6_S9_S3_SB_S9_S3_PS5_21rocsparse_index_base_SD_SD_SD_bbb.numbered_sgpr, 63
	.set _ZN9rocsparseL41csrgemm_numeric_fill_block_per_row_kernelILj1024ELj64ELj16384ELj137ELj64ElldEEvT5_PKS1_S3_NS_24const_host_device_scalarIT6_EEPKT4_S3_PKS5_S9_S3_SB_S6_S9_S3_SB_S9_S3_PS5_21rocsparse_index_base_SD_SD_SD_bbb.num_named_barrier, 0
	.set _ZN9rocsparseL41csrgemm_numeric_fill_block_per_row_kernelILj1024ELj64ELj16384ELj137ELj64ElldEEvT5_PKS1_S3_NS_24const_host_device_scalarIT6_EEPKT4_S3_PKS5_S9_S3_SB_S6_S9_S3_SB_S9_S3_PS5_21rocsparse_index_base_SD_SD_SD_bbb.private_seg_size, 0
	.set _ZN9rocsparseL41csrgemm_numeric_fill_block_per_row_kernelILj1024ELj64ELj16384ELj137ELj64ElldEEvT5_PKS1_S3_NS_24const_host_device_scalarIT6_EEPKT4_S3_PKS5_S9_S3_SB_S6_S9_S3_SB_S9_S3_PS5_21rocsparse_index_base_SD_SD_SD_bbb.uses_vcc, 1
	.set _ZN9rocsparseL41csrgemm_numeric_fill_block_per_row_kernelILj1024ELj64ELj16384ELj137ELj64ElldEEvT5_PKS1_S3_NS_24const_host_device_scalarIT6_EEPKT4_S3_PKS5_S9_S3_SB_S6_S9_S3_SB_S9_S3_PS5_21rocsparse_index_base_SD_SD_SD_bbb.uses_flat_scratch, 0
	.set _ZN9rocsparseL41csrgemm_numeric_fill_block_per_row_kernelILj1024ELj64ELj16384ELj137ELj64ElldEEvT5_PKS1_S3_NS_24const_host_device_scalarIT6_EEPKT4_S3_PKS5_S9_S3_SB_S6_S9_S3_SB_S9_S3_PS5_21rocsparse_index_base_SD_SD_SD_bbb.has_dyn_sized_stack, 0
	.set _ZN9rocsparseL41csrgemm_numeric_fill_block_per_row_kernelILj1024ELj64ELj16384ELj137ELj64ElldEEvT5_PKS1_S3_NS_24const_host_device_scalarIT6_EEPKT4_S3_PKS5_S9_S3_SB_S6_S9_S3_SB_S9_S3_PS5_21rocsparse_index_base_SD_SD_SD_bbb.has_recursion, 0
	.set _ZN9rocsparseL41csrgemm_numeric_fill_block_per_row_kernelILj1024ELj64ELj16384ELj137ELj64ElldEEvT5_PKS1_S3_NS_24const_host_device_scalarIT6_EEPKT4_S3_PKS5_S9_S3_SB_S6_S9_S3_SB_S9_S3_PS5_21rocsparse_index_base_SD_SD_SD_bbb.has_indirect_call, 0
	.section	.AMDGPU.csdata,"",@progbits
; Kernel info:
; codeLenInByte = 3404
; TotalNumSgprs: 69
; NumVgprs: 40
; NumAgprs: 0
; TotalNumVgprs: 40
; ScratchSize: 0
; MemoryBound: 0
; FloatMode: 240
; IeeeMode: 1
; LDSByteSize: 0 bytes/workgroup (compile time only)
; SGPRBlocks: 8
; VGPRBlocks: 4
; NumSGPRsForWavesPerEU: 69
; NumVGPRsForWavesPerEU: 40
; AccumOffset: 40
; Occupancy: 8
; WaveLimiterHint : 1
; COMPUTE_PGM_RSRC2:SCRATCH_EN: 0
; COMPUTE_PGM_RSRC2:USER_SGPR: 2
; COMPUTE_PGM_RSRC2:TRAP_HANDLER: 0
; COMPUTE_PGM_RSRC2:TGID_X_EN: 1
; COMPUTE_PGM_RSRC2:TGID_Y_EN: 0
; COMPUTE_PGM_RSRC2:TGID_Z_EN: 0
; COMPUTE_PGM_RSRC2:TIDIG_COMP_CNT: 0
; COMPUTE_PGM_RSRC3_GFX90A:ACCUM_OFFSET: 9
; COMPUTE_PGM_RSRC3_GFX90A:TG_SPLIT: 0
	.section	.text._ZN9rocsparseL41csrgemm_numeric_fill_block_per_row_kernelILj1024ELj64ELj32768ELj137ELj32ElldEEvT5_PKS1_S3_NS_24const_host_device_scalarIT6_EEPKT4_S3_PKS5_S9_S3_SB_S6_S9_S3_SB_S9_S3_PS5_21rocsparse_index_base_SD_SD_SD_bbb,"axG",@progbits,_ZN9rocsparseL41csrgemm_numeric_fill_block_per_row_kernelILj1024ELj64ELj32768ELj137ELj32ElldEEvT5_PKS1_S3_NS_24const_host_device_scalarIT6_EEPKT4_S3_PKS5_S9_S3_SB_S6_S9_S3_SB_S9_S3_PS5_21rocsparse_index_base_SD_SD_SD_bbb,comdat
	.globl	_ZN9rocsparseL41csrgemm_numeric_fill_block_per_row_kernelILj1024ELj64ELj32768ELj137ELj32ElldEEvT5_PKS1_S3_NS_24const_host_device_scalarIT6_EEPKT4_S3_PKS5_S9_S3_SB_S6_S9_S3_SB_S9_S3_PS5_21rocsparse_index_base_SD_SD_SD_bbb ; -- Begin function _ZN9rocsparseL41csrgemm_numeric_fill_block_per_row_kernelILj1024ELj64ELj32768ELj137ELj32ElldEEvT5_PKS1_S3_NS_24const_host_device_scalarIT6_EEPKT4_S3_PKS5_S9_S3_SB_S6_S9_S3_SB_S9_S3_PS5_21rocsparse_index_base_SD_SD_SD_bbb
	.p2align	8
	.type	_ZN9rocsparseL41csrgemm_numeric_fill_block_per_row_kernelILj1024ELj64ELj32768ELj137ELj32ElldEEvT5_PKS1_S3_NS_24const_host_device_scalarIT6_EEPKT4_S3_PKS5_S9_S3_SB_S6_S9_S3_SB_S9_S3_PS5_21rocsparse_index_base_SD_SD_SD_bbb,@function
_ZN9rocsparseL41csrgemm_numeric_fill_block_per_row_kernelILj1024ELj64ELj32768ELj137ELj32ElldEEvT5_PKS1_S3_NS_24const_host_device_scalarIT6_EEPKT4_S3_PKS5_S9_S3_SB_S6_S9_S3_SB_S9_S3_PS5_21rocsparse_index_base_SD_SD_SD_bbb: ; @_ZN9rocsparseL41csrgemm_numeric_fill_block_per_row_kernelILj1024ELj64ELj32768ELj137ELj32ElldEEvT5_PKS1_S3_NS_24const_host_device_scalarIT6_EEPKT4_S3_PKS5_S9_S3_SB_S6_S9_S3_SB_S9_S3_PS5_21rocsparse_index_base_SD_SD_SD_bbb
; %bb.0:
	s_load_dword s3, s[0:1], 0x98
	s_load_dwordx4 s[48:51], s[0:1], 0x88
	s_load_dwordx2 s[4:5], s[0:1], 0x18
	s_load_dwordx2 s[12:13], s[0:1], 0x50
	s_waitcnt lgkmcnt(0)
	s_bitcmp1_b32 s3, 0
	s_cselect_b64 s[28:29], -1, 0
	s_bitcmp1_b32 s3, 16
	s_cselect_b64 s[14:15], -1, 0
	s_xor_b64 s[6:7], s[28:29], -1
	s_or_b64 s[6:7], s[14:15], s[6:7]
	s_and_b64 s[8:9], s[28:29], exec
	s_cselect_b32 s9, s5, 0
	s_cselect_b32 s8, s4, 0
	s_and_b64 vcc, exec, s[6:7]
	v_mov_b64_e32 v[4:5], s[8:9]
	s_cbranch_vccnz .LBB116_2
; %bb.1:
	v_mov_b64_e32 v[2:3], s[4:5]
	flat_load_dwordx2 v[4:5], v[2:3]
.LBB116_2:
	s_load_dwordx2 s[4:5], s[0:1], 0x80
                                        ; implicit-def: $vgpr40 : SGPR spill to VGPR lane
	s_bitcmp1_b32 s3, 8
	s_cselect_b64 s[26:27], -1, 0
	s_xor_b64 s[16:17], s[26:27], -1
	s_or_b64 s[14:15], s[14:15], s[16:17]
	s_waitcnt lgkmcnt(0)
	v_writelane_b32 v40, s4, 0
	s_and_b64 s[16:17], s[26:27], exec
	s_cselect_b32 s17, s13, 0
	v_writelane_b32 v40, s5, 1
	s_load_dwordx2 s[4:5], s[0:1], 0x70
	s_cselect_b32 s16, s12, 0
	s_and_b64 vcc, exec, s[14:15]
	v_mov_b64_e32 v[2:3], s[16:17]
	s_waitcnt lgkmcnt(0)
	v_writelane_b32 v40, s4, 2
	s_nop 1
	v_writelane_b32 v40, s5, 3
	s_load_dwordx2 s[24:25], s[0:1], 0x58
	s_load_dwordx4 s[20:23], s[0:1], 0x8
	s_load_dwordx8 s[4:11], s[0:1], 0x20
	s_cbranch_vccnz .LBB116_4
; %bb.3:
	v_mov_b64_e32 v[2:3], s[12:13]
	flat_load_dwordx2 v[2:3], v[2:3]
.LBB116_4:
	s_load_dwordx4 s[12:15], s[0:1], 0x60
	s_load_dwordx4 s[16:19], s[0:1], 0x40
	s_load_dwordx2 s[72:73], s[0:1], 0x0
	v_or_b32_e32 v1, 0xfffffc00, v0
	v_mov_b32_e32 v6, 0
	v_lshl_add_u32 v26, v0, 3, 0
	s_mov_b64 s[0:1], 0
	s_waitcnt lgkmcnt(0)
	v_mov_b64_e32 v[10:11], s[72:73]
	v_mov_b32_e32 v7, v6
	s_movk_i32 s3, 0x7bff
	v_mov_b32_e32 v8, v26
	v_mov_b32_e32 v9, v1
.LBB116_5:                              ; =>This Inner Loop Header: Depth=1
	v_add_u32_e32 v9, 0x400, v9
	v_cmp_lt_u32_e32 vcc, s3, v9
	ds_write_b64 v8, v[10:11]
	v_add_u32_e32 v12, 0x40000, v8
	v_add_u32_e32 v8, 0x2000, v8
	s_or_b64 s[0:1], vcc, s[0:1]
	ds_write_b64 v12, v[6:7]
	s_andn2_b64 exec, exec, s[0:1]
	s_cbranch_execnz .LBB116_5
; %bb.6:
	s_or_b64 exec, exec, s[0:1]
	s_waitcnt lgkmcnt(0)
	s_barrier
	s_load_dwordx2 s[0:1], s[20:21], 0x0
	s_mov_b32 s3, 0
	s_waitcnt lgkmcnt(0)
	s_lshl_b64 s[0:1], s[0:1], 3
	s_add_u32 s20, s22, s0
	s_addc_u32 s21, s23, s1
	s_lshl_b64 s[0:1], s[2:3], 3
	s_add_u32 s0, s20, s0
	s_addc_u32 s1, s21, s1
	s_load_dwordx2 s[46:47], s[0:1], 0x0
	s_and_b64 vcc, exec, s[28:29]
	s_cbranch_vccz .LBB116_26
; %bb.7:
	s_waitcnt lgkmcnt(0)
	s_lshl_b64 s[0:1], s[46:47], 3
	s_add_u32 s0, s4, s0
	s_addc_u32 s1, s5, s1
	s_load_dwordx4 s[20:23], s[0:1], 0x0
	v_lshrrev_b32_e32 v6, 6, v0
	v_subrev_co_u32_e32 v6, vcc, s48, v6
	s_waitcnt lgkmcnt(0)
	s_sub_u32 s0, s22, s48
	v_subb_co_u32_e64 v7, s[2:3], 0, 0, vcc
	s_subb_u32 s1, s23, 0
	v_lshl_add_u64 v[6:7], s[20:21], 0, v[6:7]
	v_cmp_gt_i64_e32 vcc, s[0:1], v[6:7]
	s_and_saveexec_b64 s[2:3], vcc
	s_cbranch_execz .LBB116_25
; %bb.8:
	v_and_b32_e32 v8, 63, v0
	v_subrev_co_u32_e32 v8, vcc, s49, v8
	s_mov_b32 s33, s49
	s_nop 0
	v_subb_co_u32_e64 v9, s[4:5], 0, 0, vcc
	s_mov_b64 s[4:5], 0
	s_movk_i32 s44, 0x89
	s_branch .LBB116_10
.LBB116_9:                              ;   in Loop: Header=BB116_10 Depth=1
	s_or_b64 exec, exec, s[20:21]
	v_lshl_add_u64 v[6:7], v[6:7], 0, 16
	v_cmp_le_i64_e32 vcc, s[0:1], v[6:7]
	s_or_b64 s[4:5], vcc, s[4:5]
	s_andn2_b64 exec, exec, s[4:5]
	s_cbranch_execz .LBB116_25
.LBB116_10:                             ; =>This Loop Header: Depth=1
                                        ;     Child Loop BB116_14 Depth 2
                                        ;       Child Loop BB116_17 Depth 3
	v_lshl_add_u64 v[10:11], v[6:7], 3, s[6:7]
	global_load_dwordx2 v[10:11], v[10:11], off
	s_waitcnt vmcnt(0)
	v_subrev_co_u32_e32 v10, vcc, s48, v10
	s_nop 1
	v_subbrev_co_u32_e32 v11, vcc, 0, v11, vcc
	v_lshl_add_u64 v[10:11], v[10:11], 3, s[10:11]
	global_load_dwordx4 v[12:15], v[10:11], off
	s_waitcnt vmcnt(0)
	v_subrev_co_u32_e32 v10, vcc, s33, v14
	s_nop 1
	v_subbrev_co_u32_e32 v11, vcc, 0, v15, vcc
	v_lshl_add_u64 v[12:13], v[12:13], 0, v[8:9]
	v_cmp_lt_i64_e32 vcc, v[12:13], v[10:11]
	s_and_saveexec_b64 s[20:21], vcc
	s_cbranch_execz .LBB116_9
; %bb.11:                               ;   in Loop: Header=BB116_10 Depth=1
	v_lshl_add_u64 v[14:15], v[6:7], 3, s[8:9]
	global_load_dwordx2 v[14:15], v[14:15], off
	s_mov_b64 s[22:23], 0
	s_waitcnt vmcnt(0)
	v_mul_f64 v[14:15], v[4:5], v[14:15]
	s_branch .LBB116_14
.LBB116_12:                             ;   in Loop: Header=BB116_14 Depth=2
	s_or_b64 exec, exec, s[30:31]
.LBB116_13:                             ;   in Loop: Header=BB116_14 Depth=2
	s_or_b64 exec, exec, s[28:29]
	v_lshl_add_u32 v18, v20, 3, 0
	s_waitcnt vmcnt(0)
	v_mul_f64 v[16:17], v[14:15], v[16:17]
	v_add_u32_e32 v18, 0x40000, v18
	ds_add_f64 v18, v[16:17]
	v_lshl_add_u64 v[12:13], v[12:13], 0, 64
	v_cmp_ge_i64_e32 vcc, v[12:13], v[10:11]
	s_or_b64 s[22:23], vcc, s[22:23]
	s_andn2_b64 exec, exec, s[22:23]
	s_cbranch_execz .LBB116_9
.LBB116_14:                             ;   Parent Loop BB116_10 Depth=1
                                        ; =>  This Loop Header: Depth=2
                                        ;       Child Loop BB116_17 Depth 3
	v_lshlrev_b64 v[16:17], 3, v[12:13]
	v_lshl_add_u64 v[18:19], s[16:17], 0, v[16:17]
	global_load_dwordx2 v[18:19], v[18:19], off
	v_lshl_add_u64 v[16:17], s[18:19], 0, v[16:17]
	global_load_dwordx2 v[16:17], v[16:17], off
	s_waitcnt vmcnt(1)
	v_subrev_co_u32_e32 v18, vcc, s33, v18
	v_mul_lo_u32 v20, v18, s44
	v_and_b32_e32 v20, 0x7fff, v20
	v_lshl_add_u32 v27, v20, 3, 0
	ds_read_b64 v[24:25], v27
	v_subbrev_co_u32_e32 v19, vcc, 0, v19, vcc
	s_waitcnt lgkmcnt(0)
	v_cmp_ne_u64_e32 vcc, v[24:25], v[18:19]
	s_and_saveexec_b64 s[28:29], vcc
	s_cbranch_execz .LBB116_13
; %bb.15:                               ;   in Loop: Header=BB116_14 Depth=2
	s_mov_b64 s[30:31], 0
                                        ; implicit-def: $sgpr34_sgpr35
                                        ; implicit-def: $sgpr36_sgpr37
	s_branch .LBB116_17
.LBB116_16:                             ;   in Loop: Header=BB116_17 Depth=3
	s_or_b64 exec, exec, s[42:43]
	s_and_b64 s[38:39], exec, s[40:41]
	s_or_b64 s[30:31], s[38:39], s[30:31]
	s_andn2_b64 s[34:35], s[34:35], exec
	s_and_b64 s[38:39], s[36:37], exec
	s_or_b64 s[34:35], s[34:35], s[38:39]
	s_andn2_b64 exec, exec, s[30:31]
	s_cbranch_execz .LBB116_23
.LBB116_17:                             ;   Parent Loop BB116_10 Depth=1
                                        ;     Parent Loop BB116_14 Depth=2
                                        ; =>    This Inner Loop Header: Depth=3
	v_mov_b64_e32 v[22:23], v[20:21]
	v_cmp_ne_u64_e32 vcc, s[72:73], v[24:25]
	s_mov_b64 s[38:39], 0
                                        ; implicit-def: $vgpr20_vgpr21
	s_and_saveexec_b64 s[40:41], vcc
	s_xor_b64 s[40:41], exec, s[40:41]
; %bb.18:                               ;   in Loop: Header=BB116_17 Depth=3
	v_add_u32_e32 v20, 1, v22
	s_mov_b64 s[38:39], exec
	v_and_b32_e32 v20, 0x7fff, v20
                                        ; implicit-def: $vgpr27
; %bb.19:                               ;   in Loop: Header=BB116_17 Depth=3
	s_andn2_saveexec_b64 s[40:41], s[40:41]
	s_cbranch_execz .LBB116_21
; %bb.20:                               ;   in Loop: Header=BB116_17 Depth=3
	v_mov_b64_e32 v[20:21], s[72:73]
	ds_cmpst_rtn_b64 v[20:21], v27, v[20:21], v[18:19]
	s_andn2_b64 s[38:39], s[38:39], exec
	s_waitcnt lgkmcnt(0)
	v_cmp_ne_u64_e32 vcc, s[72:73], v[20:21]
	s_and_b64 s[42:43], vcc, exec
	s_or_b64 s[38:39], s[38:39], s[42:43]
	v_mov_b64_e32 v[20:21], v[22:23]
.LBB116_21:                             ;   in Loop: Header=BB116_17 Depth=3
	s_or_b64 exec, exec, s[40:41]
	s_mov_b64 s[40:41], -1
	s_or_b64 s[36:37], s[36:37], exec
                                        ; implicit-def: $vgpr27
                                        ; implicit-def: $vgpr24_vgpr25
	s_and_saveexec_b64 s[42:43], s[38:39]
	s_cbranch_execz .LBB116_16
; %bb.22:                               ;   in Loop: Header=BB116_17 Depth=3
	v_lshl_add_u32 v27, v20, 3, 0
	ds_read_b64 v[24:25], v27
	s_andn2_b64 s[36:37], s[36:37], exec
	s_waitcnt lgkmcnt(0)
	v_cmp_eq_u64_e32 vcc, v[24:25], v[18:19]
	s_orn2_b64 s[40:41], vcc, exec
	s_branch .LBB116_16
.LBB116_23:                             ;   in Loop: Header=BB116_14 Depth=2
	s_or_b64 exec, exec, s[30:31]
	s_and_saveexec_b64 s[30:31], s[34:35]
	s_xor_b64 s[30:31], exec, s[30:31]
	s_cbranch_execz .LBB116_12
; %bb.24:                               ;   in Loop: Header=BB116_14 Depth=2
	v_mov_b32_e32 v20, v22
	s_branch .LBB116_12
.LBB116_25:
	s_or_b64 exec, exec, s[2:3]
.LBB116_26:
	s_andn2_b64 vcc, exec, s[26:27]
	s_cbranch_vccnz .LBB116_43
; %bb.27:
	s_waitcnt lgkmcnt(0)
	s_lshl_b64 s[0:1], s[46:47], 3
	s_add_u32 s0, s24, s0
	s_addc_u32 s1, s25, s1
	s_load_dwordx4 s[4:7], s[0:1], 0x0
	s_waitcnt vmcnt(0)
	v_subrev_co_u32_e32 v4, vcc, s51, v0
	s_waitcnt lgkmcnt(0)
	s_sub_u32 s0, s6, s51
	v_subb_co_u32_e64 v5, s[2:3], 0, 0, vcc
	s_subb_u32 s1, s7, 0
	v_lshl_add_u64 v[4:5], s[4:5], 0, v[4:5]
	v_cmp_gt_i64_e32 vcc, s[0:1], v[4:5]
	s_and_saveexec_b64 s[2:3], vcc
	s_cbranch_execz .LBB116_42
; %bb.28:
	s_mov_b32 s26, s51
	s_mov_b64 s[4:5], 0
	s_movk_i32 s27, 0x89
	s_mov_b64 s[6:7], 0x400
	s_branch .LBB116_31
.LBB116_29:                             ;   in Loop: Header=BB116_31 Depth=1
	s_or_b64 exec, exec, s[10:11]
.LBB116_30:                             ;   in Loop: Header=BB116_31 Depth=1
	s_or_b64 exec, exec, s[8:9]
	v_lshl_add_u32 v8, v10, 3, 0
	s_waitcnt vmcnt(0)
	v_mul_f64 v[6:7], v[2:3], v[6:7]
	v_add_u32_e32 v8, 0x40000, v8
	ds_add_f64 v8, v[6:7]
	v_lshl_add_u64 v[4:5], v[4:5], 0, s[6:7]
	v_cmp_le_i64_e32 vcc, s[0:1], v[4:5]
	s_or_b64 s[4:5], vcc, s[4:5]
	s_andn2_b64 exec, exec, s[4:5]
	s_cbranch_execz .LBB116_42
.LBB116_31:                             ; =>This Loop Header: Depth=1
                                        ;     Child Loop BB116_34 Depth 2
	v_lshlrev_b64 v[6:7], 3, v[4:5]
	v_lshl_add_u64 v[8:9], s[12:13], 0, v[6:7]
	global_load_dwordx2 v[8:9], v[8:9], off
	v_lshl_add_u64 v[6:7], s[14:15], 0, v[6:7]
	global_load_dwordx2 v[6:7], v[6:7], off
	s_waitcnt vmcnt(1)
	v_subrev_co_u32_e32 v8, vcc, s26, v8
	v_mul_lo_u32 v10, v8, s27
	v_and_b32_e32 v10, 0x7fff, v10
	v_lshl_add_u32 v16, v10, 3, 0
	ds_read_b64 v[14:15], v16
	v_subbrev_co_u32_e32 v9, vcc, 0, v9, vcc
	s_waitcnt lgkmcnt(0)
	v_cmp_ne_u64_e32 vcc, v[14:15], v[8:9]
	s_and_saveexec_b64 s[8:9], vcc
	s_cbranch_execz .LBB116_30
; %bb.32:                               ;   in Loop: Header=BB116_31 Depth=1
	s_mov_b64 s[10:11], 0
                                        ; implicit-def: $sgpr16_sgpr17
                                        ; implicit-def: $sgpr18_sgpr19
	s_branch .LBB116_34
.LBB116_33:                             ;   in Loop: Header=BB116_34 Depth=2
	s_or_b64 exec, exec, s[24:25]
	s_and_b64 s[20:21], exec, s[22:23]
	s_or_b64 s[10:11], s[20:21], s[10:11]
	s_andn2_b64 s[16:17], s[16:17], exec
	s_and_b64 s[20:21], s[18:19], exec
	s_or_b64 s[16:17], s[16:17], s[20:21]
	s_andn2_b64 exec, exec, s[10:11]
	s_cbranch_execz .LBB116_40
.LBB116_34:                             ;   Parent Loop BB116_31 Depth=1
                                        ; =>  This Inner Loop Header: Depth=2
	v_mov_b64_e32 v[12:13], v[10:11]
	v_cmp_ne_u64_e32 vcc, s[72:73], v[14:15]
	s_mov_b64 s[20:21], 0
                                        ; implicit-def: $vgpr10_vgpr11
	s_and_saveexec_b64 s[22:23], vcc
	s_xor_b64 s[22:23], exec, s[22:23]
; %bb.35:                               ;   in Loop: Header=BB116_34 Depth=2
	v_add_u32_e32 v10, 1, v12
	s_mov_b64 s[20:21], exec
	v_and_b32_e32 v10, 0x7fff, v10
                                        ; implicit-def: $vgpr16
; %bb.36:                               ;   in Loop: Header=BB116_34 Depth=2
	s_andn2_saveexec_b64 s[22:23], s[22:23]
	s_cbranch_execz .LBB116_38
; %bb.37:                               ;   in Loop: Header=BB116_34 Depth=2
	v_mov_b64_e32 v[10:11], s[72:73]
	ds_cmpst_rtn_b64 v[10:11], v16, v[10:11], v[8:9]
	s_andn2_b64 s[20:21], s[20:21], exec
	s_waitcnt lgkmcnt(0)
	v_cmp_ne_u64_e32 vcc, s[72:73], v[10:11]
	s_and_b64 s[24:25], vcc, exec
	s_or_b64 s[20:21], s[20:21], s[24:25]
	v_mov_b64_e32 v[10:11], v[12:13]
.LBB116_38:                             ;   in Loop: Header=BB116_34 Depth=2
	s_or_b64 exec, exec, s[22:23]
	s_mov_b64 s[22:23], -1
	s_or_b64 s[18:19], s[18:19], exec
                                        ; implicit-def: $vgpr16
                                        ; implicit-def: $vgpr14_vgpr15
	s_and_saveexec_b64 s[24:25], s[20:21]
	s_cbranch_execz .LBB116_33
; %bb.39:                               ;   in Loop: Header=BB116_34 Depth=2
	v_lshl_add_u32 v16, v10, 3, 0
	ds_read_b64 v[14:15], v16
	s_andn2_b64 s[18:19], s[18:19], exec
	s_waitcnt lgkmcnt(0)
	v_cmp_eq_u64_e32 vcc, v[14:15], v[8:9]
	s_orn2_b64 s[22:23], vcc, exec
	s_branch .LBB116_33
.LBB116_40:                             ;   in Loop: Header=BB116_31 Depth=1
	s_or_b64 exec, exec, s[10:11]
	s_and_saveexec_b64 s[10:11], s[16:17]
	s_xor_b64 s[10:11], exec, s[10:11]
	s_cbranch_execz .LBB116_29
; %bb.41:                               ;   in Loop: Header=BB116_31 Depth=1
	v_mov_b32_e32 v10, v12
	s_branch .LBB116_29
.LBB116_42:
	s_or_b64 exec, exec, s[2:3]
.LBB116_43:
	s_movk_i32 s33, 0x25f
	v_cmp_lt_u32_e64 s[34:35], s33, v0
	s_movk_i32 s33, 0x27f
	v_cmp_lt_u32_e64 s[36:37], s33, v0
	s_movk_i32 s33, 0x29f
	s_waitcnt lgkmcnt(0)
	v_writelane_b32 v40, s46, 4
	v_cmp_lt_u32_e64 s[38:39], s33, v0
	s_movk_i32 s33, 0x2bf
	v_writelane_b32 v40, s47, 5
	v_cmp_lt_u32_e64 s[40:41], s33, v0
	s_movk_i32 s33, 0x2df
	;; [unrolled: 3-line block ×6, first 2 shown]
	v_cmp_lt_u32_e64 s[50:51], s33, v0
	s_movk_i32 s33, 0x37f
	s_waitcnt vmcnt(0)
	v_mbcnt_lo_u32_b32 v2, -1, 0
	v_cmp_lt_u32_e64 s[52:53], s33, v0
	s_movk_i32 s33, 0x39f
	v_mbcnt_hi_u32_b32 v2, -1, v2
	v_cmp_lt_u32_e64 s[54:55], s33, v0
	s_movk_i32 s33, 0x3bf
	v_sub_u32_e32 v2, 63, v2
	s_add_i32 s0, 0, 0x80000
	v_cmp_lt_u32_e64 s[56:57], s33, v0
	s_movk_i32 s33, 0x3df
	v_lshrrev_b64 v[4:5], v2, -1
	v_lshrrev_b32_e32 v2, 2, v0
	v_writelane_b32 v40, s0, 10
	v_cmp_lt_u32_e64 s[58:59], s33, v0
	s_add_i32 s33, 0, 0x80008
	v_and_b32_e32 v2, 0xf8, v2
	v_writelane_b32 v40, s33, 11
	s_add_i32 s33, 0, 0x80010
	v_add_u32_e32 v14, s0, v2
	s_movk_i32 s0, 0x3ff
	v_writelane_b32 v40, s33, 12
	s_add_i32 s33, 0, 0x80018
	v_cmp_eq_u32_e32 vcc, s0, v0
	s_movk_i32 s0, 0x5f
	s_movk_i32 s2, 0x7f
	;; [unrolled: 1-line block ×16, first 2 shown]
	v_writelane_b32 v40, s33, 13
	s_add_i32 s33, 0, 0x80028
	v_mov_b32_e32 v3, 0
	v_cmp_lt_u32_e64 s[0:1], s0, v0
	v_cmp_lt_u32_e64 s[2:3], s2, v0
	v_cmp_lt_u32_e64 s[4:5], s4, v0
	v_cmp_lt_u32_e64 s[6:7], s6, v0
	v_cmp_lt_u32_e64 s[8:9], s8, v0
	v_cmp_lt_u32_e64 s[10:11], s10, v0
	v_cmp_lt_u32_e64 s[12:13], s12, v0
	v_cmp_lt_u32_e64 s[14:15], s14, v0
	v_cmp_lt_u32_e64 s[16:17], s16, v0
	v_cmp_lt_u32_e64 s[18:19], s18, v0
	v_cmp_lt_u32_e64 s[20:21], s20, v0
	v_cmp_lt_u32_e64 s[22:23], s22, v0
	v_cmp_lt_u32_e64 s[24:25], s24, v0
	v_cmp_lt_u32_e64 s[26:27], s26, v0
	v_cmp_lt_u32_e64 s[28:29], s28, v0
	v_cmp_lt_u32_e64 s[30:31], s30, v0
	v_mov_b64_e32 v[6:7], 0
	s_add_i32 s81, 0, 0x80020
	v_writelane_b32 v40, s33, 14
	s_add_i32 s84, 0, 0x80030
	s_add_i32 s85, 0, 0x80038
	;; [unrolled: 1-line block ×26, first 2 shown]
	v_cmp_lt_u32_e64 s[60:61], 31, v0
	v_cmp_lt_u32_e64 s[62:63], 63, v0
	s_mov_b64 s[76:77], 0
	s_barrier
	s_branch .LBB116_45
.LBB116_44:                             ;   in Loop: Header=BB116_45 Depth=1
	s_or_b64 exec, exec, s[64:65]
	v_mov_b32_e32 v2, s80
	s_waitcnt lgkmcnt(0)
	s_barrier
	ds_read_b64 v[8:9], v2
	v_add_u32_e32 v1, 0x400, v1
	s_movk_i32 s64, 0x7bff
	v_cmp_lt_u32_e64 s[64:65], s64, v1
	s_or_b64 s[76:77], s[64:65], s[76:77]
	s_waitcnt lgkmcnt(0)
	v_lshl_add_u64 v[6:7], v[8:9], 0, v[6:7]
	v_add_u32_e32 v26, 0x2000, v26
	s_andn2_b64 exec, exec, s[76:77]
	s_cbranch_execz .LBB116_111
.LBB116_45:                             ; =>This Inner Loop Header: Depth=1
	ds_read_b64 v[8:9], v26
	v_add_u32_e32 v2, 0x40000, v26
	ds_read_b64 v[10:11], v2
	s_waitcnt lgkmcnt(0)
	s_barrier
	v_cmp_gt_i64_e64 s[64:65], s[72:73], v[8:9]
	s_bcnt1_i32_b64 s78, s[64:65]
	v_mov_b32_e32 v2, s78
	v_and_b32_e32 v13, s64, v4
	v_and_b32_e32 v12, s65, v5
	v_bcnt_u32_b32 v13, v13, 0
	v_bcnt_u32_b32 v12, v12, v13
	ds_write_b64 v14, v[2:3]
	s_waitcnt lgkmcnt(0)
	s_barrier
	s_and_saveexec_b64 s[78:79], s[60:61]
	s_cbranch_execnz .LBB116_78
; %bb.46:                               ;   in Loop: Header=BB116_45 Depth=1
	s_or_b64 exec, exec, s[78:79]
	s_and_saveexec_b64 s[78:79], s[62:63]
	s_cbranch_execnz .LBB116_79
.LBB116_47:                             ;   in Loop: Header=BB116_45 Depth=1
	s_or_b64 exec, exec, s[78:79]
	s_and_saveexec_b64 s[78:79], s[0:1]
	s_cbranch_execnz .LBB116_80
.LBB116_48:                             ;   in Loop: Header=BB116_45 Depth=1
	s_or_b64 exec, exec, s[78:79]
	s_and_saveexec_b64 s[78:79], s[2:3]
	s_cbranch_execnz .LBB116_81
.LBB116_49:                             ;   in Loop: Header=BB116_45 Depth=1
	s_or_b64 exec, exec, s[78:79]
	s_and_saveexec_b64 s[78:79], s[4:5]
	s_cbranch_execnz .LBB116_82
.LBB116_50:                             ;   in Loop: Header=BB116_45 Depth=1
	s_or_b64 exec, exec, s[78:79]
	s_and_saveexec_b64 s[78:79], s[6:7]
	s_cbranch_execnz .LBB116_83
.LBB116_51:                             ;   in Loop: Header=BB116_45 Depth=1
	s_or_b64 exec, exec, s[78:79]
	s_and_saveexec_b64 s[78:79], s[8:9]
	s_cbranch_execnz .LBB116_84
.LBB116_52:                             ;   in Loop: Header=BB116_45 Depth=1
	s_or_b64 exec, exec, s[78:79]
	s_and_saveexec_b64 s[78:79], s[10:11]
	s_cbranch_execnz .LBB116_85
.LBB116_53:                             ;   in Loop: Header=BB116_45 Depth=1
	s_or_b64 exec, exec, s[78:79]
	s_and_saveexec_b64 s[78:79], s[12:13]
	s_cbranch_execnz .LBB116_86
.LBB116_54:                             ;   in Loop: Header=BB116_45 Depth=1
	s_or_b64 exec, exec, s[78:79]
	s_and_saveexec_b64 s[78:79], s[14:15]
	s_cbranch_execnz .LBB116_87
.LBB116_55:                             ;   in Loop: Header=BB116_45 Depth=1
	s_or_b64 exec, exec, s[78:79]
	s_and_saveexec_b64 s[78:79], s[16:17]
	s_cbranch_execnz .LBB116_88
.LBB116_56:                             ;   in Loop: Header=BB116_45 Depth=1
	s_or_b64 exec, exec, s[78:79]
	s_and_saveexec_b64 s[78:79], s[18:19]
	s_cbranch_execnz .LBB116_89
.LBB116_57:                             ;   in Loop: Header=BB116_45 Depth=1
	s_or_b64 exec, exec, s[78:79]
	s_and_saveexec_b64 s[78:79], s[20:21]
	s_cbranch_execnz .LBB116_90
.LBB116_58:                             ;   in Loop: Header=BB116_45 Depth=1
	s_or_b64 exec, exec, s[78:79]
	s_and_saveexec_b64 s[78:79], s[22:23]
	s_cbranch_execnz .LBB116_91
.LBB116_59:                             ;   in Loop: Header=BB116_45 Depth=1
	s_or_b64 exec, exec, s[78:79]
	s_and_saveexec_b64 s[78:79], s[24:25]
	s_cbranch_execnz .LBB116_92
.LBB116_60:                             ;   in Loop: Header=BB116_45 Depth=1
	s_or_b64 exec, exec, s[78:79]
	s_and_saveexec_b64 s[78:79], s[26:27]
	s_cbranch_execnz .LBB116_93
.LBB116_61:                             ;   in Loop: Header=BB116_45 Depth=1
	s_or_b64 exec, exec, s[78:79]
	s_and_saveexec_b64 s[78:79], s[28:29]
	s_cbranch_execnz .LBB116_94
.LBB116_62:                             ;   in Loop: Header=BB116_45 Depth=1
	s_or_b64 exec, exec, s[78:79]
	s_and_saveexec_b64 s[78:79], s[30:31]
	s_cbranch_execnz .LBB116_95
.LBB116_63:                             ;   in Loop: Header=BB116_45 Depth=1
	s_or_b64 exec, exec, s[78:79]
	s_and_saveexec_b64 s[78:79], s[34:35]
	s_cbranch_execnz .LBB116_96
.LBB116_64:                             ;   in Loop: Header=BB116_45 Depth=1
	s_or_b64 exec, exec, s[78:79]
	s_and_saveexec_b64 s[78:79], s[36:37]
	s_cbranch_execnz .LBB116_97
.LBB116_65:                             ;   in Loop: Header=BB116_45 Depth=1
	s_or_b64 exec, exec, s[78:79]
	s_and_saveexec_b64 s[78:79], s[38:39]
	s_cbranch_execnz .LBB116_98
.LBB116_66:                             ;   in Loop: Header=BB116_45 Depth=1
	s_or_b64 exec, exec, s[78:79]
	s_and_saveexec_b64 s[78:79], s[40:41]
	s_cbranch_execnz .LBB116_99
.LBB116_67:                             ;   in Loop: Header=BB116_45 Depth=1
	s_or_b64 exec, exec, s[78:79]
	s_and_saveexec_b64 s[78:79], s[42:43]
	s_cbranch_execnz .LBB116_100
.LBB116_68:                             ;   in Loop: Header=BB116_45 Depth=1
	s_or_b64 exec, exec, s[78:79]
	s_and_saveexec_b64 s[78:79], s[44:45]
	s_cbranch_execnz .LBB116_101
.LBB116_69:                             ;   in Loop: Header=BB116_45 Depth=1
	s_or_b64 exec, exec, s[78:79]
	s_and_saveexec_b64 s[78:79], s[46:47]
	s_cbranch_execnz .LBB116_102
.LBB116_70:                             ;   in Loop: Header=BB116_45 Depth=1
	s_or_b64 exec, exec, s[78:79]
	s_and_saveexec_b64 s[78:79], s[48:49]
	s_cbranch_execnz .LBB116_103
.LBB116_71:                             ;   in Loop: Header=BB116_45 Depth=1
	s_or_b64 exec, exec, s[78:79]
	s_and_saveexec_b64 s[78:79], s[50:51]
	s_cbranch_execnz .LBB116_104
.LBB116_72:                             ;   in Loop: Header=BB116_45 Depth=1
	s_or_b64 exec, exec, s[78:79]
	s_and_saveexec_b64 s[78:79], s[52:53]
	s_cbranch_execnz .LBB116_105
.LBB116_73:                             ;   in Loop: Header=BB116_45 Depth=1
	s_or_b64 exec, exec, s[78:79]
	s_and_saveexec_b64 s[78:79], s[54:55]
	s_cbranch_execnz .LBB116_106
.LBB116_74:                             ;   in Loop: Header=BB116_45 Depth=1
	s_or_b64 exec, exec, s[78:79]
	s_and_saveexec_b64 s[78:79], s[56:57]
	s_cbranch_execnz .LBB116_107
.LBB116_75:                             ;   in Loop: Header=BB116_45 Depth=1
	s_or_b64 exec, exec, s[78:79]
	s_and_saveexec_b64 s[78:79], s[58:59]
	s_cbranch_execnz .LBB116_108
.LBB116_76:                             ;   in Loop: Header=BB116_45 Depth=1
	s_or_b64 exec, exec, s[78:79]
	v_ashrrev_i32_e32 v13, 31, v12
	s_and_saveexec_b64 s[78:79], s[64:65]
	s_cbranch_execnz .LBB116_109
.LBB116_77:                             ;   in Loop: Header=BB116_45 Depth=1
	s_or_b64 exec, exec, s[78:79]
	s_and_saveexec_b64 s[64:65], vcc
	s_cbranch_execz .LBB116_44
	s_branch .LBB116_110
.LBB116_78:                             ;   in Loop: Header=BB116_45 Depth=1
	v_readlane_b32 s82, v40, 10
	s_nop 1
	v_mov_b32_e32 v2, s82
	ds_read_b32 v2, v2
	s_waitcnt lgkmcnt(0)
	v_add_u32_e32 v12, v2, v12
	s_or_b64 exec, exec, s[78:79]
	s_and_saveexec_b64 s[78:79], s[62:63]
	s_cbranch_execz .LBB116_47
.LBB116_79:                             ;   in Loop: Header=BB116_45 Depth=1
	v_readlane_b32 s82, v40, 11
	s_nop 1
	v_mov_b32_e32 v2, s82
	ds_read_b32 v2, v2
	s_waitcnt lgkmcnt(0)
	v_add_u32_e32 v12, v12, v2
	s_or_b64 exec, exec, s[78:79]
	s_and_saveexec_b64 s[78:79], s[0:1]
	s_cbranch_execz .LBB116_48
.LBB116_80:                             ;   in Loop: Header=BB116_45 Depth=1
	v_readlane_b32 s82, v40, 12
	s_nop 1
	v_mov_b32_e32 v2, s82
	ds_read_b32 v2, v2
	s_waitcnt lgkmcnt(0)
	v_add_u32_e32 v12, v12, v2
	s_or_b64 exec, exec, s[78:79]
	s_and_saveexec_b64 s[78:79], s[2:3]
	s_cbranch_execz .LBB116_49
.LBB116_81:                             ;   in Loop: Header=BB116_45 Depth=1
	v_readlane_b32 s82, v40, 13
	s_nop 1
	v_mov_b32_e32 v2, s82
	ds_read_b32 v2, v2
	s_waitcnt lgkmcnt(0)
	v_add_u32_e32 v12, v12, v2
	s_or_b64 exec, exec, s[78:79]
	s_and_saveexec_b64 s[78:79], s[4:5]
	s_cbranch_execz .LBB116_50
.LBB116_82:                             ;   in Loop: Header=BB116_45 Depth=1
	v_mov_b32_e32 v2, s81
	ds_read_b32 v2, v2
	s_waitcnt lgkmcnt(0)
	v_add_u32_e32 v12, v12, v2
	s_or_b64 exec, exec, s[78:79]
	s_and_saveexec_b64 s[78:79], s[6:7]
	s_cbranch_execz .LBB116_51
.LBB116_83:                             ;   in Loop: Header=BB116_45 Depth=1
	v_readlane_b32 s82, v40, 14
	s_nop 1
	v_mov_b32_e32 v2, s82
	ds_read_b32 v2, v2
	s_waitcnt lgkmcnt(0)
	v_add_u32_e32 v12, v12, v2
	s_or_b64 exec, exec, s[78:79]
	s_and_saveexec_b64 s[78:79], s[8:9]
	s_cbranch_execz .LBB116_52
.LBB116_84:                             ;   in Loop: Header=BB116_45 Depth=1
	v_mov_b32_e32 v2, s84
	ds_read_b32 v2, v2
	s_waitcnt lgkmcnt(0)
	v_add_u32_e32 v12, v12, v2
	s_or_b64 exec, exec, s[78:79]
	s_and_saveexec_b64 s[78:79], s[10:11]
	s_cbranch_execz .LBB116_53
.LBB116_85:                             ;   in Loop: Header=BB116_45 Depth=1
	v_mov_b32_e32 v2, s85
	ds_read_b32 v2, v2
	s_waitcnt lgkmcnt(0)
	v_add_u32_e32 v12, v12, v2
	s_or_b64 exec, exec, s[78:79]
	s_and_saveexec_b64 s[78:79], s[12:13]
	s_cbranch_execz .LBB116_54
.LBB116_86:                             ;   in Loop: Header=BB116_45 Depth=1
	v_mov_b32_e32 v2, s86
	ds_read_b32 v2, v2
	s_waitcnt lgkmcnt(0)
	v_add_u32_e32 v12, v12, v2
	s_or_b64 exec, exec, s[78:79]
	s_and_saveexec_b64 s[78:79], s[14:15]
	s_cbranch_execz .LBB116_55
.LBB116_87:                             ;   in Loop: Header=BB116_45 Depth=1
	v_mov_b32_e32 v2, s87
	ds_read_b32 v2, v2
	s_waitcnt lgkmcnt(0)
	v_add_u32_e32 v12, v12, v2
	s_or_b64 exec, exec, s[78:79]
	s_and_saveexec_b64 s[78:79], s[16:17]
	s_cbranch_execz .LBB116_56
.LBB116_88:                             ;   in Loop: Header=BB116_45 Depth=1
	v_mov_b32_e32 v2, s88
	ds_read_b32 v2, v2
	s_waitcnt lgkmcnt(0)
	v_add_u32_e32 v12, v12, v2
	s_or_b64 exec, exec, s[78:79]
	s_and_saveexec_b64 s[78:79], s[18:19]
	s_cbranch_execz .LBB116_57
.LBB116_89:                             ;   in Loop: Header=BB116_45 Depth=1
	v_mov_b32_e32 v2, s89
	ds_read_b32 v2, v2
	s_waitcnt lgkmcnt(0)
	v_add_u32_e32 v12, v12, v2
	s_or_b64 exec, exec, s[78:79]
	s_and_saveexec_b64 s[78:79], s[20:21]
	s_cbranch_execz .LBB116_58
.LBB116_90:                             ;   in Loop: Header=BB116_45 Depth=1
	v_mov_b32_e32 v2, s90
	ds_read_b32 v2, v2
	s_waitcnt lgkmcnt(0)
	v_add_u32_e32 v12, v12, v2
	s_or_b64 exec, exec, s[78:79]
	s_and_saveexec_b64 s[78:79], s[22:23]
	s_cbranch_execz .LBB116_59
.LBB116_91:                             ;   in Loop: Header=BB116_45 Depth=1
	v_mov_b32_e32 v2, s91
	ds_read_b32 v2, v2
	s_waitcnt lgkmcnt(0)
	v_add_u32_e32 v12, v12, v2
	s_or_b64 exec, exec, s[78:79]
	s_and_saveexec_b64 s[78:79], s[24:25]
	s_cbranch_execz .LBB116_60
.LBB116_92:                             ;   in Loop: Header=BB116_45 Depth=1
	v_mov_b32_e32 v2, s92
	ds_read_b32 v2, v2
	s_waitcnt lgkmcnt(0)
	v_add_u32_e32 v12, v12, v2
	s_or_b64 exec, exec, s[78:79]
	s_and_saveexec_b64 s[78:79], s[26:27]
	s_cbranch_execz .LBB116_61
.LBB116_93:                             ;   in Loop: Header=BB116_45 Depth=1
	v_mov_b32_e32 v2, s93
	ds_read_b32 v2, v2
	s_waitcnt lgkmcnt(0)
	v_add_u32_e32 v12, v12, v2
	s_or_b64 exec, exec, s[78:79]
	s_and_saveexec_b64 s[78:79], s[28:29]
	s_cbranch_execz .LBB116_62
.LBB116_94:                             ;   in Loop: Header=BB116_45 Depth=1
	v_mov_b32_e32 v2, s94
	ds_read_b32 v2, v2
	s_waitcnt lgkmcnt(0)
	v_add_u32_e32 v12, v12, v2
	s_or_b64 exec, exec, s[78:79]
	s_and_saveexec_b64 s[78:79], s[30:31]
	s_cbranch_execz .LBB116_63
.LBB116_95:                             ;   in Loop: Header=BB116_45 Depth=1
	v_mov_b32_e32 v2, s95
	ds_read_b32 v2, v2
	s_waitcnt lgkmcnt(0)
	v_add_u32_e32 v12, v12, v2
	s_or_b64 exec, exec, s[78:79]
	s_and_saveexec_b64 s[78:79], s[34:35]
	s_cbranch_execz .LBB116_64
.LBB116_96:                             ;   in Loop: Header=BB116_45 Depth=1
	v_mov_b32_e32 v2, s96
	ds_read_b32 v2, v2
	s_waitcnt lgkmcnt(0)
	v_add_u32_e32 v12, v12, v2
	s_or_b64 exec, exec, s[78:79]
	s_and_saveexec_b64 s[78:79], s[36:37]
	s_cbranch_execz .LBB116_65
.LBB116_97:                             ;   in Loop: Header=BB116_45 Depth=1
	v_mov_b32_e32 v2, s97
	ds_read_b32 v2, v2
	s_waitcnt lgkmcnt(0)
	v_add_u32_e32 v12, v12, v2
	s_or_b64 exec, exec, s[78:79]
	s_and_saveexec_b64 s[78:79], s[38:39]
	s_cbranch_execz .LBB116_66
.LBB116_98:                             ;   in Loop: Header=BB116_45 Depth=1
	v_mov_b32_e32 v2, s98
	ds_read_b32 v2, v2
	s_waitcnt lgkmcnt(0)
	v_add_u32_e32 v12, v12, v2
	s_or_b64 exec, exec, s[78:79]
	s_and_saveexec_b64 s[78:79], s[40:41]
	s_cbranch_execz .LBB116_67
.LBB116_99:                             ;   in Loop: Header=BB116_45 Depth=1
	v_mov_b32_e32 v2, s99
	ds_read_b32 v2, v2
	s_waitcnt lgkmcnt(0)
	v_add_u32_e32 v12, v12, v2
	s_or_b64 exec, exec, s[78:79]
	s_and_saveexec_b64 s[78:79], s[42:43]
	s_cbranch_execz .LBB116_68
.LBB116_100:                            ;   in Loop: Header=BB116_45 Depth=1
	v_mov_b32_e32 v2, s70
	ds_read_b32 v2, v2
	s_waitcnt lgkmcnt(0)
	v_add_u32_e32 v12, v12, v2
	s_or_b64 exec, exec, s[78:79]
	s_and_saveexec_b64 s[78:79], s[44:45]
	s_cbranch_execz .LBB116_69
.LBB116_101:                            ;   in Loop: Header=BB116_45 Depth=1
	v_mov_b32_e32 v2, s71
	ds_read_b32 v2, v2
	s_waitcnt lgkmcnt(0)
	v_add_u32_e32 v12, v12, v2
	s_or_b64 exec, exec, s[78:79]
	s_and_saveexec_b64 s[78:79], s[46:47]
	s_cbranch_execz .LBB116_70
.LBB116_102:                            ;   in Loop: Header=BB116_45 Depth=1
	v_mov_b32_e32 v2, s74
	ds_read_b32 v2, v2
	s_waitcnt lgkmcnt(0)
	v_add_u32_e32 v12, v12, v2
	s_or_b64 exec, exec, s[78:79]
	s_and_saveexec_b64 s[78:79], s[48:49]
	s_cbranch_execz .LBB116_71
.LBB116_103:                            ;   in Loop: Header=BB116_45 Depth=1
	v_mov_b32_e32 v2, s75
	ds_read_b32 v2, v2
	s_waitcnt lgkmcnt(0)
	v_add_u32_e32 v12, v12, v2
	s_or_b64 exec, exec, s[78:79]
	s_and_saveexec_b64 s[78:79], s[50:51]
	s_cbranch_execz .LBB116_72
.LBB116_104:                            ;   in Loop: Header=BB116_45 Depth=1
	v_mov_b32_e32 v2, s66
	ds_read_b32 v2, v2
	s_waitcnt lgkmcnt(0)
	v_add_u32_e32 v12, v12, v2
	s_or_b64 exec, exec, s[78:79]
	s_and_saveexec_b64 s[78:79], s[52:53]
	s_cbranch_execz .LBB116_73
.LBB116_105:                            ;   in Loop: Header=BB116_45 Depth=1
	v_mov_b32_e32 v2, s68
	ds_read_b32 v2, v2
	s_waitcnt lgkmcnt(0)
	v_add_u32_e32 v12, v12, v2
	s_or_b64 exec, exec, s[78:79]
	s_and_saveexec_b64 s[78:79], s[54:55]
	s_cbranch_execz .LBB116_74
.LBB116_106:                            ;   in Loop: Header=BB116_45 Depth=1
	v_mov_b32_e32 v2, s69
	ds_read_b32 v2, v2
	s_waitcnt lgkmcnt(0)
	v_add_u32_e32 v12, v12, v2
	s_or_b64 exec, exec, s[78:79]
	s_and_saveexec_b64 s[78:79], s[56:57]
	s_cbranch_execz .LBB116_75
.LBB116_107:                            ;   in Loop: Header=BB116_45 Depth=1
	v_mov_b32_e32 v2, s33
	ds_read_b32 v2, v2
	s_waitcnt lgkmcnt(0)
	v_add_u32_e32 v12, v12, v2
	s_or_b64 exec, exec, s[78:79]
	s_and_saveexec_b64 s[78:79], s[58:59]
	s_cbranch_execz .LBB116_76
.LBB116_108:                            ;   in Loop: Header=BB116_45 Depth=1
	v_mov_b32_e32 v2, s67
	ds_read_b32 v2, v2
	s_waitcnt lgkmcnt(0)
	v_add_u32_e32 v12, v12, v2
	s_or_b64 exec, exec, s[78:79]
	v_ashrrev_i32_e32 v13, 31, v12
	s_and_saveexec_b64 s[78:79], s[64:65]
	s_cbranch_execz .LBB116_77
.LBB116_109:                            ;   in Loop: Header=BB116_45 Depth=1
	v_add3_u32 v2, v6, -1, v12
	v_lshl_add_u32 v2, v2, 3, 0
	v_add_u32_e32 v15, 0x40000, v2
	ds_write_b64 v2, v[8:9]
	ds_write_b64 v15, v[10:11]
	s_or_b64 exec, exec, s[78:79]
	s_and_saveexec_b64 s[64:65], vcc
	s_cbranch_execz .LBB116_44
.LBB116_110:                            ;   in Loop: Header=BB116_45 Depth=1
	v_mov_b32_e32 v2, s80
	ds_write_b64 v2, v[12:13]
	s_branch .LBB116_44
.LBB116_111:
	s_or_b64 exec, exec, s[76:77]
	v_readlane_b32 s0, v40, 4
	v_readlane_b32 s1, v40, 5
	s_lshl_b64 s[0:1], s[0:1], 3
	v_readlane_b32 s2, v40, 2
	v_readlane_b32 s3, v40, 3
	s_add_u32 s4, s2, s0
	s_addc_u32 s5, s3, s1
	s_load_dwordx4 s[0:3], s[4:5], 0x0
	v_mov_b32_e32 v1, 0
	s_waitcnt lgkmcnt(0)
	s_sub_u32 s4, s2, s0
	s_subb_u32 s5, s3, s1
	v_cmp_gt_i64_e32 vcc, s[4:5], v[0:1]
	s_and_saveexec_b64 s[6:7], vcc
	s_cbranch_execz .LBB116_121
; %bb.112:
	v_readlane_b32 s8, v40, 6
	v_readlane_b32 s10, v40, 8
	;; [unrolled: 1-line block ×3, first 2 shown]
	s_sub_u32 s8, s0, s10
	s_subb_u32 s9, s1, 0
	s_and_b32 s6, s4, 7
	s_sub_u32 s0, s0, s2
	s_mov_b32 s7, 0
	s_subb_u32 s1, s1, s3
	s_and_b32 s10, s4, -8
	s_cmp_lg_u64 s[6:7], 0
	v_cmp_lt_u64_e64 s[0:1], s[0:1], -7
	s_cselect_b64 s[2:3], -1, 0
	v_readlane_b32 s11, v40, 9
	v_cndmask_b32_e64 v2, 0, 1, s[0:1]
	v_cmp_ne_u32_e64 s[0:1], 1, v2
	v_cndmask_b32_e64 v2, 0, 1, s[2:3]
	s_mov_b32 s11, s5
	s_mov_b64 s[12:13], 0
	v_cmp_ne_u32_e64 s[2:3], 1, v2
	s_mov_b64 s[14:15], 0x400
	s_branch .LBB116_114
.LBB116_113:                            ;   in Loop: Header=BB116_114 Depth=1
	v_readlane_b32 s16, v40, 0
	v_lshl_add_u64 v[0:1], v[0:1], 0, s[14:15]
	v_readlane_b32 s17, v40, 1
	v_cmp_le_i64_e32 vcc, s[4:5], v[0:1]
	s_or_b64 s[12:13], vcc, s[12:13]
	s_waitcnt lgkmcnt(1)
	v_lshl_add_u64 v[4:5], v[6:7], 3, s[16:17]
	s_waitcnt lgkmcnt(0)
	global_store_dwordx2 v[4:5], v[2:3], off
	s_andn2_b64 exec, exec, s[12:13]
	s_cbranch_execz .LBB116_121
.LBB116_114:                            ; =>This Loop Header: Depth=1
                                        ;     Child Loop BB116_116 Depth 2
                                        ;     Child Loop BB116_120 Depth 2
	v_lshl_add_u32 v2, v0, 3, 0
	v_add_u32_e32 v3, 0x40000, v2
	ds_read_b64 v[4:5], v2
	ds_read_b64 v[2:3], v3
	s_and_b64 vcc, exec, s[0:1]
	v_mov_b64_e32 v[6:7], s[8:9]
	s_mov_b64 s[16:17], 0
	s_cbranch_vccnz .LBB116_118
; %bb.115:                              ;   in Loop: Header=BB116_114 Depth=1
	s_mov_b32 s18, 0
	v_mov_b64_e32 v[6:7], s[8:9]
.LBB116_116:                            ;   Parent Loop BB116_114 Depth=1
                                        ; =>  This Inner Loop Header: Depth=2
	v_mov_b32_e32 v20, s18
	ds_read2_b64 v[8:11], v20 offset1:1
	ds_read2_b64 v[12:15], v20 offset0:2 offset1:3
	ds_read2_b64 v[16:19], v20 offset0:4 offset1:5
	;; [unrolled: 1-line block ×3, first 2 shown]
	v_mov_b32_e32 v25, s7
	s_waitcnt lgkmcnt(3)
	v_cmp_gt_i64_e32 vcc, v[4:5], v[8:9]
	v_mov_b32_e32 v27, s7
	v_mov_b32_e32 v29, s7
	v_cndmask_b32_e64 v24, 0, 1, vcc
	v_cmp_gt_i64_e32 vcc, v[4:5], v[10:11]
	v_lshl_add_u64 v[6:7], v[6:7], 0, v[24:25]
	v_mov_b32_e32 v31, s7
	v_cndmask_b32_e64 v26, 0, 1, vcc
	s_waitcnt lgkmcnt(2)
	v_cmp_gt_i64_e32 vcc, v[4:5], v[12:13]
	v_lshl_add_u64 v[6:7], v[6:7], 0, v[26:27]
	v_mov_b32_e32 v33, s7
	v_cndmask_b32_e64 v28, 0, 1, vcc
	v_cmp_gt_i64_e32 vcc, v[4:5], v[14:15]
	v_lshl_add_u64 v[6:7], v[6:7], 0, v[28:29]
	v_mov_b32_e32 v35, s7
	v_cndmask_b32_e64 v30, 0, 1, vcc
	s_waitcnt lgkmcnt(1)
	v_cmp_gt_i64_e32 vcc, v[4:5], v[16:17]
	v_lshl_add_u64 v[6:7], v[6:7], 0, v[30:31]
	v_mov_b32_e32 v37, s7
	v_cndmask_b32_e64 v32, 0, 1, vcc
	v_cmp_gt_i64_e32 vcc, v[4:5], v[18:19]
	v_lshl_add_u64 v[6:7], v[6:7], 0, v[32:33]
	s_add_u32 s16, s16, 8
	v_cndmask_b32_e64 v34, 0, 1, vcc
	s_waitcnt lgkmcnt(0)
	v_cmp_gt_i64_e32 vcc, v[4:5], v[20:21]
	v_lshl_add_u64 v[6:7], v[6:7], 0, v[34:35]
	v_mov_b32_e32 v39, s7
	v_cndmask_b32_e64 v36, 0, 1, vcc
	v_cmp_gt_i64_e32 vcc, v[4:5], v[22:23]
	s_addc_u32 s17, s17, 0
	s_add_i32 s18, s18, 64
	v_cndmask_b32_e64 v38, 0, 1, vcc
	v_lshl_add_u64 v[6:7], v[6:7], 0, v[36:37]
	s_cmp_eq_u64 s[10:11], s[16:17]
	v_lshl_add_u64 v[6:7], v[6:7], 0, v[38:39]
	s_cbranch_scc0 .LBB116_116
; %bb.117:                              ;   in Loop: Header=BB116_114 Depth=1
	s_mov_b64 s[16:17], s[10:11]
.LBB116_118:                            ;   in Loop: Header=BB116_114 Depth=1
	s_and_b64 vcc, exec, s[2:3]
	s_cbranch_vccnz .LBB116_113
; %bb.119:                              ;   in Loop: Header=BB116_114 Depth=1
	s_lshl_b32 s16, s16, 3
	s_add_i32 s18, s16, 0
	s_mov_b64 s[16:17], s[6:7]
.LBB116_120:                            ;   Parent Loop BB116_114 Depth=1
                                        ; =>  This Inner Loop Header: Depth=2
	v_mov_b32_e32 v8, s18
	ds_read_b64 v[10:11], v8
	s_add_i32 s18, s18, 8
	s_add_u32 s16, s16, -1
	v_mov_b32_e32 v9, s7
	s_addc_u32 s17, s17, -1
	s_waitcnt lgkmcnt(0)
	v_cmp_gt_i64_e32 vcc, v[4:5], v[10:11]
	s_cmp_lg_u64 s[16:17], 0
	s_nop 0
	v_cndmask_b32_e64 v8, 0, 1, vcc
	v_lshl_add_u64 v[6:7], v[6:7], 0, v[8:9]
	s_cbranch_scc1 .LBB116_120
	s_branch .LBB116_113
.LBB116_121:
	s_endpgm
	.section	.rodata,"a",@progbits
	.p2align	6, 0x0
	.amdhsa_kernel _ZN9rocsparseL41csrgemm_numeric_fill_block_per_row_kernelILj1024ELj64ELj32768ELj137ELj32ElldEEvT5_PKS1_S3_NS_24const_host_device_scalarIT6_EEPKT4_S3_PKS5_S9_S3_SB_S6_S9_S3_SB_S9_S3_PS5_21rocsparse_index_base_SD_SD_SD_bbb
		.amdhsa_group_segment_fixed_size 0
		.amdhsa_private_segment_fixed_size 0
		.amdhsa_kernarg_size 156
		.amdhsa_user_sgpr_count 2
		.amdhsa_user_sgpr_dispatch_ptr 0
		.amdhsa_user_sgpr_queue_ptr 0
		.amdhsa_user_sgpr_kernarg_segment_ptr 1
		.amdhsa_user_sgpr_dispatch_id 0
		.amdhsa_user_sgpr_kernarg_preload_length 0
		.amdhsa_user_sgpr_kernarg_preload_offset 0
		.amdhsa_user_sgpr_private_segment_size 0
		.amdhsa_uses_dynamic_stack 0
		.amdhsa_enable_private_segment 0
		.amdhsa_system_sgpr_workgroup_id_x 1
		.amdhsa_system_sgpr_workgroup_id_y 0
		.amdhsa_system_sgpr_workgroup_id_z 0
		.amdhsa_system_sgpr_workgroup_info 0
		.amdhsa_system_vgpr_workitem_id 0
		.amdhsa_next_free_vgpr 41
		.amdhsa_next_free_sgpr 100
		.amdhsa_accum_offset 44
		.amdhsa_reserve_vcc 1
		.amdhsa_float_round_mode_32 0
		.amdhsa_float_round_mode_16_64 0
		.amdhsa_float_denorm_mode_32 3
		.amdhsa_float_denorm_mode_16_64 3
		.amdhsa_dx10_clamp 1
		.amdhsa_ieee_mode 1
		.amdhsa_fp16_overflow 0
		.amdhsa_tg_split 0
		.amdhsa_exception_fp_ieee_invalid_op 0
		.amdhsa_exception_fp_denorm_src 0
		.amdhsa_exception_fp_ieee_div_zero 0
		.amdhsa_exception_fp_ieee_overflow 0
		.amdhsa_exception_fp_ieee_underflow 0
		.amdhsa_exception_fp_ieee_inexact 0
		.amdhsa_exception_int_div_zero 0
	.end_amdhsa_kernel
	.section	.text._ZN9rocsparseL41csrgemm_numeric_fill_block_per_row_kernelILj1024ELj64ELj32768ELj137ELj32ElldEEvT5_PKS1_S3_NS_24const_host_device_scalarIT6_EEPKT4_S3_PKS5_S9_S3_SB_S6_S9_S3_SB_S9_S3_PS5_21rocsparse_index_base_SD_SD_SD_bbb,"axG",@progbits,_ZN9rocsparseL41csrgemm_numeric_fill_block_per_row_kernelILj1024ELj64ELj32768ELj137ELj32ElldEEvT5_PKS1_S3_NS_24const_host_device_scalarIT6_EEPKT4_S3_PKS5_S9_S3_SB_S6_S9_S3_SB_S9_S3_PS5_21rocsparse_index_base_SD_SD_SD_bbb,comdat
.Lfunc_end116:
	.size	_ZN9rocsparseL41csrgemm_numeric_fill_block_per_row_kernelILj1024ELj64ELj32768ELj137ELj32ElldEEvT5_PKS1_S3_NS_24const_host_device_scalarIT6_EEPKT4_S3_PKS5_S9_S3_SB_S6_S9_S3_SB_S9_S3_PS5_21rocsparse_index_base_SD_SD_SD_bbb, .Lfunc_end116-_ZN9rocsparseL41csrgemm_numeric_fill_block_per_row_kernelILj1024ELj64ELj32768ELj137ELj32ElldEEvT5_PKS1_S3_NS_24const_host_device_scalarIT6_EEPKT4_S3_PKS5_S9_S3_SB_S6_S9_S3_SB_S9_S3_PS5_21rocsparse_index_base_SD_SD_SD_bbb
                                        ; -- End function
	.set _ZN9rocsparseL41csrgemm_numeric_fill_block_per_row_kernelILj1024ELj64ELj32768ELj137ELj32ElldEEvT5_PKS1_S3_NS_24const_host_device_scalarIT6_EEPKT4_S3_PKS5_S9_S3_SB_S6_S9_S3_SB_S9_S3_PS5_21rocsparse_index_base_SD_SD_SD_bbb.num_vgpr, 41
	.set _ZN9rocsparseL41csrgemm_numeric_fill_block_per_row_kernelILj1024ELj64ELj32768ELj137ELj32ElldEEvT5_PKS1_S3_NS_24const_host_device_scalarIT6_EEPKT4_S3_PKS5_S9_S3_SB_S6_S9_S3_SB_S9_S3_PS5_21rocsparse_index_base_SD_SD_SD_bbb.num_agpr, 0
	.set _ZN9rocsparseL41csrgemm_numeric_fill_block_per_row_kernelILj1024ELj64ELj32768ELj137ELj32ElldEEvT5_PKS1_S3_NS_24const_host_device_scalarIT6_EEPKT4_S3_PKS5_S9_S3_SB_S6_S9_S3_SB_S9_S3_PS5_21rocsparse_index_base_SD_SD_SD_bbb.numbered_sgpr, 100
	.set _ZN9rocsparseL41csrgemm_numeric_fill_block_per_row_kernelILj1024ELj64ELj32768ELj137ELj32ElldEEvT5_PKS1_S3_NS_24const_host_device_scalarIT6_EEPKT4_S3_PKS5_S9_S3_SB_S6_S9_S3_SB_S9_S3_PS5_21rocsparse_index_base_SD_SD_SD_bbb.num_named_barrier, 0
	.set _ZN9rocsparseL41csrgemm_numeric_fill_block_per_row_kernelILj1024ELj64ELj32768ELj137ELj32ElldEEvT5_PKS1_S3_NS_24const_host_device_scalarIT6_EEPKT4_S3_PKS5_S9_S3_SB_S6_S9_S3_SB_S9_S3_PS5_21rocsparse_index_base_SD_SD_SD_bbb.private_seg_size, 0
	.set _ZN9rocsparseL41csrgemm_numeric_fill_block_per_row_kernelILj1024ELj64ELj32768ELj137ELj32ElldEEvT5_PKS1_S3_NS_24const_host_device_scalarIT6_EEPKT4_S3_PKS5_S9_S3_SB_S6_S9_S3_SB_S9_S3_PS5_21rocsparse_index_base_SD_SD_SD_bbb.uses_vcc, 1
	.set _ZN9rocsparseL41csrgemm_numeric_fill_block_per_row_kernelILj1024ELj64ELj32768ELj137ELj32ElldEEvT5_PKS1_S3_NS_24const_host_device_scalarIT6_EEPKT4_S3_PKS5_S9_S3_SB_S6_S9_S3_SB_S9_S3_PS5_21rocsparse_index_base_SD_SD_SD_bbb.uses_flat_scratch, 0
	.set _ZN9rocsparseL41csrgemm_numeric_fill_block_per_row_kernelILj1024ELj64ELj32768ELj137ELj32ElldEEvT5_PKS1_S3_NS_24const_host_device_scalarIT6_EEPKT4_S3_PKS5_S9_S3_SB_S6_S9_S3_SB_S9_S3_PS5_21rocsparse_index_base_SD_SD_SD_bbb.has_dyn_sized_stack, 0
	.set _ZN9rocsparseL41csrgemm_numeric_fill_block_per_row_kernelILj1024ELj64ELj32768ELj137ELj32ElldEEvT5_PKS1_S3_NS_24const_host_device_scalarIT6_EEPKT4_S3_PKS5_S9_S3_SB_S6_S9_S3_SB_S9_S3_PS5_21rocsparse_index_base_SD_SD_SD_bbb.has_recursion, 0
	.set _ZN9rocsparseL41csrgemm_numeric_fill_block_per_row_kernelILj1024ELj64ELj32768ELj137ELj32ElldEEvT5_PKS1_S3_NS_24const_host_device_scalarIT6_EEPKT4_S3_PKS5_S9_S3_SB_S6_S9_S3_SB_S9_S3_PS5_21rocsparse_index_base_SD_SD_SD_bbb.has_indirect_call, 0
	.section	.AMDGPU.csdata,"",@progbits
; Kernel info:
; codeLenInByte = 4700
; TotalNumSgprs: 106
; NumVgprs: 41
; NumAgprs: 0
; TotalNumVgprs: 41
; ScratchSize: 0
; MemoryBound: 0
; FloatMode: 240
; IeeeMode: 1
; LDSByteSize: 0 bytes/workgroup (compile time only)
; SGPRBlocks: 13
; VGPRBlocks: 5
; NumSGPRsForWavesPerEU: 106
; NumVGPRsForWavesPerEU: 41
; AccumOffset: 44
; Occupancy: 7
; WaveLimiterHint : 1
; COMPUTE_PGM_RSRC2:SCRATCH_EN: 0
; COMPUTE_PGM_RSRC2:USER_SGPR: 2
; COMPUTE_PGM_RSRC2:TRAP_HANDLER: 0
; COMPUTE_PGM_RSRC2:TGID_X_EN: 1
; COMPUTE_PGM_RSRC2:TGID_Y_EN: 0
; COMPUTE_PGM_RSRC2:TGID_Z_EN: 0
; COMPUTE_PGM_RSRC2:TIDIG_COMP_CNT: 0
; COMPUTE_PGM_RSRC3_GFX90A:ACCUM_OFFSET: 10
; COMPUTE_PGM_RSRC3_GFX90A:TG_SPLIT: 0
	.section	.text._ZN9rocsparseL41csrgemm_numeric_fill_block_per_row_kernelILj1024ELj64ELj32768ELj137ELj64ElldEEvT5_PKS1_S3_NS_24const_host_device_scalarIT6_EEPKT4_S3_PKS5_S9_S3_SB_S6_S9_S3_SB_S9_S3_PS5_21rocsparse_index_base_SD_SD_SD_bbb,"axG",@progbits,_ZN9rocsparseL41csrgemm_numeric_fill_block_per_row_kernelILj1024ELj64ELj32768ELj137ELj64ElldEEvT5_PKS1_S3_NS_24const_host_device_scalarIT6_EEPKT4_S3_PKS5_S9_S3_SB_S6_S9_S3_SB_S9_S3_PS5_21rocsparse_index_base_SD_SD_SD_bbb,comdat
	.globl	_ZN9rocsparseL41csrgemm_numeric_fill_block_per_row_kernelILj1024ELj64ELj32768ELj137ELj64ElldEEvT5_PKS1_S3_NS_24const_host_device_scalarIT6_EEPKT4_S3_PKS5_S9_S3_SB_S6_S9_S3_SB_S9_S3_PS5_21rocsparse_index_base_SD_SD_SD_bbb ; -- Begin function _ZN9rocsparseL41csrgemm_numeric_fill_block_per_row_kernelILj1024ELj64ELj32768ELj137ELj64ElldEEvT5_PKS1_S3_NS_24const_host_device_scalarIT6_EEPKT4_S3_PKS5_S9_S3_SB_S6_S9_S3_SB_S9_S3_PS5_21rocsparse_index_base_SD_SD_SD_bbb
	.p2align	8
	.type	_ZN9rocsparseL41csrgemm_numeric_fill_block_per_row_kernelILj1024ELj64ELj32768ELj137ELj64ElldEEvT5_PKS1_S3_NS_24const_host_device_scalarIT6_EEPKT4_S3_PKS5_S9_S3_SB_S6_S9_S3_SB_S9_S3_PS5_21rocsparse_index_base_SD_SD_SD_bbb,@function
_ZN9rocsparseL41csrgemm_numeric_fill_block_per_row_kernelILj1024ELj64ELj32768ELj137ELj64ElldEEvT5_PKS1_S3_NS_24const_host_device_scalarIT6_EEPKT4_S3_PKS5_S9_S3_SB_S6_S9_S3_SB_S9_S3_PS5_21rocsparse_index_base_SD_SD_SD_bbb: ; @_ZN9rocsparseL41csrgemm_numeric_fill_block_per_row_kernelILj1024ELj64ELj32768ELj137ELj64ElldEEvT5_PKS1_S3_NS_24const_host_device_scalarIT6_EEPKT4_S3_PKS5_S9_S3_SB_S6_S9_S3_SB_S9_S3_PS5_21rocsparse_index_base_SD_SD_SD_bbb
; %bb.0:
	s_load_dword s3, s[0:1], 0x98
	s_load_dwordx4 s[36:39], s[0:1], 0x88
	s_load_dwordx2 s[4:5], s[0:1], 0x18
	s_load_dwordx2 s[12:13], s[0:1], 0x50
	s_waitcnt lgkmcnt(0)
	s_bitcmp1_b32 s3, 0
	s_cselect_b64 s[28:29], -1, 0
	s_bitcmp1_b32 s3, 16
	s_cselect_b64 s[14:15], -1, 0
	s_xor_b64 s[6:7], s[28:29], -1
	s_or_b64 s[6:7], s[14:15], s[6:7]
	s_and_b64 s[8:9], s[28:29], exec
	s_cselect_b32 s9, s5, 0
	s_cselect_b32 s8, s4, 0
	s_and_b64 vcc, exec, s[6:7]
	v_mov_b64_e32 v[4:5], s[8:9]
	s_cbranch_vccnz .LBB117_2
; %bb.1:
	v_mov_b64_e32 v[2:3], s[4:5]
	flat_load_dwordx2 v[4:5], v[2:3]
.LBB117_2:
	s_load_dwordx2 s[34:35], s[0:1], 0x80
	s_load_dwordx2 s[40:41], s[0:1], 0x70
	;; [unrolled: 1-line block ×3, first 2 shown]
	s_load_dwordx4 s[20:23], s[0:1], 0x8
	s_load_dwordx8 s[4:11], s[0:1], 0x20
	s_bitcmp1_b32 s3, 8
	s_cselect_b64 s[26:27], -1, 0
	s_xor_b64 s[16:17], s[26:27], -1
	s_or_b64 s[14:15], s[14:15], s[16:17]
	s_and_b64 s[16:17], s[26:27], exec
	s_cselect_b32 s17, s13, 0
	s_cselect_b32 s16, s12, 0
	s_and_b64 vcc, exec, s[14:15]
	v_mov_b64_e32 v[2:3], s[16:17]
	s_cbranch_vccnz .LBB117_4
; %bb.3:
	v_mov_b64_e32 v[2:3], s[12:13]
	flat_load_dwordx2 v[2:3], v[2:3]
.LBB117_4:
	s_load_dwordx4 s[12:15], s[0:1], 0x60
	s_load_dwordx4 s[16:19], s[0:1], 0x40
	s_load_dwordx2 s[42:43], s[0:1], 0x0
	v_or_b32_e32 v1, 0xfffffc00, v0
	v_mov_b32_e32 v6, 0
	v_lshl_add_u32 v26, v0, 3, 0
	s_mov_b64 s[0:1], 0
	s_waitcnt lgkmcnt(0)
	v_mov_b64_e32 v[10:11], s[42:43]
	v_mov_b32_e32 v7, v6
	s_movk_i32 s3, 0x7bff
	v_mov_b32_e32 v8, v26
	v_mov_b32_e32 v9, v1
.LBB117_5:                              ; =>This Inner Loop Header: Depth=1
	v_add_u32_e32 v9, 0x400, v9
	v_cmp_lt_u32_e32 vcc, s3, v9
	ds_write_b64 v8, v[10:11]
	v_add_u32_e32 v12, 0x40000, v8
	v_add_u32_e32 v8, 0x2000, v8
	s_or_b64 s[0:1], vcc, s[0:1]
	ds_write_b64 v12, v[6:7]
	s_andn2_b64 exec, exec, s[0:1]
	s_cbranch_execnz .LBB117_5
; %bb.6:
	s_or_b64 exec, exec, s[0:1]
	s_waitcnt lgkmcnt(0)
	s_barrier
	s_load_dwordx2 s[0:1], s[20:21], 0x0
	s_mov_b32 s3, 0
	v_lshrrev_b32_e32 v27, 6, v0
	s_waitcnt lgkmcnt(0)
	s_lshl_b64 s[0:1], s[0:1], 3
	s_add_u32 s20, s22, s0
	s_addc_u32 s21, s23, s1
	s_lshl_b64 s[0:1], s[2:3], 3
	s_add_u32 s0, s20, s0
	s_addc_u32 s1, s21, s1
	s_load_dwordx2 s[44:45], s[0:1], 0x0
	s_and_b64 vcc, exec, s[28:29]
	s_cbranch_vccz .LBB117_26
; %bb.7:
	s_waitcnt lgkmcnt(0)
	s_lshl_b64 s[0:1], s[44:45], 3
	s_add_u32 s0, s4, s0
	s_addc_u32 s1, s5, s1
	s_load_dwordx4 s[20:23], s[0:1], 0x0
	v_subrev_co_u32_e32 v6, vcc, s36, v27
	s_nop 1
	v_subb_co_u32_e64 v7, s[0:1], 0, 0, vcc
	s_waitcnt lgkmcnt(0)
	s_sub_u32 s0, s22, s36
	s_subb_u32 s1, s23, 0
	v_lshl_add_u64 v[6:7], s[20:21], 0, v[6:7]
	v_cmp_gt_i64_e32 vcc, s[0:1], v[6:7]
	s_and_saveexec_b64 s[2:3], vcc
	s_cbranch_execz .LBB117_25
; %bb.8:
	v_and_b32_e32 v8, 63, v0
	v_subrev_co_u32_e32 v8, vcc, s37, v8
	s_mov_b32 s33, s37
	s_nop 0
	v_subb_co_u32_e64 v9, s[4:5], 0, 0, vcc
	s_mov_b64 s[4:5], 0
	s_movk_i32 s37, 0x89
	s_branch .LBB117_10
.LBB117_9:                              ;   in Loop: Header=BB117_10 Depth=1
	s_or_b64 exec, exec, s[20:21]
	v_lshl_add_u64 v[6:7], v[6:7], 0, 16
	v_cmp_le_i64_e32 vcc, s[0:1], v[6:7]
	s_or_b64 s[4:5], vcc, s[4:5]
	s_andn2_b64 exec, exec, s[4:5]
	s_cbranch_execz .LBB117_25
.LBB117_10:                             ; =>This Loop Header: Depth=1
                                        ;     Child Loop BB117_14 Depth 2
                                        ;       Child Loop BB117_17 Depth 3
	v_lshl_add_u64 v[10:11], v[6:7], 3, s[6:7]
	global_load_dwordx2 v[10:11], v[10:11], off
	s_waitcnt vmcnt(0)
	v_subrev_co_u32_e32 v10, vcc, s36, v10
	s_nop 1
	v_subbrev_co_u32_e32 v11, vcc, 0, v11, vcc
	v_lshl_add_u64 v[10:11], v[10:11], 3, s[10:11]
	global_load_dwordx4 v[12:15], v[10:11], off
	s_waitcnt vmcnt(0)
	v_subrev_co_u32_e32 v10, vcc, s33, v14
	s_nop 1
	v_subbrev_co_u32_e32 v11, vcc, 0, v15, vcc
	v_lshl_add_u64 v[12:13], v[12:13], 0, v[8:9]
	v_cmp_lt_i64_e32 vcc, v[12:13], v[10:11]
	s_and_saveexec_b64 s[20:21], vcc
	s_cbranch_execz .LBB117_9
; %bb.11:                               ;   in Loop: Header=BB117_10 Depth=1
	v_lshl_add_u64 v[14:15], v[6:7], 3, s[8:9]
	global_load_dwordx2 v[14:15], v[14:15], off
	s_mov_b64 s[22:23], 0
	s_waitcnt vmcnt(0)
	v_mul_f64 v[14:15], v[4:5], v[14:15]
	s_branch .LBB117_14
.LBB117_12:                             ;   in Loop: Header=BB117_14 Depth=2
	s_or_b64 exec, exec, s[30:31]
.LBB117_13:                             ;   in Loop: Header=BB117_14 Depth=2
	s_or_b64 exec, exec, s[28:29]
	v_lshl_add_u32 v18, v20, 3, 0
	s_waitcnt vmcnt(0)
	v_mul_f64 v[16:17], v[14:15], v[16:17]
	v_add_u32_e32 v18, 0x40000, v18
	ds_add_f64 v18, v[16:17]
	v_lshl_add_u64 v[12:13], v[12:13], 0, 64
	v_cmp_ge_i64_e32 vcc, v[12:13], v[10:11]
	s_or_b64 s[22:23], vcc, s[22:23]
	s_andn2_b64 exec, exec, s[22:23]
	s_cbranch_execz .LBB117_9
.LBB117_14:                             ;   Parent Loop BB117_10 Depth=1
                                        ; =>  This Loop Header: Depth=2
                                        ;       Child Loop BB117_17 Depth 3
	v_lshlrev_b64 v[16:17], 3, v[12:13]
	v_lshl_add_u64 v[18:19], s[16:17], 0, v[16:17]
	global_load_dwordx2 v[18:19], v[18:19], off
	v_lshl_add_u64 v[16:17], s[18:19], 0, v[16:17]
	global_load_dwordx2 v[16:17], v[16:17], off
	s_waitcnt vmcnt(1)
	v_subrev_co_u32_e32 v18, vcc, s33, v18
	v_mul_lo_u32 v20, v18, s37
	v_and_b32_e32 v20, 0x7fff, v20
	v_lshl_add_u32 v28, v20, 3, 0
	ds_read_b64 v[24:25], v28
	v_subbrev_co_u32_e32 v19, vcc, 0, v19, vcc
	s_waitcnt lgkmcnt(0)
	v_cmp_ne_u64_e32 vcc, v[24:25], v[18:19]
	s_and_saveexec_b64 s[28:29], vcc
	s_cbranch_execz .LBB117_13
; %bb.15:                               ;   in Loop: Header=BB117_14 Depth=2
	s_mov_b64 s[30:31], 0
                                        ; implicit-def: $sgpr46_sgpr47
                                        ; implicit-def: $sgpr48_sgpr49
	s_branch .LBB117_17
.LBB117_16:                             ;   in Loop: Header=BB117_17 Depth=3
	s_or_b64 exec, exec, s[54:55]
	s_and_b64 s[50:51], exec, s[52:53]
	s_or_b64 s[30:31], s[50:51], s[30:31]
	s_andn2_b64 s[46:47], s[46:47], exec
	s_and_b64 s[50:51], s[48:49], exec
	s_or_b64 s[46:47], s[46:47], s[50:51]
	s_andn2_b64 exec, exec, s[30:31]
	s_cbranch_execz .LBB117_23
.LBB117_17:                             ;   Parent Loop BB117_10 Depth=1
                                        ;     Parent Loop BB117_14 Depth=2
                                        ; =>    This Inner Loop Header: Depth=3
	v_mov_b64_e32 v[22:23], v[20:21]
	v_cmp_ne_u64_e32 vcc, s[42:43], v[24:25]
	s_mov_b64 s[50:51], 0
                                        ; implicit-def: $vgpr20_vgpr21
	s_and_saveexec_b64 s[52:53], vcc
	s_xor_b64 s[52:53], exec, s[52:53]
; %bb.18:                               ;   in Loop: Header=BB117_17 Depth=3
	v_add_u32_e32 v20, 1, v22
	s_mov_b64 s[50:51], exec
	v_and_b32_e32 v20, 0x7fff, v20
                                        ; implicit-def: $vgpr28
; %bb.19:                               ;   in Loop: Header=BB117_17 Depth=3
	s_andn2_saveexec_b64 s[52:53], s[52:53]
	s_cbranch_execz .LBB117_21
; %bb.20:                               ;   in Loop: Header=BB117_17 Depth=3
	v_mov_b64_e32 v[20:21], s[42:43]
	ds_cmpst_rtn_b64 v[20:21], v28, v[20:21], v[18:19]
	s_andn2_b64 s[50:51], s[50:51], exec
	s_waitcnt lgkmcnt(0)
	v_cmp_ne_u64_e32 vcc, s[42:43], v[20:21]
	s_and_b64 s[54:55], vcc, exec
	s_or_b64 s[50:51], s[50:51], s[54:55]
	v_mov_b64_e32 v[20:21], v[22:23]
.LBB117_21:                             ;   in Loop: Header=BB117_17 Depth=3
	s_or_b64 exec, exec, s[52:53]
	s_mov_b64 s[52:53], -1
	s_or_b64 s[48:49], s[48:49], exec
                                        ; implicit-def: $vgpr28
                                        ; implicit-def: $vgpr24_vgpr25
	s_and_saveexec_b64 s[54:55], s[50:51]
	s_cbranch_execz .LBB117_16
; %bb.22:                               ;   in Loop: Header=BB117_17 Depth=3
	v_lshl_add_u32 v28, v20, 3, 0
	ds_read_b64 v[24:25], v28
	s_andn2_b64 s[48:49], s[48:49], exec
	s_waitcnt lgkmcnt(0)
	v_cmp_eq_u64_e32 vcc, v[24:25], v[18:19]
	s_orn2_b64 s[52:53], vcc, exec
	s_branch .LBB117_16
.LBB117_23:                             ;   in Loop: Header=BB117_14 Depth=2
	s_or_b64 exec, exec, s[30:31]
	s_and_saveexec_b64 s[30:31], s[46:47]
	s_xor_b64 s[30:31], exec, s[30:31]
	s_cbranch_execz .LBB117_12
; %bb.24:                               ;   in Loop: Header=BB117_14 Depth=2
	v_mov_b32_e32 v20, v22
	s_branch .LBB117_12
.LBB117_25:
	s_or_b64 exec, exec, s[2:3]
.LBB117_26:
	s_andn2_b64 vcc, exec, s[26:27]
	s_cbranch_vccnz .LBB117_43
; %bb.27:
	s_waitcnt lgkmcnt(0)
	s_lshl_b64 s[0:1], s[44:45], 3
	s_add_u32 s0, s24, s0
	s_addc_u32 s1, s25, s1
	s_load_dwordx4 s[4:7], s[0:1], 0x0
	s_waitcnt vmcnt(0)
	v_subrev_co_u32_e32 v4, vcc, s39, v0
	s_waitcnt lgkmcnt(0)
	s_sub_u32 s0, s6, s39
	v_subb_co_u32_e64 v5, s[2:3], 0, 0, vcc
	s_subb_u32 s1, s7, 0
	v_lshl_add_u64 v[4:5], s[4:5], 0, v[4:5]
	v_cmp_gt_i64_e32 vcc, s[0:1], v[4:5]
	s_and_saveexec_b64 s[2:3], vcc
	s_cbranch_execz .LBB117_42
; %bb.28:
	s_mov_b32 s26, s39
	s_mov_b64 s[4:5], 0
	s_movk_i32 s27, 0x89
	s_mov_b64 s[6:7], 0x400
	s_branch .LBB117_31
.LBB117_29:                             ;   in Loop: Header=BB117_31 Depth=1
	s_or_b64 exec, exec, s[10:11]
.LBB117_30:                             ;   in Loop: Header=BB117_31 Depth=1
	s_or_b64 exec, exec, s[8:9]
	v_lshl_add_u32 v8, v10, 3, 0
	s_waitcnt vmcnt(0)
	v_mul_f64 v[6:7], v[2:3], v[6:7]
	v_add_u32_e32 v8, 0x40000, v8
	ds_add_f64 v8, v[6:7]
	v_lshl_add_u64 v[4:5], v[4:5], 0, s[6:7]
	v_cmp_le_i64_e32 vcc, s[0:1], v[4:5]
	s_or_b64 s[4:5], vcc, s[4:5]
	s_andn2_b64 exec, exec, s[4:5]
	s_cbranch_execz .LBB117_42
.LBB117_31:                             ; =>This Loop Header: Depth=1
                                        ;     Child Loop BB117_34 Depth 2
	v_lshlrev_b64 v[6:7], 3, v[4:5]
	v_lshl_add_u64 v[8:9], s[12:13], 0, v[6:7]
	global_load_dwordx2 v[8:9], v[8:9], off
	v_lshl_add_u64 v[6:7], s[14:15], 0, v[6:7]
	global_load_dwordx2 v[6:7], v[6:7], off
	s_waitcnt vmcnt(1)
	v_subrev_co_u32_e32 v8, vcc, s26, v8
	v_mul_lo_u32 v10, v8, s27
	v_and_b32_e32 v10, 0x7fff, v10
	v_lshl_add_u32 v16, v10, 3, 0
	ds_read_b64 v[14:15], v16
	v_subbrev_co_u32_e32 v9, vcc, 0, v9, vcc
	s_waitcnt lgkmcnt(0)
	v_cmp_ne_u64_e32 vcc, v[14:15], v[8:9]
	s_and_saveexec_b64 s[8:9], vcc
	s_cbranch_execz .LBB117_30
; %bb.32:                               ;   in Loop: Header=BB117_31 Depth=1
	s_mov_b64 s[10:11], 0
                                        ; implicit-def: $sgpr16_sgpr17
                                        ; implicit-def: $sgpr18_sgpr19
	s_branch .LBB117_34
.LBB117_33:                             ;   in Loop: Header=BB117_34 Depth=2
	s_or_b64 exec, exec, s[24:25]
	s_and_b64 s[20:21], exec, s[22:23]
	s_or_b64 s[10:11], s[20:21], s[10:11]
	s_andn2_b64 s[16:17], s[16:17], exec
	s_and_b64 s[20:21], s[18:19], exec
	s_or_b64 s[16:17], s[16:17], s[20:21]
	s_andn2_b64 exec, exec, s[10:11]
	s_cbranch_execz .LBB117_40
.LBB117_34:                             ;   Parent Loop BB117_31 Depth=1
                                        ; =>  This Inner Loop Header: Depth=2
	v_mov_b64_e32 v[12:13], v[10:11]
	v_cmp_ne_u64_e32 vcc, s[42:43], v[14:15]
	s_mov_b64 s[20:21], 0
                                        ; implicit-def: $vgpr10_vgpr11
	s_and_saveexec_b64 s[22:23], vcc
	s_xor_b64 s[22:23], exec, s[22:23]
; %bb.35:                               ;   in Loop: Header=BB117_34 Depth=2
	v_add_u32_e32 v10, 1, v12
	s_mov_b64 s[20:21], exec
	v_and_b32_e32 v10, 0x7fff, v10
                                        ; implicit-def: $vgpr16
; %bb.36:                               ;   in Loop: Header=BB117_34 Depth=2
	s_andn2_saveexec_b64 s[22:23], s[22:23]
	s_cbranch_execz .LBB117_38
; %bb.37:                               ;   in Loop: Header=BB117_34 Depth=2
	v_mov_b64_e32 v[10:11], s[42:43]
	ds_cmpst_rtn_b64 v[10:11], v16, v[10:11], v[8:9]
	s_andn2_b64 s[20:21], s[20:21], exec
	s_waitcnt lgkmcnt(0)
	v_cmp_ne_u64_e32 vcc, s[42:43], v[10:11]
	s_and_b64 s[24:25], vcc, exec
	s_or_b64 s[20:21], s[20:21], s[24:25]
	v_mov_b64_e32 v[10:11], v[12:13]
.LBB117_38:                             ;   in Loop: Header=BB117_34 Depth=2
	s_or_b64 exec, exec, s[22:23]
	s_mov_b64 s[22:23], -1
	s_or_b64 s[18:19], s[18:19], exec
                                        ; implicit-def: $vgpr16
                                        ; implicit-def: $vgpr14_vgpr15
	s_and_saveexec_b64 s[24:25], s[20:21]
	s_cbranch_execz .LBB117_33
; %bb.39:                               ;   in Loop: Header=BB117_34 Depth=2
	v_lshl_add_u32 v16, v10, 3, 0
	ds_read_b64 v[14:15], v16
	s_andn2_b64 s[18:19], s[18:19], exec
	s_waitcnt lgkmcnt(0)
	v_cmp_eq_u64_e32 vcc, v[14:15], v[8:9]
	s_orn2_b64 s[22:23], vcc, exec
	s_branch .LBB117_33
.LBB117_40:                             ;   in Loop: Header=BB117_31 Depth=1
	s_or_b64 exec, exec, s[10:11]
	s_and_saveexec_b64 s[10:11], s[16:17]
	s_xor_b64 s[10:11], exec, s[10:11]
	s_cbranch_execz .LBB117_29
; %bb.41:                               ;   in Loop: Header=BB117_31 Depth=1
	v_mov_b32_e32 v10, v12
	s_branch .LBB117_29
.LBB117_42:
	s_or_b64 exec, exec, s[2:3]
.LBB117_43:
	s_waitcnt vmcnt(0)
	v_mbcnt_lo_u32_b32 v2, -1, 0
	v_mbcnt_hi_u32_b32 v2, -1, v2
	v_sub_u32_e32 v2, 63, v2
	s_add_i32 s33, 0, 0x80000
	s_movk_i32 s0, 0x3ff
	s_movk_i32 s2, 0x7f
	;; [unrolled: 1-line block ×15, first 2 shown]
	s_add_i32 s61, 0, 0x80078
	v_mov_b32_e32 v3, 0
	v_lshrrev_b64 v[4:5], v2, -1
	v_lshl_add_u32 v14, v27, 3, s33
	v_cmp_eq_u32_e32 vcc, s0, v0
	v_cmp_lt_u32_e64 s[0:1], 63, v0
	v_cmp_lt_u32_e64 s[2:3], s2, v0
	;; [unrolled: 1-line block ×15, first 2 shown]
	s_mov_b64 s[36:37], 0
	v_mov_b64_e32 v[6:7], 0
	s_add_i32 s39, 0, 0x80008
	s_add_i32 s48, 0, 0x80010
	;; [unrolled: 1-line block ×14, first 2 shown]
	v_mov_b32_e32 v15, s61
	s_movk_i32 s62, 0x7bff
	s_waitcnt lgkmcnt(0)
	s_barrier
	s_branch .LBB117_45
.LBB117_44:                             ;   in Loop: Header=BB117_45 Depth=1
	s_or_b64 exec, exec, s[30:31]
	s_waitcnt lgkmcnt(0)
	s_barrier
	ds_read_b64 v[8:9], v15
	v_add_u32_e32 v1, 0x400, v1
	v_cmp_lt_u32_e64 s[30:31], s62, v1
	s_or_b64 s[36:37], s[30:31], s[36:37]
	v_add_u32_e32 v26, 0x2000, v26
	s_waitcnt lgkmcnt(0)
	v_lshl_add_u64 v[6:7], v[8:9], 0, v[6:7]
	s_andn2_b64 exec, exec, s[36:37]
	s_cbranch_execz .LBB117_79
.LBB117_45:                             ; =>This Inner Loop Header: Depth=1
	ds_read_b64 v[8:9], v26
	v_add_u32_e32 v2, 0x40000, v26
	ds_read_b64 v[10:11], v2
	s_waitcnt lgkmcnt(0)
	s_barrier
	v_cmp_gt_i64_e64 s[30:31], s[42:43], v[8:9]
	s_bcnt1_i32_b64 s46, s[30:31]
	v_mov_b32_e32 v2, s46
	v_and_b32_e32 v13, s30, v4
	v_and_b32_e32 v12, s31, v5
	v_bcnt_u32_b32 v13, v13, 0
	v_bcnt_u32_b32 v12, v12, v13
	ds_write_b64 v14, v[2:3]
	s_waitcnt lgkmcnt(0)
	s_barrier
	s_and_saveexec_b64 s[46:47], s[0:1]
	s_cbranch_execnz .LBB117_62
; %bb.46:                               ;   in Loop: Header=BB117_45 Depth=1
	s_or_b64 exec, exec, s[46:47]
	s_and_saveexec_b64 s[46:47], s[2:3]
	s_cbranch_execnz .LBB117_63
.LBB117_47:                             ;   in Loop: Header=BB117_45 Depth=1
	s_or_b64 exec, exec, s[46:47]
	s_and_saveexec_b64 s[46:47], s[4:5]
	s_cbranch_execnz .LBB117_64
.LBB117_48:                             ;   in Loop: Header=BB117_45 Depth=1
	s_or_b64 exec, exec, s[46:47]
	s_and_saveexec_b64 s[46:47], s[6:7]
	s_cbranch_execnz .LBB117_65
.LBB117_49:                             ;   in Loop: Header=BB117_45 Depth=1
	s_or_b64 exec, exec, s[46:47]
	s_and_saveexec_b64 s[46:47], s[8:9]
	s_cbranch_execnz .LBB117_66
.LBB117_50:                             ;   in Loop: Header=BB117_45 Depth=1
	s_or_b64 exec, exec, s[46:47]
	s_and_saveexec_b64 s[46:47], s[10:11]
	s_cbranch_execnz .LBB117_67
.LBB117_51:                             ;   in Loop: Header=BB117_45 Depth=1
	s_or_b64 exec, exec, s[46:47]
	s_and_saveexec_b64 s[46:47], s[12:13]
	s_cbranch_execnz .LBB117_68
.LBB117_52:                             ;   in Loop: Header=BB117_45 Depth=1
	s_or_b64 exec, exec, s[46:47]
	s_and_saveexec_b64 s[46:47], s[14:15]
	s_cbranch_execnz .LBB117_69
.LBB117_53:                             ;   in Loop: Header=BB117_45 Depth=1
	s_or_b64 exec, exec, s[46:47]
	s_and_saveexec_b64 s[46:47], s[16:17]
	s_cbranch_execnz .LBB117_70
.LBB117_54:                             ;   in Loop: Header=BB117_45 Depth=1
	s_or_b64 exec, exec, s[46:47]
	s_and_saveexec_b64 s[46:47], s[18:19]
	s_cbranch_execnz .LBB117_71
.LBB117_55:                             ;   in Loop: Header=BB117_45 Depth=1
	s_or_b64 exec, exec, s[46:47]
	s_and_saveexec_b64 s[46:47], s[20:21]
	s_cbranch_execnz .LBB117_72
.LBB117_56:                             ;   in Loop: Header=BB117_45 Depth=1
	s_or_b64 exec, exec, s[46:47]
	s_and_saveexec_b64 s[46:47], s[22:23]
	s_cbranch_execnz .LBB117_73
.LBB117_57:                             ;   in Loop: Header=BB117_45 Depth=1
	s_or_b64 exec, exec, s[46:47]
	s_and_saveexec_b64 s[46:47], s[24:25]
	s_cbranch_execnz .LBB117_74
.LBB117_58:                             ;   in Loop: Header=BB117_45 Depth=1
	s_or_b64 exec, exec, s[46:47]
	s_and_saveexec_b64 s[46:47], s[26:27]
	s_cbranch_execnz .LBB117_75
.LBB117_59:                             ;   in Loop: Header=BB117_45 Depth=1
	s_or_b64 exec, exec, s[46:47]
	s_and_saveexec_b64 s[46:47], s[28:29]
	s_cbranch_execnz .LBB117_76
.LBB117_60:                             ;   in Loop: Header=BB117_45 Depth=1
	s_or_b64 exec, exec, s[46:47]
	v_ashrrev_i32_e32 v13, 31, v12
	s_and_saveexec_b64 s[46:47], s[30:31]
	s_cbranch_execnz .LBB117_77
.LBB117_61:                             ;   in Loop: Header=BB117_45 Depth=1
	s_or_b64 exec, exec, s[46:47]
	s_and_saveexec_b64 s[30:31], vcc
	s_cbranch_execz .LBB117_44
	s_branch .LBB117_78
.LBB117_62:                             ;   in Loop: Header=BB117_45 Depth=1
	v_mov_b32_e32 v2, s33
	ds_read_b32 v2, v2
	s_waitcnt lgkmcnt(0)
	v_add_u32_e32 v12, v2, v12
	s_or_b64 exec, exec, s[46:47]
	s_and_saveexec_b64 s[46:47], s[2:3]
	s_cbranch_execz .LBB117_47
.LBB117_63:                             ;   in Loop: Header=BB117_45 Depth=1
	v_mov_b32_e32 v2, s39
	ds_read_b32 v2, v2
	s_waitcnt lgkmcnt(0)
	v_add_u32_e32 v12, v12, v2
	s_or_b64 exec, exec, s[46:47]
	s_and_saveexec_b64 s[46:47], s[4:5]
	s_cbranch_execz .LBB117_48
.LBB117_64:                             ;   in Loop: Header=BB117_45 Depth=1
	v_mov_b32_e32 v2, s48
	ds_read_b32 v2, v2
	s_waitcnt lgkmcnt(0)
	v_add_u32_e32 v12, v12, v2
	s_or_b64 exec, exec, s[46:47]
	s_and_saveexec_b64 s[46:47], s[6:7]
	s_cbranch_execz .LBB117_49
.LBB117_65:                             ;   in Loop: Header=BB117_45 Depth=1
	v_mov_b32_e32 v2, s49
	ds_read_b32 v2, v2
	s_waitcnt lgkmcnt(0)
	v_add_u32_e32 v12, v12, v2
	s_or_b64 exec, exec, s[46:47]
	s_and_saveexec_b64 s[46:47], s[8:9]
	s_cbranch_execz .LBB117_50
.LBB117_66:                             ;   in Loop: Header=BB117_45 Depth=1
	v_mov_b32_e32 v2, s50
	ds_read_b32 v2, v2
	s_waitcnt lgkmcnt(0)
	v_add_u32_e32 v12, v12, v2
	s_or_b64 exec, exec, s[46:47]
	s_and_saveexec_b64 s[46:47], s[10:11]
	s_cbranch_execz .LBB117_51
.LBB117_67:                             ;   in Loop: Header=BB117_45 Depth=1
	v_mov_b32_e32 v2, s51
	ds_read_b32 v2, v2
	s_waitcnt lgkmcnt(0)
	v_add_u32_e32 v12, v12, v2
	s_or_b64 exec, exec, s[46:47]
	s_and_saveexec_b64 s[46:47], s[12:13]
	s_cbranch_execz .LBB117_52
.LBB117_68:                             ;   in Loop: Header=BB117_45 Depth=1
	v_mov_b32_e32 v2, s52
	ds_read_b32 v2, v2
	s_waitcnt lgkmcnt(0)
	v_add_u32_e32 v12, v12, v2
	s_or_b64 exec, exec, s[46:47]
	s_and_saveexec_b64 s[46:47], s[14:15]
	s_cbranch_execz .LBB117_53
.LBB117_69:                             ;   in Loop: Header=BB117_45 Depth=1
	v_mov_b32_e32 v2, s53
	ds_read_b32 v2, v2
	s_waitcnt lgkmcnt(0)
	v_add_u32_e32 v12, v12, v2
	s_or_b64 exec, exec, s[46:47]
	s_and_saveexec_b64 s[46:47], s[16:17]
	s_cbranch_execz .LBB117_54
.LBB117_70:                             ;   in Loop: Header=BB117_45 Depth=1
	v_mov_b32_e32 v2, s54
	ds_read_b32 v2, v2
	s_waitcnt lgkmcnt(0)
	v_add_u32_e32 v12, v12, v2
	s_or_b64 exec, exec, s[46:47]
	s_and_saveexec_b64 s[46:47], s[18:19]
	s_cbranch_execz .LBB117_55
.LBB117_71:                             ;   in Loop: Header=BB117_45 Depth=1
	v_mov_b32_e32 v2, s55
	ds_read_b32 v2, v2
	s_waitcnt lgkmcnt(0)
	v_add_u32_e32 v12, v12, v2
	s_or_b64 exec, exec, s[46:47]
	s_and_saveexec_b64 s[46:47], s[20:21]
	s_cbranch_execz .LBB117_56
.LBB117_72:                             ;   in Loop: Header=BB117_45 Depth=1
	v_mov_b32_e32 v2, s56
	ds_read_b32 v2, v2
	s_waitcnt lgkmcnt(0)
	v_add_u32_e32 v12, v12, v2
	s_or_b64 exec, exec, s[46:47]
	s_and_saveexec_b64 s[46:47], s[22:23]
	s_cbranch_execz .LBB117_57
.LBB117_73:                             ;   in Loop: Header=BB117_45 Depth=1
	v_mov_b32_e32 v2, s57
	ds_read_b32 v2, v2
	s_waitcnt lgkmcnt(0)
	v_add_u32_e32 v12, v12, v2
	s_or_b64 exec, exec, s[46:47]
	s_and_saveexec_b64 s[46:47], s[24:25]
	s_cbranch_execz .LBB117_58
.LBB117_74:                             ;   in Loop: Header=BB117_45 Depth=1
	v_mov_b32_e32 v2, s58
	ds_read_b32 v2, v2
	s_waitcnt lgkmcnt(0)
	v_add_u32_e32 v12, v12, v2
	s_or_b64 exec, exec, s[46:47]
	s_and_saveexec_b64 s[46:47], s[26:27]
	s_cbranch_execz .LBB117_59
.LBB117_75:                             ;   in Loop: Header=BB117_45 Depth=1
	v_mov_b32_e32 v2, s59
	ds_read_b32 v2, v2
	s_waitcnt lgkmcnt(0)
	v_add_u32_e32 v12, v12, v2
	s_or_b64 exec, exec, s[46:47]
	s_and_saveexec_b64 s[46:47], s[28:29]
	s_cbranch_execz .LBB117_60
.LBB117_76:                             ;   in Loop: Header=BB117_45 Depth=1
	v_mov_b32_e32 v2, s60
	ds_read_b32 v2, v2
	s_waitcnt lgkmcnt(0)
	v_add_u32_e32 v12, v12, v2
	s_or_b64 exec, exec, s[46:47]
	v_ashrrev_i32_e32 v13, 31, v12
	s_and_saveexec_b64 s[46:47], s[30:31]
	s_cbranch_execz .LBB117_61
.LBB117_77:                             ;   in Loop: Header=BB117_45 Depth=1
	v_add3_u32 v2, v6, -1, v12
	v_lshl_add_u32 v2, v2, 3, 0
	v_add_u32_e32 v16, 0x40000, v2
	ds_write_b64 v2, v[8:9]
	ds_write_b64 v16, v[10:11]
	s_or_b64 exec, exec, s[46:47]
	s_and_saveexec_b64 s[30:31], vcc
	s_cbranch_execz .LBB117_44
.LBB117_78:                             ;   in Loop: Header=BB117_45 Depth=1
	v_mov_b32_e32 v2, s61
	ds_write_b64 v2, v[12:13]
	s_branch .LBB117_44
.LBB117_79:
	s_or_b64 exec, exec, s[36:37]
	s_lshl_b64 s[0:1], s[44:45], 3
	s_add_u32 s4, s40, s0
	s_addc_u32 s5, s41, s1
	s_load_dwordx4 s[0:3], s[4:5], 0x0
	v_mov_b32_e32 v1, 0
	s_waitcnt lgkmcnt(0)
	s_sub_u32 s4, s2, s0
	s_subb_u32 s5, s3, s1
	v_cmp_gt_i64_e32 vcc, s[4:5], v[0:1]
	s_and_saveexec_b64 s[6:7], vcc
	s_cbranch_execz .LBB117_89
; %bb.80:
	s_sub_u32 s8, s0, s38
	s_subb_u32 s9, s1, 0
	s_and_b32 s6, s4, 7
	s_sub_u32 s0, s0, s2
	s_mov_b32 s7, 0
	s_subb_u32 s1, s1, s3
	s_and_b32 s10, s4, -8
	s_cmp_lg_u64 s[6:7], 0
	v_cmp_lt_u64_e64 s[0:1], s[0:1], -7
	s_cselect_b64 s[2:3], -1, 0
	s_mov_b32 s11, s5
	v_cndmask_b32_e64 v2, 0, 1, s[0:1]
	v_cmp_ne_u32_e64 s[0:1], 1, v2
	v_cndmask_b32_e64 v2, 0, 1, s[2:3]
	s_mov_b64 s[12:13], 0
	v_cmp_ne_u32_e64 s[2:3], 1, v2
	s_mov_b64 s[14:15], 0x400
	s_branch .LBB117_82
.LBB117_81:                             ;   in Loop: Header=BB117_82 Depth=1
	v_lshl_add_u64 v[0:1], v[0:1], 0, s[14:15]
	v_cmp_le_i64_e32 vcc, s[4:5], v[0:1]
	s_waitcnt lgkmcnt(1)
	v_lshl_add_u64 v[4:5], v[6:7], 3, s[34:35]
	s_or_b64 s[12:13], vcc, s[12:13]
	s_waitcnt lgkmcnt(0)
	global_store_dwordx2 v[4:5], v[2:3], off
	s_andn2_b64 exec, exec, s[12:13]
	s_cbranch_execz .LBB117_89
.LBB117_82:                             ; =>This Loop Header: Depth=1
                                        ;     Child Loop BB117_84 Depth 2
                                        ;     Child Loop BB117_88 Depth 2
	v_lshl_add_u32 v2, v0, 3, 0
	v_add_u32_e32 v3, 0x40000, v2
	ds_read_b64 v[4:5], v2
	ds_read_b64 v[2:3], v3
	s_and_b64 vcc, exec, s[0:1]
	v_mov_b64_e32 v[6:7], s[8:9]
	s_mov_b64 s[16:17], 0
	s_cbranch_vccnz .LBB117_86
; %bb.83:                               ;   in Loop: Header=BB117_82 Depth=1
	s_mov_b32 s18, 0
	v_mov_b64_e32 v[6:7], s[8:9]
.LBB117_84:                             ;   Parent Loop BB117_82 Depth=1
                                        ; =>  This Inner Loop Header: Depth=2
	v_mov_b32_e32 v20, s18
	ds_read2_b64 v[8:11], v20 offset1:1
	ds_read2_b64 v[12:15], v20 offset0:2 offset1:3
	ds_read2_b64 v[16:19], v20 offset0:4 offset1:5
	;; [unrolled: 1-line block ×3, first 2 shown]
	v_mov_b32_e32 v25, s7
	s_waitcnt lgkmcnt(3)
	v_cmp_gt_i64_e32 vcc, v[4:5], v[8:9]
	v_mov_b32_e32 v27, s7
	v_mov_b32_e32 v29, s7
	v_cndmask_b32_e64 v24, 0, 1, vcc
	v_cmp_gt_i64_e32 vcc, v[4:5], v[10:11]
	v_lshl_add_u64 v[6:7], v[6:7], 0, v[24:25]
	v_mov_b32_e32 v31, s7
	v_cndmask_b32_e64 v26, 0, 1, vcc
	s_waitcnt lgkmcnt(2)
	v_cmp_gt_i64_e32 vcc, v[4:5], v[12:13]
	v_lshl_add_u64 v[6:7], v[6:7], 0, v[26:27]
	v_mov_b32_e32 v33, s7
	v_cndmask_b32_e64 v28, 0, 1, vcc
	v_cmp_gt_i64_e32 vcc, v[4:5], v[14:15]
	v_lshl_add_u64 v[6:7], v[6:7], 0, v[28:29]
	v_mov_b32_e32 v35, s7
	v_cndmask_b32_e64 v30, 0, 1, vcc
	s_waitcnt lgkmcnt(1)
	v_cmp_gt_i64_e32 vcc, v[4:5], v[16:17]
	v_lshl_add_u64 v[6:7], v[6:7], 0, v[30:31]
	v_mov_b32_e32 v37, s7
	v_cndmask_b32_e64 v32, 0, 1, vcc
	v_cmp_gt_i64_e32 vcc, v[4:5], v[18:19]
	v_lshl_add_u64 v[6:7], v[6:7], 0, v[32:33]
	s_add_u32 s16, s16, 8
	v_cndmask_b32_e64 v34, 0, 1, vcc
	s_waitcnt lgkmcnt(0)
	v_cmp_gt_i64_e32 vcc, v[4:5], v[20:21]
	v_lshl_add_u64 v[6:7], v[6:7], 0, v[34:35]
	v_mov_b32_e32 v39, s7
	v_cndmask_b32_e64 v36, 0, 1, vcc
	v_cmp_gt_i64_e32 vcc, v[4:5], v[22:23]
	s_addc_u32 s17, s17, 0
	s_add_i32 s18, s18, 64
	v_cndmask_b32_e64 v38, 0, 1, vcc
	v_lshl_add_u64 v[6:7], v[6:7], 0, v[36:37]
	s_cmp_eq_u64 s[10:11], s[16:17]
	v_lshl_add_u64 v[6:7], v[6:7], 0, v[38:39]
	s_cbranch_scc0 .LBB117_84
; %bb.85:                               ;   in Loop: Header=BB117_82 Depth=1
	s_mov_b64 s[16:17], s[10:11]
.LBB117_86:                             ;   in Loop: Header=BB117_82 Depth=1
	s_and_b64 vcc, exec, s[2:3]
	s_cbranch_vccnz .LBB117_81
; %bb.87:                               ;   in Loop: Header=BB117_82 Depth=1
	s_lshl_b32 s16, s16, 3
	s_add_i32 s18, s16, 0
	s_mov_b64 s[16:17], s[6:7]
.LBB117_88:                             ;   Parent Loop BB117_82 Depth=1
                                        ; =>  This Inner Loop Header: Depth=2
	v_mov_b32_e32 v8, s18
	ds_read_b64 v[10:11], v8
	s_add_i32 s18, s18, 8
	s_add_u32 s16, s16, -1
	v_mov_b32_e32 v9, s7
	s_addc_u32 s17, s17, -1
	s_waitcnt lgkmcnt(0)
	v_cmp_gt_i64_e32 vcc, v[4:5], v[10:11]
	s_cmp_lg_u64 s[16:17], 0
	s_nop 0
	v_cndmask_b32_e64 v8, 0, 1, vcc
	v_lshl_add_u64 v[6:7], v[6:7], 0, v[8:9]
	s_cbranch_scc1 .LBB117_88
	s_branch .LBB117_81
.LBB117_89:
	s_endpgm
	.section	.rodata,"a",@progbits
	.p2align	6, 0x0
	.amdhsa_kernel _ZN9rocsparseL41csrgemm_numeric_fill_block_per_row_kernelILj1024ELj64ELj32768ELj137ELj64ElldEEvT5_PKS1_S3_NS_24const_host_device_scalarIT6_EEPKT4_S3_PKS5_S9_S3_SB_S6_S9_S3_SB_S9_S3_PS5_21rocsparse_index_base_SD_SD_SD_bbb
		.amdhsa_group_segment_fixed_size 0
		.amdhsa_private_segment_fixed_size 0
		.amdhsa_kernarg_size 156
		.amdhsa_user_sgpr_count 2
		.amdhsa_user_sgpr_dispatch_ptr 0
		.amdhsa_user_sgpr_queue_ptr 0
		.amdhsa_user_sgpr_kernarg_segment_ptr 1
		.amdhsa_user_sgpr_dispatch_id 0
		.amdhsa_user_sgpr_kernarg_preload_length 0
		.amdhsa_user_sgpr_kernarg_preload_offset 0
		.amdhsa_user_sgpr_private_segment_size 0
		.amdhsa_uses_dynamic_stack 0
		.amdhsa_enable_private_segment 0
		.amdhsa_system_sgpr_workgroup_id_x 1
		.amdhsa_system_sgpr_workgroup_id_y 0
		.amdhsa_system_sgpr_workgroup_id_z 0
		.amdhsa_system_sgpr_workgroup_info 0
		.amdhsa_system_vgpr_workitem_id 0
		.amdhsa_next_free_vgpr 40
		.amdhsa_next_free_sgpr 63
		.amdhsa_accum_offset 40
		.amdhsa_reserve_vcc 1
		.amdhsa_float_round_mode_32 0
		.amdhsa_float_round_mode_16_64 0
		.amdhsa_float_denorm_mode_32 3
		.amdhsa_float_denorm_mode_16_64 3
		.amdhsa_dx10_clamp 1
		.amdhsa_ieee_mode 1
		.amdhsa_fp16_overflow 0
		.amdhsa_tg_split 0
		.amdhsa_exception_fp_ieee_invalid_op 0
		.amdhsa_exception_fp_denorm_src 0
		.amdhsa_exception_fp_ieee_div_zero 0
		.amdhsa_exception_fp_ieee_overflow 0
		.amdhsa_exception_fp_ieee_underflow 0
		.amdhsa_exception_fp_ieee_inexact 0
		.amdhsa_exception_int_div_zero 0
	.end_amdhsa_kernel
	.section	.text._ZN9rocsparseL41csrgemm_numeric_fill_block_per_row_kernelILj1024ELj64ELj32768ELj137ELj64ElldEEvT5_PKS1_S3_NS_24const_host_device_scalarIT6_EEPKT4_S3_PKS5_S9_S3_SB_S6_S9_S3_SB_S9_S3_PS5_21rocsparse_index_base_SD_SD_SD_bbb,"axG",@progbits,_ZN9rocsparseL41csrgemm_numeric_fill_block_per_row_kernelILj1024ELj64ELj32768ELj137ELj64ElldEEvT5_PKS1_S3_NS_24const_host_device_scalarIT6_EEPKT4_S3_PKS5_S9_S3_SB_S6_S9_S3_SB_S9_S3_PS5_21rocsparse_index_base_SD_SD_SD_bbb,comdat
.Lfunc_end117:
	.size	_ZN9rocsparseL41csrgemm_numeric_fill_block_per_row_kernelILj1024ELj64ELj32768ELj137ELj64ElldEEvT5_PKS1_S3_NS_24const_host_device_scalarIT6_EEPKT4_S3_PKS5_S9_S3_SB_S6_S9_S3_SB_S9_S3_PS5_21rocsparse_index_base_SD_SD_SD_bbb, .Lfunc_end117-_ZN9rocsparseL41csrgemm_numeric_fill_block_per_row_kernelILj1024ELj64ELj32768ELj137ELj64ElldEEvT5_PKS1_S3_NS_24const_host_device_scalarIT6_EEPKT4_S3_PKS5_S9_S3_SB_S6_S9_S3_SB_S9_S3_PS5_21rocsparse_index_base_SD_SD_SD_bbb
                                        ; -- End function
	.set _ZN9rocsparseL41csrgemm_numeric_fill_block_per_row_kernelILj1024ELj64ELj32768ELj137ELj64ElldEEvT5_PKS1_S3_NS_24const_host_device_scalarIT6_EEPKT4_S3_PKS5_S9_S3_SB_S6_S9_S3_SB_S9_S3_PS5_21rocsparse_index_base_SD_SD_SD_bbb.num_vgpr, 40
	.set _ZN9rocsparseL41csrgemm_numeric_fill_block_per_row_kernelILj1024ELj64ELj32768ELj137ELj64ElldEEvT5_PKS1_S3_NS_24const_host_device_scalarIT6_EEPKT4_S3_PKS5_S9_S3_SB_S6_S9_S3_SB_S9_S3_PS5_21rocsparse_index_base_SD_SD_SD_bbb.num_agpr, 0
	.set _ZN9rocsparseL41csrgemm_numeric_fill_block_per_row_kernelILj1024ELj64ELj32768ELj137ELj64ElldEEvT5_PKS1_S3_NS_24const_host_device_scalarIT6_EEPKT4_S3_PKS5_S9_S3_SB_S6_S9_S3_SB_S9_S3_PS5_21rocsparse_index_base_SD_SD_SD_bbb.numbered_sgpr, 63
	.set _ZN9rocsparseL41csrgemm_numeric_fill_block_per_row_kernelILj1024ELj64ELj32768ELj137ELj64ElldEEvT5_PKS1_S3_NS_24const_host_device_scalarIT6_EEPKT4_S3_PKS5_S9_S3_SB_S6_S9_S3_SB_S9_S3_PS5_21rocsparse_index_base_SD_SD_SD_bbb.num_named_barrier, 0
	.set _ZN9rocsparseL41csrgemm_numeric_fill_block_per_row_kernelILj1024ELj64ELj32768ELj137ELj64ElldEEvT5_PKS1_S3_NS_24const_host_device_scalarIT6_EEPKT4_S3_PKS5_S9_S3_SB_S6_S9_S3_SB_S9_S3_PS5_21rocsparse_index_base_SD_SD_SD_bbb.private_seg_size, 0
	.set _ZN9rocsparseL41csrgemm_numeric_fill_block_per_row_kernelILj1024ELj64ELj32768ELj137ELj64ElldEEvT5_PKS1_S3_NS_24const_host_device_scalarIT6_EEPKT4_S3_PKS5_S9_S3_SB_S6_S9_S3_SB_S9_S3_PS5_21rocsparse_index_base_SD_SD_SD_bbb.uses_vcc, 1
	.set _ZN9rocsparseL41csrgemm_numeric_fill_block_per_row_kernelILj1024ELj64ELj32768ELj137ELj64ElldEEvT5_PKS1_S3_NS_24const_host_device_scalarIT6_EEPKT4_S3_PKS5_S9_S3_SB_S6_S9_S3_SB_S9_S3_PS5_21rocsparse_index_base_SD_SD_SD_bbb.uses_flat_scratch, 0
	.set _ZN9rocsparseL41csrgemm_numeric_fill_block_per_row_kernelILj1024ELj64ELj32768ELj137ELj64ElldEEvT5_PKS1_S3_NS_24const_host_device_scalarIT6_EEPKT4_S3_PKS5_S9_S3_SB_S6_S9_S3_SB_S9_S3_PS5_21rocsparse_index_base_SD_SD_SD_bbb.has_dyn_sized_stack, 0
	.set _ZN9rocsparseL41csrgemm_numeric_fill_block_per_row_kernelILj1024ELj64ELj32768ELj137ELj64ElldEEvT5_PKS1_S3_NS_24const_host_device_scalarIT6_EEPKT4_S3_PKS5_S9_S3_SB_S6_S9_S3_SB_S9_S3_PS5_21rocsparse_index_base_SD_SD_SD_bbb.has_recursion, 0
	.set _ZN9rocsparseL41csrgemm_numeric_fill_block_per_row_kernelILj1024ELj64ELj32768ELj137ELj64ElldEEvT5_PKS1_S3_NS_24const_host_device_scalarIT6_EEPKT4_S3_PKS5_S9_S3_SB_S6_S9_S3_SB_S9_S3_PS5_21rocsparse_index_base_SD_SD_SD_bbb.has_indirect_call, 0
	.section	.AMDGPU.csdata,"",@progbits
; Kernel info:
; codeLenInByte = 3404
; TotalNumSgprs: 69
; NumVgprs: 40
; NumAgprs: 0
; TotalNumVgprs: 40
; ScratchSize: 0
; MemoryBound: 0
; FloatMode: 240
; IeeeMode: 1
; LDSByteSize: 0 bytes/workgroup (compile time only)
; SGPRBlocks: 8
; VGPRBlocks: 4
; NumSGPRsForWavesPerEU: 69
; NumVGPRsForWavesPerEU: 40
; AccumOffset: 40
; Occupancy: 8
; WaveLimiterHint : 1
; COMPUTE_PGM_RSRC2:SCRATCH_EN: 0
; COMPUTE_PGM_RSRC2:USER_SGPR: 2
; COMPUTE_PGM_RSRC2:TRAP_HANDLER: 0
; COMPUTE_PGM_RSRC2:TGID_X_EN: 1
; COMPUTE_PGM_RSRC2:TGID_Y_EN: 0
; COMPUTE_PGM_RSRC2:TGID_Z_EN: 0
; COMPUTE_PGM_RSRC2:TIDIG_COMP_CNT: 0
; COMPUTE_PGM_RSRC3_GFX90A:ACCUM_OFFSET: 9
; COMPUTE_PGM_RSRC3_GFX90A:TG_SPLIT: 0
	.section	.text._ZN9rocsparseL51csrgemm_numeric_fill_block_per_row_multipass_kernelILj512ELj16ELj2048ELj32ElldEEvT4_PKS1_S3_NS_24const_host_device_scalarIT5_EEPKT3_S3_PKS5_S9_S3_SB_S6_S9_S3_SB_S9_S3_PS5_PS7_21rocsparse_index_base_SE_SE_SE_bbb,"axG",@progbits,_ZN9rocsparseL51csrgemm_numeric_fill_block_per_row_multipass_kernelILj512ELj16ELj2048ELj32ElldEEvT4_PKS1_S3_NS_24const_host_device_scalarIT5_EEPKT3_S3_PKS5_S9_S3_SB_S6_S9_S3_SB_S9_S3_PS5_PS7_21rocsparse_index_base_SE_SE_SE_bbb,comdat
	.globl	_ZN9rocsparseL51csrgemm_numeric_fill_block_per_row_multipass_kernelILj512ELj16ELj2048ELj32ElldEEvT4_PKS1_S3_NS_24const_host_device_scalarIT5_EEPKT3_S3_PKS5_S9_S3_SB_S6_S9_S3_SB_S9_S3_PS5_PS7_21rocsparse_index_base_SE_SE_SE_bbb ; -- Begin function _ZN9rocsparseL51csrgemm_numeric_fill_block_per_row_multipass_kernelILj512ELj16ELj2048ELj32ElldEEvT4_PKS1_S3_NS_24const_host_device_scalarIT5_EEPKT3_S3_PKS5_S9_S3_SB_S6_S9_S3_SB_S9_S3_PS5_PS7_21rocsparse_index_base_SE_SE_SE_bbb
	.p2align	8
	.type	_ZN9rocsparseL51csrgemm_numeric_fill_block_per_row_multipass_kernelILj512ELj16ELj2048ELj32ElldEEvT4_PKS1_S3_NS_24const_host_device_scalarIT5_EEPKT3_S3_PKS5_S9_S3_SB_S6_S9_S3_SB_S9_S3_PS5_PS7_21rocsparse_index_base_SE_SE_SE_bbb,@function
_ZN9rocsparseL51csrgemm_numeric_fill_block_per_row_multipass_kernelILj512ELj16ELj2048ELj32ElldEEvT4_PKS1_S3_NS_24const_host_device_scalarIT5_EEPKT3_S3_PKS5_S9_S3_SB_S6_S9_S3_SB_S9_S3_PS5_PS7_21rocsparse_index_base_SE_SE_SE_bbb: ; @_ZN9rocsparseL51csrgemm_numeric_fill_block_per_row_multipass_kernelILj512ELj16ELj2048ELj32ElldEEvT4_PKS1_S3_NS_24const_host_device_scalarIT5_EEPKT3_S3_PKS5_S9_S3_SB_S6_S9_S3_SB_S9_S3_PS5_PS7_21rocsparse_index_base_SE_SE_SE_bbb
; %bb.0:
	s_load_dword s3, s[0:1], 0xa0
	s_load_dwordx4 s[4:7], s[0:1], 0x8
	s_load_dwordx2 s[10:11], s[0:1], 0x18
	s_load_dwordx4 s[60:63], s[0:1], 0x90
	s_load_dwordx2 s[12:13], s[0:1], 0x50
	s_waitcnt lgkmcnt(0)
	s_bitcmp1_b32 s3, 0
	s_cselect_b64 s[8:9], -1, 0
	s_bitcmp1_b32 s3, 16
	s_cselect_b64 s[14:15], -1, 0
	s_xor_b64 s[16:17], s[8:9], -1
	s_or_b64 s[16:17], s[14:15], s[16:17]
	s_and_b64 s[18:19], s[8:9], exec
	s_cselect_b32 s19, s11, 0
	s_cselect_b32 s18, s10, 0
	s_and_b64 vcc, exec, s[16:17]
	v_mov_b64_e32 v[2:3], s[18:19]
	s_cbranch_vccnz .LBB118_2
; %bb.1:
	v_mov_b64_e32 v[2:3], s[10:11]
	flat_load_dwordx2 v[2:3], v[2:3]
.LBB118_2:
	s_bitcmp1_b32 s3, 8
	s_cselect_b64 s[42:43], -1, 0
	s_load_dwordx2 s[10:11], s[0:1], 0x20
	s_xor_b64 s[16:17], s[42:43], -1
	s_or_b64 s[14:15], s[14:15], s[16:17]
	s_and_b64 s[16:17], s[42:43], exec
	s_cselect_b32 s17, s13, 0
	s_cselect_b32 s16, s12, 0
	s_and_b64 vcc, exec, s[14:15]
	v_mov_b64_e32 v[4:5], s[16:17]
	s_cbranch_vccnz .LBB118_4
; %bb.3:
	v_mov_b64_e32 v[4:5], s[12:13]
	flat_load_dwordx2 v[4:5], v[4:5]
.LBB118_4:
	s_load_dwordx2 s[4:5], s[4:5], 0x0
	s_mov_b32 s3, 0
	v_cndmask_b32_e64 v1, 0, 1, s[8:9]
	s_mov_b64 s[68:69], 0
	s_waitcnt lgkmcnt(0)
	s_lshl_b64 s[4:5], s[4:5], 3
	s_add_u32 s4, s6, s4
	s_addc_u32 s5, s7, s5
	s_lshl_b64 s[2:3], s[2:3], 3
	s_add_u32 s2, s4, s2
	s_addc_u32 s3, s5, s3
	s_load_dwordx2 s[6:7], s[2:3], 0x0
	v_cmp_ne_u32_e64 s[2:3], 1, v1
	s_andn2_b64 vcc, exec, s[8:9]
	s_mov_b64 s[4:5], 0
	s_cbranch_vccz .LBB118_7
; %bb.5:
	s_and_b64 vcc, exec, s[2:3]
	s_cbranch_vccz .LBB118_8
.LBB118_6:
	s_load_dwordx2 s[70:71], s[0:1], 0x0
	s_waitcnt lgkmcnt(0)
	v_cmp_lt_i64_e64 s[2:3], s[70:71], 1
	s_and_b64 vcc, exec, s[2:3]
	s_cbranch_vccz .LBB118_9
	s_branch .LBB118_63
.LBB118_7:
	s_waitcnt lgkmcnt(0)
	s_lshl_b64 s[4:5], s[6:7], 3
	s_add_u32 s4, s10, s4
	s_addc_u32 s5, s11, s5
	s_load_dwordx2 s[4:5], s[4:5], 0x0
	s_waitcnt lgkmcnt(0)
	s_sub_u32 s4, s4, s60
	s_subb_u32 s5, s5, 0
	s_and_b64 vcc, exec, s[2:3]
	s_cbranch_vccnz .LBB118_6
.LBB118_8:
	s_waitcnt lgkmcnt(0)
	s_lshl_b64 s[2:3], s[6:7], 3
	s_add_u32 s2, s10, s2
	s_addc_u32 s3, s11, s3
	s_load_dwordx2 s[2:3], s[2:3], 0x8
	s_waitcnt lgkmcnt(0)
	s_sub_u32 s68, s2, s60
	s_subb_u32 s69, s3, 0
	s_load_dwordx2 s[70:71], s[0:1], 0x0
	s_waitcnt lgkmcnt(0)
	v_cmp_lt_i64_e64 s[2:3], s[70:71], 1
	s_and_b64 vcc, exec, s[2:3]
	s_cbranch_vccnz .LBB118_63
.LBB118_9:
	s_load_dwordx8 s[44:51], s[0:1], 0x58
	s_load_dwordx4 s[64:67], s[0:1], 0x80
	s_load_dwordx2 s[72:73], s[0:1], 0x48
	s_lshl_b64 s[6:7], s[6:7], 3
	v_and_b32_e32 v1, 15, v0
	s_waitcnt lgkmcnt(0)
	s_add_u32 s2, s50, s6
	s_addc_u32 s3, s51, s7
	s_load_dwordx2 s[2:3], s[2:3], 0x0
	v_lshrrev_b32_e32 v6, 4, v0
	v_mov_b32_e32 v7, 0
	v_lshl_add_u64 v[8:9], s[4:5], 0, v[6:7]
	v_mov_b32_e32 v6, v1
	s_waitcnt lgkmcnt(0)
	s_sub_u32 s38, s2, s62
	s_subb_u32 s39, s3, 0
	v_cmp_eq_u32_e64 s[2:3], 15, v1
	v_mbcnt_lo_u32_b32 v1, -1, 0
	s_load_dwordx8 s[52:59], s[0:1], 0x28
	v_subrev_co_u32_e64 v10, s[4:5], s63, v0
	v_mbcnt_hi_u32_b32 v1, -1, v1
	s_nop 0
	v_subb_co_u32_e64 v11, s[4:5], 0, 0, s[4:5]
	v_sub_u32_e32 v1, 63, v1
	v_cmp_gt_i64_e32 vcc, s[68:69], v[8:9]
	s_add_u32 s44, s44, s6
	v_lshrrev_b64 v[12:13], v1, -1
	v_lshrrev_b32_e32 v1, 3, v0
	s_movk_i32 s4, 0x1ff
	s_movk_i32 s10, 0x60
	;; [unrolled: 1-line block ×14, first 2 shown]
	v_cmp_eq_u32_e64 s[40:41], 0, v0
	s_mov_b32 s33, s61
	s_addc_u32 s45, s45, s7
	s_mov_b32 s61, s63
	v_and_b32_e32 v40, 60, v1
	v_cmp_eq_u32_e64 s[4:5], s4, v0
	s_and_b64 s[50:51], s[8:9], vcc
	v_cmp_gt_u32_e64 s[6:7], 32, v0
	v_cmp_gt_u32_e64 s[8:9], 64, v0
	;; [unrolled: 1-line block ×15, first 2 shown]
	v_or_b32_e32 v41, 0xfffffe00, v0
	v_lshlrev_b32_e32 v42, 3, v0
	v_mov_b64_e32 v[14:15], 0
	v_mov_b64_e32 v[16:17], 0x800
	v_mov_b64_e32 v[0:1], s[38:39]
	v_mov_b32_e32 v44, v7
	v_mov_b32_e32 v45, v7
	s_movk_i32 s96, 0x5ff
	v_mov_b64_e32 v[46:47], s[70:71]
	v_mov_b32_e32 v43, 1
	s_mov_b64 s[62:63], 0x80
	s_mov_b64 s[74:75], 0x200
	;; [unrolled: 1-line block ×4, first 2 shown]
	s_branch .LBB118_11
.LBB118_10:                             ;   in Loop: Header=BB118_11 Depth=1
	s_or_b64 exec, exec, s[0:1]
	ds_read_b64 v[14:15], v7 offset:18432
	s_waitcnt lgkmcnt(0)
	s_barrier
	v_cmp_le_i64_e32 vcc, s[70:71], v[14:15]
	v_lshl_add_u64 v[16:17], v[14:15], 0, s[78:79]
	s_cbranch_vccnz .LBB118_63
.LBB118_11:                             ; =>This Loop Header: Depth=1
                                        ;     Child Loop BB118_12 Depth 2
                                        ;     Child Loop BB118_18 Depth 2
                                        ;       Child Loop BB118_26 Depth 3
                                        ;     Child Loop BB118_42 Depth 2
                                        ;     Child Loop BB118_54 Depth 2
	;; [unrolled: 1-line block ×3, first 2 shown]
	s_mov_b64 s[0:1], 0
	v_mov_b32_e32 v18, v42
	v_mov_b32_e32 v19, v41
.LBB118_12:                             ;   Parent Loop BB118_11 Depth=1
                                        ; =>  This Inner Loop Header: Depth=2
	ds_write_b8 v19, v7 offset:16896
	ds_write_b64 v18, v[44:45]
	v_add_u32_e32 v19, 0x200, v19
	v_cmp_lt_u32_e32 vcc, s96, v19
	s_or_b64 s[0:1], vcc, s[0:1]
	v_add_u32_e32 v18, 0x1000, v18
	s_andn2_b64 exec, exec, s[0:1]
	s_cbranch_execnz .LBB118_12
; %bb.13:                               ;   in Loop: Header=BB118_11 Depth=1
	s_or_b64 exec, exec, s[0:1]
	s_and_saveexec_b64 s[0:1], s[40:41]
; %bb.14:                               ;   in Loop: Header=BB118_11 Depth=1
	ds_write_b64 v7, v[46:47] offset:18432
; %bb.15:                               ;   in Loop: Header=BB118_11 Depth=1
	s_or_b64 exec, exec, s[0:1]
	v_mov_b64_e32 v[18:19], s[70:71]
	s_waitcnt lgkmcnt(0)
	s_barrier
	s_and_saveexec_b64 s[80:81], s[50:51]
	s_cbranch_execz .LBB118_38
; %bb.16:                               ;   in Loop: Header=BB118_11 Depth=1
	s_mov_b64 s[82:83], 0
	v_cmp_ne_u64_e64 s[38:39], 0, v[14:15]
	v_mov_b64_e32 v[18:19], s[70:71]
	v_mov_b64_e32 v[20:21], v[8:9]
	s_branch .LBB118_18
.LBB118_17:                             ;   in Loop: Header=BB118_18 Depth=2
	s_or_b64 exec, exec, s[0:1]
	v_lshl_add_u64 v[20:21], v[20:21], 0, 32
	v_cmp_le_i64_e32 vcc, s[68:69], v[20:21]
	s_or_b64 s[82:83], vcc, s[82:83]
	s_andn2_b64 exec, exec, s[82:83]
	s_cbranch_execz .LBB118_37
.LBB118_18:                             ;   Parent Loop BB118_11 Depth=1
                                        ; =>  This Loop Header: Depth=2
                                        ;       Child Loop BB118_26 Depth 3
	v_lshlrev_b64 v[22:23], 3, v[20:21]
	v_lshl_add_u64 v[24:25], s[52:53], 0, v[22:23]
	v_lshl_add_u64 v[22:23], s[54:55], 0, v[22:23]
	global_load_dwordx2 v[26:27], v[24:25], off
	global_load_dwordx2 v[28:29], v[22:23], off
	s_and_b64 vcc, exec, s[38:39]
	v_lshl_add_u64 v[22:23], v[20:21], 3, s[66:67]
	s_cbranch_vccz .LBB118_20
; %bb.19:                               ;   in Loop: Header=BB118_18 Depth=2
	global_load_dwordx2 v[24:25], v[22:23], off
	s_mov_b64 s[0:1], 0
	s_branch .LBB118_21
.LBB118_20:                             ;   in Loop: Header=BB118_18 Depth=2
	s_mov_b64 s[0:1], -1
                                        ; implicit-def: $vgpr24_vgpr25
.LBB118_21:                             ;   in Loop: Header=BB118_18 Depth=2
	s_waitcnt vmcnt(0)
	v_subrev_co_u32_e32 v26, vcc, s60, v26
	s_nop 1
	v_subbrev_co_u32_e32 v27, vcc, 0, v27, vcc
	s_andn2_b64 vcc, exec, s[0:1]
	v_lshl_add_u64 v[26:27], v[26:27], 3, s[56:57]
	s_cbranch_vccnz .LBB118_23
; %bb.22:                               ;   in Loop: Header=BB118_18 Depth=2
	global_load_dwordx2 v[24:25], v[26:27], off
	s_waitcnt vmcnt(0)
	v_subrev_co_u32_e32 v24, vcc, s33, v24
	s_nop 1
	v_subbrev_co_u32_e32 v25, vcc, 0, v25, vcc
.LBB118_23:                             ;   in Loop: Header=BB118_18 Depth=2
	global_load_dwordx2 v[26:27], v[26:27], off offset:8
	v_lshl_add_u64 v[24:25], v[24:25], 0, v[6:7]
	s_waitcnt vmcnt(0)
	v_subrev_co_u32_e32 v26, vcc, s33, v26
	s_nop 1
	v_subbrev_co_u32_e32 v27, vcc, 0, v27, vcc
	v_cmp_lt_i64_e32 vcc, v[24:25], v[26:27]
	s_and_saveexec_b64 s[84:85], vcc
	s_cbranch_execz .LBB118_35
; %bb.24:                               ;   in Loop: Header=BB118_18 Depth=2
	v_lshlrev_b64 v[32:33], 3, v[24:25]
	v_mul_f64 v[28:29], v[2:3], v[28:29]
	v_lshl_add_u64 v[30:31], s[58:59], 0, v[32:33]
	v_lshl_add_u64 v[34:35], s[72:73], 0, v[32:33]
	s_mov_b64 s[88:89], 0
	v_mov_b64_e32 v[38:39], v[24:25]
                                        ; implicit-def: $sgpr86_sgpr87
                                        ; implicit-def: $sgpr90_sgpr91
	s_branch .LBB118_26
.LBB118_25:                             ;   in Loop: Header=BB118_26 Depth=3
	s_or_b64 exec, exec, s[94:95]
	s_and_b64 s[0:1], exec, s[92:93]
	s_or_b64 s[88:89], s[0:1], s[88:89]
	s_andn2_b64 s[0:1], s[86:87], exec
	s_and_b64 s[86:87], s[90:91], exec
	s_or_b64 s[86:87], s[0:1], s[86:87]
	s_andn2_b64 exec, exec, s[88:89]
	s_cbranch_execz .LBB118_32
.LBB118_26:                             ;   Parent Loop BB118_11 Depth=1
                                        ;     Parent Loop BB118_18 Depth=2
                                        ; =>    This Inner Loop Header: Depth=3
	global_load_dwordx2 v[36:37], v[30:31], off
	v_mov_b64_e32 v[32:33], v[38:39]
	s_waitcnt vmcnt(0)
	v_subrev_co_u32_e32 v36, vcc, s33, v36
	s_nop 1
	v_subbrev_co_u32_e32 v37, vcc, 0, v37, vcc
	v_cmp_lt_i64_e32 vcc, v[36:37], v[14:15]
	v_cmp_ge_i64_e64 s[0:1], v[36:37], v[16:17]
	s_or_b64 s[92:93], vcc, s[0:1]
	s_mov_b64 s[0:1], 0
	s_and_saveexec_b64 s[94:95], s[92:93]
	s_xor_b64 s[92:93], exec, s[94:95]
; %bb.27:                               ;   in Loop: Header=BB118_26 Depth=3
	v_cmp_lt_i64_e32 vcc, v[36:37], v[16:17]
	s_and_b64 s[0:1], vcc, exec
; %bb.28:                               ;   in Loop: Header=BB118_26 Depth=3
	s_andn2_saveexec_b64 s[92:93], s[92:93]
	s_cbranch_execz .LBB118_30
; %bb.29:                               ;   in Loop: Header=BB118_26 Depth=3
	global_load_dwordx2 v[38:39], v[34:35], off
	v_sub_u32_e32 v48, v36, v14
	ds_write_b8 v48, v43 offset:16384
	v_lshlrev_b32_e32 v48, 3, v48
	s_or_b64 s[0:1], s[0:1], exec
	s_waitcnt vmcnt(0)
	v_mul_f64 v[38:39], v[28:29], v[38:39]
	ds_add_f64 v48, v[38:39]
.LBB118_30:                             ;   in Loop: Header=BB118_26 Depth=3
	s_or_b64 exec, exec, s[92:93]
	s_mov_b64 s[92:93], -1
	s_or_b64 s[90:91], s[90:91], exec
                                        ; implicit-def: $vgpr38_vgpr39
	s_and_saveexec_b64 s[94:95], s[0:1]
	s_cbranch_execz .LBB118_25
; %bb.31:                               ;   in Loop: Header=BB118_26 Depth=3
	v_lshl_add_u64 v[38:39], v[32:33], 0, 16
	v_cmp_ge_i64_e32 vcc, v[38:39], v[26:27]
	v_lshl_add_u64 v[30:31], v[30:31], 0, s[62:63]
	v_lshl_add_u64 v[34:35], v[34:35], 0, s[62:63]
	s_andn2_b64 s[90:91], s[90:91], exec
	s_orn2_b64 s[92:93], vcc, exec
	s_branch .LBB118_25
.LBB118_32:                             ;   in Loop: Header=BB118_18 Depth=2
	s_or_b64 exec, exec, s[88:89]
	s_and_saveexec_b64 s[0:1], s[86:87]
	s_xor_b64 s[0:1], exec, s[0:1]
; %bb.33:                               ;   in Loop: Header=BB118_18 Depth=2
	v_cmp_lt_i64_e32 vcc, v[36:37], v[18:19]
	v_mov_b64_e32 v[24:25], v[32:33]
	s_nop 0
	v_cndmask_b32_e32 v19, v19, v37, vcc
	v_cndmask_b32_e32 v18, v18, v36, vcc
; %bb.34:                               ;   in Loop: Header=BB118_18 Depth=2
	s_or_b64 exec, exec, s[0:1]
.LBB118_35:                             ;   in Loop: Header=BB118_18 Depth=2
	s_or_b64 exec, exec, s[84:85]
	v_mov_b32_dpp v26, v24 row_shr:1 row_mask:0xf bank_mask:0xf
	v_mov_b32_dpp v27, v25 row_shr:1 row_mask:0xf bank_mask:0xf
	v_cmp_lt_i64_e32 vcc, v[26:27], v[24:25]
	s_nop 1
	v_cndmask_b32_e32 v25, v25, v27, vcc
	v_cndmask_b32_e32 v24, v24, v26, vcc
	s_nop 0
	v_mov_b32_dpp v27, v25 row_shr:2 row_mask:0xf bank_mask:0xf
	v_mov_b32_dpp v26, v24 row_shr:2 row_mask:0xf bank_mask:0xf
	v_cmp_lt_i64_e32 vcc, v[26:27], v[24:25]
	s_nop 1
	v_cndmask_b32_e32 v25, v25, v27, vcc
	v_cndmask_b32_e32 v24, v24, v26, vcc
	s_nop 0
	;; [unrolled: 7-line block ×3, first 2 shown]
	v_mov_b32_dpp v28, v25 row_shr:8 row_mask:0xf bank_mask:0xc
	v_mov_b32_dpp v26, v24 row_shr:8 row_mask:0xf bank_mask:0xc
	s_and_saveexec_b64 s[0:1], s[2:3]
	s_cbranch_execz .LBB118_17
; %bb.36:                               ;   in Loop: Header=BB118_18 Depth=2
	v_mov_b32_e32 v27, v28
	v_cmp_lt_i64_e32 vcc, v[26:27], v[24:25]
	s_nop 1
	v_cndmask_b32_e32 v25, v25, v28, vcc
	v_cndmask_b32_e32 v24, v24, v26, vcc
	global_store_dwordx2 v[22:23], v[24:25], off
	s_branch .LBB118_17
.LBB118_37:                             ;   in Loop: Header=BB118_11 Depth=1
	s_or_b64 exec, exec, s[82:83]
.LBB118_38:                             ;   in Loop: Header=BB118_11 Depth=1
	s_or_b64 exec, exec, s[80:81]
	s_andn2_b64 vcc, exec, s[42:43]
	s_cbranch_vccnz .LBB118_52
; %bb.39:                               ;   in Loop: Header=BB118_11 Depth=1
	s_load_dwordx4 s[84:87], s[44:45], 0x0
	s_waitcnt lgkmcnt(0)
	s_sub_u32 s80, s86, s61
	s_subb_u32 s81, s87, 0
	v_lshl_add_u64 v[20:21], s[84:85], 0, v[10:11]
	v_cmp_gt_i64_e32 vcc, s[80:81], v[20:21]
	s_and_saveexec_b64 s[38:39], vcc
	s_cbranch_execz .LBB118_51
; %bb.40:                               ;   in Loop: Header=BB118_11 Depth=1
	v_lshlrev_b64 v[24:25], 3, v[20:21]
	v_lshl_add_u64 v[22:23], s[46:47], 0, v[24:25]
	v_lshl_add_u64 v[24:25], s[48:49], 0, v[24:25]
	s_mov_b64 s[82:83], 0
                                        ; implicit-def: $sgpr84_sgpr85
                                        ; implicit-def: $sgpr86_sgpr87
	s_branch .LBB118_42
.LBB118_41:                             ;   in Loop: Header=BB118_42 Depth=2
	s_or_b64 exec, exec, s[90:91]
	s_and_b64 s[0:1], exec, s[88:89]
	s_or_b64 s[82:83], s[0:1], s[82:83]
	s_andn2_b64 s[0:1], s[84:85], exec
	s_and_b64 s[84:85], s[86:87], exec
	s_or_b64 s[84:85], s[0:1], s[84:85]
	s_andn2_b64 exec, exec, s[82:83]
	s_cbranch_execz .LBB118_48
.LBB118_42:                             ;   Parent Loop BB118_11 Depth=1
                                        ; =>  This Inner Loop Header: Depth=2
	global_load_dwordx2 v[26:27], v[22:23], off
	s_waitcnt vmcnt(0)
	v_subrev_co_u32_e32 v26, vcc, s61, v26
	s_nop 1
	v_subbrev_co_u32_e32 v27, vcc, 0, v27, vcc
	v_cmp_lt_i64_e32 vcc, v[26:27], v[14:15]
	v_cmp_ge_i64_e64 s[0:1], v[26:27], v[16:17]
	s_or_b64 s[88:89], vcc, s[0:1]
	s_mov_b64 s[0:1], 0
	s_and_saveexec_b64 s[90:91], s[88:89]
	s_xor_b64 s[88:89], exec, s[90:91]
; %bb.43:                               ;   in Loop: Header=BB118_42 Depth=2
	v_cmp_lt_i64_e32 vcc, v[26:27], v[16:17]
	s_and_b64 s[0:1], vcc, exec
; %bb.44:                               ;   in Loop: Header=BB118_42 Depth=2
	s_andn2_saveexec_b64 s[88:89], s[88:89]
	s_cbranch_execz .LBB118_46
; %bb.45:                               ;   in Loop: Header=BB118_42 Depth=2
	global_load_dwordx2 v[28:29], v[24:25], off
	v_sub_u32_e32 v30, v26, v14
	ds_write_b8 v30, v43 offset:16384
	v_lshlrev_b32_e32 v30, 3, v30
	s_or_b64 s[0:1], s[0:1], exec
	s_waitcnt vmcnt(0)
	v_mul_f64 v[28:29], v[4:5], v[28:29]
	ds_add_f64 v30, v[28:29]
.LBB118_46:                             ;   in Loop: Header=BB118_42 Depth=2
	s_or_b64 exec, exec, s[88:89]
	s_mov_b64 s[88:89], -1
	s_or_b64 s[86:87], s[86:87], exec
	s_and_saveexec_b64 s[90:91], s[0:1]
	s_cbranch_execz .LBB118_41
; %bb.47:                               ;   in Loop: Header=BB118_42 Depth=2
	v_lshl_add_u64 v[20:21], v[20:21], 0, s[74:75]
	v_cmp_le_i64_e32 vcc, s[80:81], v[20:21]
	v_lshl_add_u64 v[22:23], v[22:23], 0, s[76:77]
	v_lshl_add_u64 v[24:25], v[24:25], 0, s[76:77]
	s_andn2_b64 s[86:87], s[86:87], exec
	s_orn2_b64 s[88:89], vcc, exec
	s_branch .LBB118_41
.LBB118_48:                             ;   in Loop: Header=BB118_11 Depth=1
	s_or_b64 exec, exec, s[82:83]
	s_and_saveexec_b64 s[0:1], s[84:85]
	s_xor_b64 s[0:1], exec, s[0:1]
; %bb.49:                               ;   in Loop: Header=BB118_11 Depth=1
	v_cmp_lt_i64_e32 vcc, v[26:27], v[18:19]
	s_nop 1
	v_cndmask_b32_e32 v19, v19, v27, vcc
	v_cndmask_b32_e32 v18, v18, v26, vcc
; %bb.50:                               ;   in Loop: Header=BB118_11 Depth=1
	s_or_b64 exec, exec, s[0:1]
.LBB118_51:                             ;   in Loop: Header=BB118_11 Depth=1
	s_or_b64 exec, exec, s[38:39]
.LBB118_52:                             ;   in Loop: Header=BB118_11 Depth=1
	v_mov_b32_dpp v14, v18 row_shr:1 row_mask:0xf bank_mask:0xf
	v_mov_b32_dpp v15, v19 row_shr:1 row_mask:0xf bank_mask:0xf
	v_cmp_lt_i64_e32 vcc, v[14:15], v[18:19]
	s_nop 1
	v_cndmask_b32_e32 v15, v19, v15, vcc
	v_cndmask_b32_e32 v14, v18, v14, vcc
	s_nop 0
	v_mov_b32_dpp v17, v15 row_shr:2 row_mask:0xf bank_mask:0xf
	v_mov_b32_dpp v16, v14 row_shr:2 row_mask:0xf bank_mask:0xf
	v_cmp_lt_i64_e32 vcc, v[16:17], v[14:15]
	s_nop 1
	v_cndmask_b32_e32 v15, v15, v17, vcc
	v_cndmask_b32_e32 v14, v14, v16, vcc
	s_nop 0
	;; [unrolled: 7-line block ×3, first 2 shown]
	v_mov_b32_dpp v18, v15 row_shr:8 row_mask:0xf bank_mask:0xc
	v_mov_b32_dpp v16, v14 row_shr:8 row_mask:0xf bank_mask:0xc
	s_and_saveexec_b64 s[0:1], s[2:3]
	s_cbranch_execz .LBB118_57
; %bb.53:                               ;   in Loop: Header=BB118_11 Depth=1
	v_mov_b32_e32 v17, v18
	v_cmp_lt_i64_e32 vcc, v[16:17], v[14:15]
	s_mov_b64 s[80:81], exec
	s_mov_b64 s[38:39], -1
	v_cndmask_b32_e32 v15, v15, v18, vcc
	v_cndmask_b32_e32 v14, v14, v16, vcc
.LBB118_54:                             ;   Parent Loop BB118_11 Depth=1
                                        ; =>  This Inner Loop Header: Depth=2
	s_ff1_i32_b64 s84, s[80:81]
	v_readlane_b32 s85, v15, s84
	v_readlane_b32 s86, v14, s84
	s_nop 0
	v_mov_b32_e32 v17, s85
	v_mov_b32_e32 v16, s86
	v_cmp_lt_u64_e32 vcc, s[38:39], v[16:17]
	s_and_b64 s[82:83], vcc, exec
	s_cselect_b32 s39, s39, s85
	s_cselect_b32 s38, s38, s86
	s_lshl_b64 s[82:83], 1, s84
	s_andn2_b64 s[80:81], s[80:81], s[82:83]
	s_cmp_lg_u64 s[80:81], 0
	s_cbranch_scc1 .LBB118_54
; %bb.55:                               ;   in Loop: Header=BB118_11 Depth=1
	v_mbcnt_lo_u32_b32 v14, exec_lo, 0
	v_mbcnt_hi_u32_b32 v14, exec_hi, v14
	v_cmp_eq_u32_e32 vcc, 0, v14
	s_and_saveexec_b64 s[80:81], vcc
	s_xor_b64 s[80:81], exec, s[80:81]
; %bb.56:                               ;   in Loop: Header=BB118_11 Depth=1
	v_mov_b64_e32 v[14:15], s[38:39]
	ds_min_u64 v7, v[14:15] offset:18432
.LBB118_57:                             ;   in Loop: Header=BB118_11 Depth=1
	s_or_b64 exec, exec, s[0:1]
	s_mov_b64 s[0:1], 0
	v_mov_b32_e32 v18, v42
	v_mov_b32_e32 v19, v41
	s_waitcnt lgkmcnt(0)
	s_barrier
	s_branch .LBB118_59
.LBB118_58:                             ;   in Loop: Header=BB118_59 Depth=2
	s_or_b64 exec, exec, s[38:39]
	s_waitcnt lgkmcnt(0)
	s_barrier
	ds_read_b32 v14, v7 offset:60
	v_add_u32_e32 v19, 0x200, v19
	v_cmp_lt_u32_e32 vcc, s96, v19
	s_or_b64 s[0:1], vcc, s[0:1]
	v_add_u32_e32 v18, 0x1000, v18
	s_waitcnt lgkmcnt(0)
	v_ashrrev_i32_e32 v15, 31, v14
	v_lshl_add_u64 v[0:1], v[0:1], 0, v[14:15]
	s_andn2_b64 exec, exec, s[0:1]
	s_cbranch_execz .LBB118_10
.LBB118_59:                             ;   Parent Loop BB118_11 Depth=1
                                        ; =>  This Inner Loop Header: Depth=2
	ds_read_u8 v17, v19 offset:16896
	ds_read_b64 v[14:15], v18
	s_waitcnt lgkmcnt(0)
	s_barrier
	v_cmp_ne_u16_e32 vcc, 0, v17
	s_bcnt1_i32_b64 s38, vcc
	v_and_b32_e32 v17, 1, v17
	v_and_b32_e32 v20, vcc_lo, v12
	v_bcnt_u32_b32 v24, v20, 0
	v_mov_b32_e32 v20, s38
	ds_write_b32 v40, v20
	s_waitcnt lgkmcnt(0)
	s_barrier
	ds_read_b128 v[20:23], v7
	v_and_b32_e32 v16, vcc_hi, v13
	v_bcnt_u32_b32 v16, v16, v24
	ds_read_b128 v[24:27], v7 offset:16
	ds_read_b128 v[28:31], v7 offset:32
	ds_read_b96 v[32:34], v7 offset:48
	v_cmp_eq_u32_e32 vcc, 1, v17
	s_waitcnt lgkmcnt(0)
	v_cndmask_b32_e64 v20, v20, 0, s[6:7]
	v_add_u32_e32 v16, v20, v16
	v_cndmask_b32_e64 v20, v21, 0, s[8:9]
	v_cndmask_b32_e64 v21, v22, 0, s[10:11]
	v_add3_u32 v16, v16, v20, v21
	v_cndmask_b32_e64 v20, v23, 0, s[12:13]
	v_cndmask_b32_e64 v21, v24, 0, s[14:15]
	v_add3_u32 v16, v16, v20, v21
	;; [unrolled: 3-line block ×7, first 2 shown]
	s_and_saveexec_b64 s[38:39], vcc
	s_cbranch_execz .LBB118_61
; %bb.60:                               ;   in Loop: Header=BB118_59 Depth=2
	v_lshl_add_u64 v[20:21], v[0:1], 3, s[64:65]
	v_ashrrev_i32_e32 v17, 31, v16
	v_lshl_add_u64 v[20:21], v[16:17], 3, v[20:21]
	global_store_dwordx2 v[20:21], v[14:15], off offset:-8
.LBB118_61:                             ;   in Loop: Header=BB118_59 Depth=2
	s_or_b64 exec, exec, s[38:39]
	s_and_saveexec_b64 s[38:39], s[4:5]
	s_cbranch_execz .LBB118_58
; %bb.62:                               ;   in Loop: Header=BB118_59 Depth=2
	ds_write_b32 v7, v16 offset:60
	s_branch .LBB118_58
.LBB118_63:
	s_endpgm
	.section	.rodata,"a",@progbits
	.p2align	6, 0x0
	.amdhsa_kernel _ZN9rocsparseL51csrgemm_numeric_fill_block_per_row_multipass_kernelILj512ELj16ELj2048ELj32ElldEEvT4_PKS1_S3_NS_24const_host_device_scalarIT5_EEPKT3_S3_PKS5_S9_S3_SB_S6_S9_S3_SB_S9_S3_PS5_PS7_21rocsparse_index_base_SE_SE_SE_bbb
		.amdhsa_group_segment_fixed_size 18440
		.amdhsa_private_segment_fixed_size 0
		.amdhsa_kernarg_size 164
		.amdhsa_user_sgpr_count 2
		.amdhsa_user_sgpr_dispatch_ptr 0
		.amdhsa_user_sgpr_queue_ptr 0
		.amdhsa_user_sgpr_kernarg_segment_ptr 1
		.amdhsa_user_sgpr_dispatch_id 0
		.amdhsa_user_sgpr_kernarg_preload_length 0
		.amdhsa_user_sgpr_kernarg_preload_offset 0
		.amdhsa_user_sgpr_private_segment_size 0
		.amdhsa_uses_dynamic_stack 0
		.amdhsa_enable_private_segment 0
		.amdhsa_system_sgpr_workgroup_id_x 1
		.amdhsa_system_sgpr_workgroup_id_y 0
		.amdhsa_system_sgpr_workgroup_id_z 0
		.amdhsa_system_sgpr_workgroup_info 0
		.amdhsa_system_vgpr_workitem_id 0
		.amdhsa_next_free_vgpr 49
		.amdhsa_next_free_sgpr 97
		.amdhsa_accum_offset 52
		.amdhsa_reserve_vcc 1
		.amdhsa_float_round_mode_32 0
		.amdhsa_float_round_mode_16_64 0
		.amdhsa_float_denorm_mode_32 3
		.amdhsa_float_denorm_mode_16_64 3
		.amdhsa_dx10_clamp 1
		.amdhsa_ieee_mode 1
		.amdhsa_fp16_overflow 0
		.amdhsa_tg_split 0
		.amdhsa_exception_fp_ieee_invalid_op 0
		.amdhsa_exception_fp_denorm_src 0
		.amdhsa_exception_fp_ieee_div_zero 0
		.amdhsa_exception_fp_ieee_overflow 0
		.amdhsa_exception_fp_ieee_underflow 0
		.amdhsa_exception_fp_ieee_inexact 0
		.amdhsa_exception_int_div_zero 0
	.end_amdhsa_kernel
	.section	.text._ZN9rocsparseL51csrgemm_numeric_fill_block_per_row_multipass_kernelILj512ELj16ELj2048ELj32ElldEEvT4_PKS1_S3_NS_24const_host_device_scalarIT5_EEPKT3_S3_PKS5_S9_S3_SB_S6_S9_S3_SB_S9_S3_PS5_PS7_21rocsparse_index_base_SE_SE_SE_bbb,"axG",@progbits,_ZN9rocsparseL51csrgemm_numeric_fill_block_per_row_multipass_kernelILj512ELj16ELj2048ELj32ElldEEvT4_PKS1_S3_NS_24const_host_device_scalarIT5_EEPKT3_S3_PKS5_S9_S3_SB_S6_S9_S3_SB_S9_S3_PS5_PS7_21rocsparse_index_base_SE_SE_SE_bbb,comdat
.Lfunc_end118:
	.size	_ZN9rocsparseL51csrgemm_numeric_fill_block_per_row_multipass_kernelILj512ELj16ELj2048ELj32ElldEEvT4_PKS1_S3_NS_24const_host_device_scalarIT5_EEPKT3_S3_PKS5_S9_S3_SB_S6_S9_S3_SB_S9_S3_PS5_PS7_21rocsparse_index_base_SE_SE_SE_bbb, .Lfunc_end118-_ZN9rocsparseL51csrgemm_numeric_fill_block_per_row_multipass_kernelILj512ELj16ELj2048ELj32ElldEEvT4_PKS1_S3_NS_24const_host_device_scalarIT5_EEPKT3_S3_PKS5_S9_S3_SB_S6_S9_S3_SB_S9_S3_PS5_PS7_21rocsparse_index_base_SE_SE_SE_bbb
                                        ; -- End function
	.set _ZN9rocsparseL51csrgemm_numeric_fill_block_per_row_multipass_kernelILj512ELj16ELj2048ELj32ElldEEvT4_PKS1_S3_NS_24const_host_device_scalarIT5_EEPKT3_S3_PKS5_S9_S3_SB_S6_S9_S3_SB_S9_S3_PS5_PS7_21rocsparse_index_base_SE_SE_SE_bbb.num_vgpr, 49
	.set _ZN9rocsparseL51csrgemm_numeric_fill_block_per_row_multipass_kernelILj512ELj16ELj2048ELj32ElldEEvT4_PKS1_S3_NS_24const_host_device_scalarIT5_EEPKT3_S3_PKS5_S9_S3_SB_S6_S9_S3_SB_S9_S3_PS5_PS7_21rocsparse_index_base_SE_SE_SE_bbb.num_agpr, 0
	.set _ZN9rocsparseL51csrgemm_numeric_fill_block_per_row_multipass_kernelILj512ELj16ELj2048ELj32ElldEEvT4_PKS1_S3_NS_24const_host_device_scalarIT5_EEPKT3_S3_PKS5_S9_S3_SB_S6_S9_S3_SB_S9_S3_PS5_PS7_21rocsparse_index_base_SE_SE_SE_bbb.numbered_sgpr, 97
	.set _ZN9rocsparseL51csrgemm_numeric_fill_block_per_row_multipass_kernelILj512ELj16ELj2048ELj32ElldEEvT4_PKS1_S3_NS_24const_host_device_scalarIT5_EEPKT3_S3_PKS5_S9_S3_SB_S6_S9_S3_SB_S9_S3_PS5_PS7_21rocsparse_index_base_SE_SE_SE_bbb.num_named_barrier, 0
	.set _ZN9rocsparseL51csrgemm_numeric_fill_block_per_row_multipass_kernelILj512ELj16ELj2048ELj32ElldEEvT4_PKS1_S3_NS_24const_host_device_scalarIT5_EEPKT3_S3_PKS5_S9_S3_SB_S6_S9_S3_SB_S9_S3_PS5_PS7_21rocsparse_index_base_SE_SE_SE_bbb.private_seg_size, 0
	.set _ZN9rocsparseL51csrgemm_numeric_fill_block_per_row_multipass_kernelILj512ELj16ELj2048ELj32ElldEEvT4_PKS1_S3_NS_24const_host_device_scalarIT5_EEPKT3_S3_PKS5_S9_S3_SB_S6_S9_S3_SB_S9_S3_PS5_PS7_21rocsparse_index_base_SE_SE_SE_bbb.uses_vcc, 1
	.set _ZN9rocsparseL51csrgemm_numeric_fill_block_per_row_multipass_kernelILj512ELj16ELj2048ELj32ElldEEvT4_PKS1_S3_NS_24const_host_device_scalarIT5_EEPKT3_S3_PKS5_S9_S3_SB_S6_S9_S3_SB_S9_S3_PS5_PS7_21rocsparse_index_base_SE_SE_SE_bbb.uses_flat_scratch, 0
	.set _ZN9rocsparseL51csrgemm_numeric_fill_block_per_row_multipass_kernelILj512ELj16ELj2048ELj32ElldEEvT4_PKS1_S3_NS_24const_host_device_scalarIT5_EEPKT3_S3_PKS5_S9_S3_SB_S6_S9_S3_SB_S9_S3_PS5_PS7_21rocsparse_index_base_SE_SE_SE_bbb.has_dyn_sized_stack, 0
	.set _ZN9rocsparseL51csrgemm_numeric_fill_block_per_row_multipass_kernelILj512ELj16ELj2048ELj32ElldEEvT4_PKS1_S3_NS_24const_host_device_scalarIT5_EEPKT3_S3_PKS5_S9_S3_SB_S6_S9_S3_SB_S9_S3_PS5_PS7_21rocsparse_index_base_SE_SE_SE_bbb.has_recursion, 0
	.set _ZN9rocsparseL51csrgemm_numeric_fill_block_per_row_multipass_kernelILj512ELj16ELj2048ELj32ElldEEvT4_PKS1_S3_NS_24const_host_device_scalarIT5_EEPKT3_S3_PKS5_S9_S3_SB_S6_S9_S3_SB_S9_S3_PS5_PS7_21rocsparse_index_base_SE_SE_SE_bbb.has_indirect_call, 0
	.section	.AMDGPU.csdata,"",@progbits
; Kernel info:
; codeLenInByte = 2724
; TotalNumSgprs: 103
; NumVgprs: 49
; NumAgprs: 0
; TotalNumVgprs: 49
; ScratchSize: 0
; MemoryBound: 0
; FloatMode: 240
; IeeeMode: 1
; LDSByteSize: 18440 bytes/workgroup (compile time only)
; SGPRBlocks: 12
; VGPRBlocks: 6
; NumSGPRsForWavesPerEU: 103
; NumVGPRsForWavesPerEU: 49
; AccumOffset: 52
; Occupancy: 7
; WaveLimiterHint : 1
; COMPUTE_PGM_RSRC2:SCRATCH_EN: 0
; COMPUTE_PGM_RSRC2:USER_SGPR: 2
; COMPUTE_PGM_RSRC2:TRAP_HANDLER: 0
; COMPUTE_PGM_RSRC2:TGID_X_EN: 1
; COMPUTE_PGM_RSRC2:TGID_Y_EN: 0
; COMPUTE_PGM_RSRC2:TGID_Z_EN: 0
; COMPUTE_PGM_RSRC2:TIDIG_COMP_CNT: 0
; COMPUTE_PGM_RSRC3_GFX90A:ACCUM_OFFSET: 12
; COMPUTE_PGM_RSRC3_GFX90A:TG_SPLIT: 0
	.section	.text._ZN9rocsparseL51csrgemm_numeric_fill_block_per_row_multipass_kernelILj512ELj16ELj2048ELj64ElldEEvT4_PKS1_S3_NS_24const_host_device_scalarIT5_EEPKT3_S3_PKS5_S9_S3_SB_S6_S9_S3_SB_S9_S3_PS5_PS7_21rocsparse_index_base_SE_SE_SE_bbb,"axG",@progbits,_ZN9rocsparseL51csrgemm_numeric_fill_block_per_row_multipass_kernelILj512ELj16ELj2048ELj64ElldEEvT4_PKS1_S3_NS_24const_host_device_scalarIT5_EEPKT3_S3_PKS5_S9_S3_SB_S6_S9_S3_SB_S9_S3_PS5_PS7_21rocsparse_index_base_SE_SE_SE_bbb,comdat
	.globl	_ZN9rocsparseL51csrgemm_numeric_fill_block_per_row_multipass_kernelILj512ELj16ELj2048ELj64ElldEEvT4_PKS1_S3_NS_24const_host_device_scalarIT5_EEPKT3_S3_PKS5_S9_S3_SB_S6_S9_S3_SB_S9_S3_PS5_PS7_21rocsparse_index_base_SE_SE_SE_bbb ; -- Begin function _ZN9rocsparseL51csrgemm_numeric_fill_block_per_row_multipass_kernelILj512ELj16ELj2048ELj64ElldEEvT4_PKS1_S3_NS_24const_host_device_scalarIT5_EEPKT3_S3_PKS5_S9_S3_SB_S6_S9_S3_SB_S9_S3_PS5_PS7_21rocsparse_index_base_SE_SE_SE_bbb
	.p2align	8
	.type	_ZN9rocsparseL51csrgemm_numeric_fill_block_per_row_multipass_kernelILj512ELj16ELj2048ELj64ElldEEvT4_PKS1_S3_NS_24const_host_device_scalarIT5_EEPKT3_S3_PKS5_S9_S3_SB_S6_S9_S3_SB_S9_S3_PS5_PS7_21rocsparse_index_base_SE_SE_SE_bbb,@function
_ZN9rocsparseL51csrgemm_numeric_fill_block_per_row_multipass_kernelILj512ELj16ELj2048ELj64ElldEEvT4_PKS1_S3_NS_24const_host_device_scalarIT5_EEPKT3_S3_PKS5_S9_S3_SB_S6_S9_S3_SB_S9_S3_PS5_PS7_21rocsparse_index_base_SE_SE_SE_bbb: ; @_ZN9rocsparseL51csrgemm_numeric_fill_block_per_row_multipass_kernelILj512ELj16ELj2048ELj64ElldEEvT4_PKS1_S3_NS_24const_host_device_scalarIT5_EEPKT3_S3_PKS5_S9_S3_SB_S6_S9_S3_SB_S9_S3_PS5_PS7_21rocsparse_index_base_SE_SE_SE_bbb
; %bb.0:
	s_load_dword s3, s[0:1], 0xa0
	s_load_dwordx4 s[4:7], s[0:1], 0x8
	s_load_dwordx2 s[10:11], s[0:1], 0x18
	s_load_dwordx4 s[44:47], s[0:1], 0x90
	s_load_dwordx2 s[12:13], s[0:1], 0x50
	s_waitcnt lgkmcnt(0)
	s_bitcmp1_b32 s3, 0
	s_cselect_b64 s[8:9], -1, 0
	s_bitcmp1_b32 s3, 16
	s_cselect_b64 s[14:15], -1, 0
	s_xor_b64 s[16:17], s[8:9], -1
	s_or_b64 s[16:17], s[14:15], s[16:17]
	s_and_b64 s[18:19], s[8:9], exec
	s_cselect_b32 s19, s11, 0
	s_cselect_b32 s18, s10, 0
	s_and_b64 vcc, exec, s[16:17]
	v_mov_b64_e32 v[2:3], s[18:19]
	s_cbranch_vccnz .LBB119_2
; %bb.1:
	v_mov_b64_e32 v[2:3], s[10:11]
	flat_load_dwordx2 v[2:3], v[2:3]
.LBB119_2:
	s_bitcmp1_b32 s3, 8
	s_cselect_b64 s[34:35], -1, 0
	s_load_dwordx2 s[10:11], s[0:1], 0x20
	s_xor_b64 s[16:17], s[34:35], -1
	s_or_b64 s[14:15], s[14:15], s[16:17]
	s_and_b64 s[16:17], s[34:35], exec
	s_cselect_b32 s17, s13, 0
	s_cselect_b32 s16, s12, 0
	s_and_b64 vcc, exec, s[14:15]
	v_mov_b64_e32 v[4:5], s[16:17]
	s_cbranch_vccnz .LBB119_4
; %bb.3:
	v_mov_b64_e32 v[4:5], s[12:13]
	flat_load_dwordx2 v[4:5], v[4:5]
.LBB119_4:
	s_load_dwordx2 s[4:5], s[4:5], 0x0
	s_mov_b32 s3, 0
	v_cndmask_b32_e64 v1, 0, 1, s[8:9]
	s_mov_b64 s[52:53], 0
	s_waitcnt lgkmcnt(0)
	s_lshl_b64 s[4:5], s[4:5], 3
	s_add_u32 s4, s6, s4
	s_addc_u32 s5, s7, s5
	s_lshl_b64 s[2:3], s[2:3], 3
	s_add_u32 s2, s4, s2
	s_addc_u32 s3, s5, s3
	s_load_dwordx2 s[6:7], s[2:3], 0x0
	v_cmp_ne_u32_e64 s[2:3], 1, v1
	s_andn2_b64 vcc, exec, s[8:9]
	s_mov_b64 s[4:5], 0
	s_cbranch_vccz .LBB119_7
; %bb.5:
	s_and_b64 vcc, exec, s[2:3]
	s_cbranch_vccz .LBB119_8
.LBB119_6:
	s_load_dwordx2 s[54:55], s[0:1], 0x0
	s_waitcnt lgkmcnt(0)
	v_cmp_lt_i64_e64 s[2:3], s[54:55], 1
	s_and_b64 vcc, exec, s[2:3]
	s_cbranch_vccz .LBB119_9
	s_branch .LBB119_63
.LBB119_7:
	s_waitcnt lgkmcnt(0)
	s_lshl_b64 s[4:5], s[6:7], 3
	s_add_u32 s4, s10, s4
	s_addc_u32 s5, s11, s5
	s_load_dwordx2 s[4:5], s[4:5], 0x0
	s_waitcnt lgkmcnt(0)
	s_sub_u32 s4, s4, s44
	s_subb_u32 s5, s5, 0
	s_and_b64 vcc, exec, s[2:3]
	s_cbranch_vccnz .LBB119_6
.LBB119_8:
	s_waitcnt lgkmcnt(0)
	s_lshl_b64 s[2:3], s[6:7], 3
	s_add_u32 s2, s10, s2
	s_addc_u32 s3, s11, s3
	s_load_dwordx2 s[2:3], s[2:3], 0x8
	s_waitcnt lgkmcnt(0)
	s_sub_u32 s52, s2, s44
	s_subb_u32 s53, s3, 0
	s_load_dwordx2 s[54:55], s[0:1], 0x0
	s_waitcnt lgkmcnt(0)
	v_cmp_lt_i64_e64 s[2:3], s[54:55], 1
	s_and_b64 vcc, exec, s[2:3]
	s_cbranch_vccnz .LBB119_63
.LBB119_9:
	s_load_dwordx8 s[24:31], s[0:1], 0x58
	s_load_dwordx4 s[48:51], s[0:1], 0x80
	s_load_dwordx8 s[36:43], s[0:1], 0x28
	s_load_dwordx2 s[56:57], s[0:1], 0x48
	s_lshl_b64 s[6:7], s[6:7], 3
	s_waitcnt lgkmcnt(0)
	s_add_u32 s0, s30, s6
	s_addc_u32 s1, s31, s7
	s_load_dwordx2 s[2:3], s[0:1], 0x0
	v_mov_b32_e32 v7, 0
	v_lshrrev_b32_e32 v14, 4, v0
	v_mov_b32_e32 v15, v7
	v_lshl_add_u64 v[8:9], s[4:5], 0, v[14:15]
	s_waitcnt lgkmcnt(0)
	s_sub_u32 s20, s2, s46
	s_subb_u32 s21, s3, 0
	v_subrev_co_u32_e64 v10, s[4:5], s47, v0
	v_mbcnt_lo_u32_b32 v1, -1, 0
	v_cmp_gt_i64_e32 vcc, s[52:53], v[8:9]
	s_add_u32 s24, s24, s6
	v_subb_co_u32_e64 v11, s[4:5], 0, 0, s[4:5]
	v_mbcnt_hi_u32_b32 v1, -1, v1
	v_and_b32_e32 v6, 15, v0
	s_addc_u32 s25, s25, s7
	v_sub_u32_e32 v1, 63, v1
	s_movk_i32 s4, 0x1ff
	s_and_b64 s[30:31], s[8:9], vcc
	s_movk_i32 s8, 0x80
	s_movk_i32 s10, 0xc0
	;; [unrolled: 1-line block ×6, first 2 shown]
	v_cmp_eq_u32_e64 s[0:1], 0, v0
	s_mov_b32 s33, s45
	v_cmp_eq_u32_e64 s[2:3], 15, v6
	s_mov_b32 s45, s47
	v_lshrrev_b64 v[12:13], v1, -1
	v_and_b32_e32 v40, 28, v14
	v_cmp_eq_u32_e64 s[4:5], s4, v0
	v_cmp_gt_u32_e64 s[6:7], 64, v0
	v_cmp_gt_u32_e64 s[8:9], s8, v0
	;; [unrolled: 1-line block ×7, first 2 shown]
	v_or_b32_e32 v41, 0xfffffe00, v0
	v_lshlrev_b32_e32 v42, 3, v0
	v_mov_b64_e32 v[14:15], 0
	v_mov_b64_e32 v[16:17], 0x800
	;; [unrolled: 1-line block ×3, first 2 shown]
	v_mov_b32_e32 v44, v7
	v_mov_b32_e32 v45, v7
	s_movk_i32 s80, 0x5ff
	v_mov_b64_e32 v[46:47], s[54:55]
	v_mov_b32_e32 v43, 1
	s_mov_b64 s[46:47], 0x80
	s_mov_b64 s[58:59], 0x200
	;; [unrolled: 1-line block ×4, first 2 shown]
	s_branch .LBB119_11
.LBB119_10:                             ;   in Loop: Header=BB119_11 Depth=1
	s_or_b64 exec, exec, s[20:21]
	ds_read_b64 v[14:15], v7 offset:18432
	s_waitcnt lgkmcnt(0)
	s_barrier
	v_cmp_le_i64_e32 vcc, s[54:55], v[14:15]
	v_lshl_add_u64 v[16:17], v[14:15], 0, s[62:63]
	s_cbranch_vccnz .LBB119_63
.LBB119_11:                             ; =>This Loop Header: Depth=1
                                        ;     Child Loop BB119_12 Depth 2
                                        ;     Child Loop BB119_18 Depth 2
                                        ;       Child Loop BB119_26 Depth 3
                                        ;     Child Loop BB119_42 Depth 2
                                        ;     Child Loop BB119_54 Depth 2
	;; [unrolled: 1-line block ×3, first 2 shown]
	s_mov_b64 s[20:21], 0
	v_mov_b32_e32 v18, v42
	v_mov_b32_e32 v19, v41
.LBB119_12:                             ;   Parent Loop BB119_11 Depth=1
                                        ; =>  This Inner Loop Header: Depth=2
	ds_write_b8 v19, v7 offset:16896
	ds_write_b64 v18, v[44:45]
	v_add_u32_e32 v19, 0x200, v19
	v_cmp_lt_u32_e32 vcc, s80, v19
	s_or_b64 s[20:21], vcc, s[20:21]
	v_add_u32_e32 v18, 0x1000, v18
	s_andn2_b64 exec, exec, s[20:21]
	s_cbranch_execnz .LBB119_12
; %bb.13:                               ;   in Loop: Header=BB119_11 Depth=1
	s_or_b64 exec, exec, s[20:21]
	s_and_saveexec_b64 s[20:21], s[0:1]
; %bb.14:                               ;   in Loop: Header=BB119_11 Depth=1
	ds_write_b64 v7, v[46:47] offset:18432
; %bb.15:                               ;   in Loop: Header=BB119_11 Depth=1
	s_or_b64 exec, exec, s[20:21]
	v_mov_b64_e32 v[18:19], s[54:55]
	s_waitcnt lgkmcnt(0)
	s_barrier
	s_and_saveexec_b64 s[64:65], s[30:31]
	s_cbranch_execz .LBB119_38
; %bb.16:                               ;   in Loop: Header=BB119_11 Depth=1
	s_mov_b64 s[66:67], 0
	v_cmp_ne_u64_e64 s[20:21], 0, v[14:15]
	v_mov_b64_e32 v[18:19], s[54:55]
	v_mov_b64_e32 v[20:21], v[8:9]
	s_branch .LBB119_18
.LBB119_17:                             ;   in Loop: Header=BB119_18 Depth=2
	s_or_b64 exec, exec, s[22:23]
	v_lshl_add_u64 v[20:21], v[20:21], 0, 32
	v_cmp_le_i64_e32 vcc, s[52:53], v[20:21]
	s_or_b64 s[66:67], vcc, s[66:67]
	s_andn2_b64 exec, exec, s[66:67]
	s_cbranch_execz .LBB119_37
.LBB119_18:                             ;   Parent Loop BB119_11 Depth=1
                                        ; =>  This Loop Header: Depth=2
                                        ;       Child Loop BB119_26 Depth 3
	v_lshlrev_b64 v[22:23], 3, v[20:21]
	v_lshl_add_u64 v[24:25], s[36:37], 0, v[22:23]
	v_lshl_add_u64 v[22:23], s[38:39], 0, v[22:23]
	global_load_dwordx2 v[26:27], v[24:25], off
	global_load_dwordx2 v[28:29], v[22:23], off
	s_and_b64 vcc, exec, s[20:21]
	v_lshl_add_u64 v[22:23], v[20:21], 3, s[50:51]
	s_cbranch_vccz .LBB119_20
; %bb.19:                               ;   in Loop: Header=BB119_18 Depth=2
	global_load_dwordx2 v[24:25], v[22:23], off
	s_mov_b64 s[22:23], 0
	s_branch .LBB119_21
.LBB119_20:                             ;   in Loop: Header=BB119_18 Depth=2
	s_mov_b64 s[22:23], -1
                                        ; implicit-def: $vgpr24_vgpr25
.LBB119_21:                             ;   in Loop: Header=BB119_18 Depth=2
	s_waitcnt vmcnt(0)
	v_subrev_co_u32_e32 v26, vcc, s44, v26
	s_nop 1
	v_subbrev_co_u32_e32 v27, vcc, 0, v27, vcc
	s_andn2_b64 vcc, exec, s[22:23]
	v_lshl_add_u64 v[26:27], v[26:27], 3, s[40:41]
	s_cbranch_vccnz .LBB119_23
; %bb.22:                               ;   in Loop: Header=BB119_18 Depth=2
	global_load_dwordx2 v[24:25], v[26:27], off
	s_waitcnt vmcnt(0)
	v_subrev_co_u32_e32 v24, vcc, s33, v24
	s_nop 1
	v_subbrev_co_u32_e32 v25, vcc, 0, v25, vcc
.LBB119_23:                             ;   in Loop: Header=BB119_18 Depth=2
	global_load_dwordx2 v[26:27], v[26:27], off offset:8
	v_lshl_add_u64 v[24:25], v[24:25], 0, v[6:7]
	s_waitcnt vmcnt(0)
	v_subrev_co_u32_e32 v26, vcc, s33, v26
	s_nop 1
	v_subbrev_co_u32_e32 v27, vcc, 0, v27, vcc
	v_cmp_lt_i64_e32 vcc, v[24:25], v[26:27]
	s_and_saveexec_b64 s[68:69], vcc
	s_cbranch_execz .LBB119_35
; %bb.24:                               ;   in Loop: Header=BB119_18 Depth=2
	v_lshlrev_b64 v[32:33], 3, v[24:25]
	v_mul_f64 v[28:29], v[2:3], v[28:29]
	v_lshl_add_u64 v[30:31], s[42:43], 0, v[32:33]
	v_lshl_add_u64 v[34:35], s[56:57], 0, v[32:33]
	s_mov_b64 s[72:73], 0
	v_mov_b64_e32 v[38:39], v[24:25]
                                        ; implicit-def: $sgpr70_sgpr71
                                        ; implicit-def: $sgpr74_sgpr75
	s_branch .LBB119_26
.LBB119_25:                             ;   in Loop: Header=BB119_26 Depth=3
	s_or_b64 exec, exec, s[78:79]
	s_and_b64 s[22:23], exec, s[76:77]
	s_or_b64 s[72:73], s[22:23], s[72:73]
	s_andn2_b64 s[22:23], s[70:71], exec
	s_and_b64 s[70:71], s[74:75], exec
	s_or_b64 s[70:71], s[22:23], s[70:71]
	s_andn2_b64 exec, exec, s[72:73]
	s_cbranch_execz .LBB119_32
.LBB119_26:                             ;   Parent Loop BB119_11 Depth=1
                                        ;     Parent Loop BB119_18 Depth=2
                                        ; =>    This Inner Loop Header: Depth=3
	global_load_dwordx2 v[36:37], v[30:31], off
	v_mov_b64_e32 v[32:33], v[38:39]
	s_waitcnt vmcnt(0)
	v_subrev_co_u32_e32 v36, vcc, s33, v36
	s_nop 1
	v_subbrev_co_u32_e32 v37, vcc, 0, v37, vcc
	v_cmp_lt_i64_e32 vcc, v[36:37], v[14:15]
	v_cmp_ge_i64_e64 s[22:23], v[36:37], v[16:17]
	s_or_b64 s[76:77], vcc, s[22:23]
	s_mov_b64 s[22:23], 0
	s_and_saveexec_b64 s[78:79], s[76:77]
	s_xor_b64 s[76:77], exec, s[78:79]
; %bb.27:                               ;   in Loop: Header=BB119_26 Depth=3
	v_cmp_lt_i64_e32 vcc, v[36:37], v[16:17]
	s_and_b64 s[22:23], vcc, exec
; %bb.28:                               ;   in Loop: Header=BB119_26 Depth=3
	s_andn2_saveexec_b64 s[76:77], s[76:77]
	s_cbranch_execz .LBB119_30
; %bb.29:                               ;   in Loop: Header=BB119_26 Depth=3
	global_load_dwordx2 v[38:39], v[34:35], off
	v_sub_u32_e32 v48, v36, v14
	ds_write_b8 v48, v43 offset:16384
	v_lshlrev_b32_e32 v48, 3, v48
	s_or_b64 s[22:23], s[22:23], exec
	s_waitcnt vmcnt(0)
	v_mul_f64 v[38:39], v[28:29], v[38:39]
	ds_add_f64 v48, v[38:39]
.LBB119_30:                             ;   in Loop: Header=BB119_26 Depth=3
	s_or_b64 exec, exec, s[76:77]
	s_mov_b64 s[76:77], -1
	s_or_b64 s[74:75], s[74:75], exec
                                        ; implicit-def: $vgpr38_vgpr39
	s_and_saveexec_b64 s[78:79], s[22:23]
	s_cbranch_execz .LBB119_25
; %bb.31:                               ;   in Loop: Header=BB119_26 Depth=3
	v_lshl_add_u64 v[38:39], v[32:33], 0, 16
	v_cmp_ge_i64_e32 vcc, v[38:39], v[26:27]
	v_lshl_add_u64 v[30:31], v[30:31], 0, s[46:47]
	v_lshl_add_u64 v[34:35], v[34:35], 0, s[46:47]
	s_andn2_b64 s[74:75], s[74:75], exec
	s_orn2_b64 s[76:77], vcc, exec
	s_branch .LBB119_25
.LBB119_32:                             ;   in Loop: Header=BB119_18 Depth=2
	s_or_b64 exec, exec, s[72:73]
	s_and_saveexec_b64 s[22:23], s[70:71]
	s_xor_b64 s[22:23], exec, s[22:23]
; %bb.33:                               ;   in Loop: Header=BB119_18 Depth=2
	v_cmp_lt_i64_e32 vcc, v[36:37], v[18:19]
	v_mov_b64_e32 v[24:25], v[32:33]
	s_nop 0
	v_cndmask_b32_e32 v19, v19, v37, vcc
	v_cndmask_b32_e32 v18, v18, v36, vcc
; %bb.34:                               ;   in Loop: Header=BB119_18 Depth=2
	s_or_b64 exec, exec, s[22:23]
.LBB119_35:                             ;   in Loop: Header=BB119_18 Depth=2
	s_or_b64 exec, exec, s[68:69]
	v_mov_b32_dpp v26, v24 row_shr:1 row_mask:0xf bank_mask:0xf
	v_mov_b32_dpp v27, v25 row_shr:1 row_mask:0xf bank_mask:0xf
	v_cmp_lt_i64_e32 vcc, v[26:27], v[24:25]
	s_nop 1
	v_cndmask_b32_e32 v25, v25, v27, vcc
	v_cndmask_b32_e32 v24, v24, v26, vcc
	s_nop 0
	v_mov_b32_dpp v27, v25 row_shr:2 row_mask:0xf bank_mask:0xf
	v_mov_b32_dpp v26, v24 row_shr:2 row_mask:0xf bank_mask:0xf
	v_cmp_lt_i64_e32 vcc, v[26:27], v[24:25]
	s_nop 1
	v_cndmask_b32_e32 v25, v25, v27, vcc
	v_cndmask_b32_e32 v24, v24, v26, vcc
	s_nop 0
	;; [unrolled: 7-line block ×3, first 2 shown]
	v_mov_b32_dpp v28, v25 row_shr:8 row_mask:0xf bank_mask:0xc
	v_mov_b32_dpp v26, v24 row_shr:8 row_mask:0xf bank_mask:0xc
	s_and_saveexec_b64 s[22:23], s[2:3]
	s_cbranch_execz .LBB119_17
; %bb.36:                               ;   in Loop: Header=BB119_18 Depth=2
	v_mov_b32_e32 v27, v28
	v_cmp_lt_i64_e32 vcc, v[26:27], v[24:25]
	s_nop 1
	v_cndmask_b32_e32 v25, v25, v28, vcc
	v_cndmask_b32_e32 v24, v24, v26, vcc
	global_store_dwordx2 v[22:23], v[24:25], off
	s_branch .LBB119_17
.LBB119_37:                             ;   in Loop: Header=BB119_11 Depth=1
	s_or_b64 exec, exec, s[66:67]
.LBB119_38:                             ;   in Loop: Header=BB119_11 Depth=1
	s_or_b64 exec, exec, s[64:65]
	s_andn2_b64 vcc, exec, s[34:35]
	s_cbranch_vccnz .LBB119_52
; %bb.39:                               ;   in Loop: Header=BB119_11 Depth=1
	s_load_dwordx4 s[20:23], s[24:25], 0x0
	s_waitcnt lgkmcnt(0)
	s_sub_u32 s64, s22, s45
	s_subb_u32 s65, s23, 0
	v_lshl_add_u64 v[20:21], s[20:21], 0, v[10:11]
	v_cmp_gt_i64_e32 vcc, s[64:65], v[20:21]
	s_and_saveexec_b64 s[22:23], vcc
	s_cbranch_execz .LBB119_51
; %bb.40:                               ;   in Loop: Header=BB119_11 Depth=1
	v_lshlrev_b64 v[24:25], 3, v[20:21]
	v_lshl_add_u64 v[22:23], s[26:27], 0, v[24:25]
	v_lshl_add_u64 v[24:25], s[28:29], 0, v[24:25]
	s_mov_b64 s[66:67], 0
                                        ; implicit-def: $sgpr68_sgpr69
                                        ; implicit-def: $sgpr70_sgpr71
	s_branch .LBB119_42
.LBB119_41:                             ;   in Loop: Header=BB119_42 Depth=2
	s_or_b64 exec, exec, s[74:75]
	s_and_b64 s[20:21], exec, s[72:73]
	s_or_b64 s[66:67], s[20:21], s[66:67]
	s_andn2_b64 s[20:21], s[68:69], exec
	s_and_b64 s[68:69], s[70:71], exec
	s_or_b64 s[68:69], s[20:21], s[68:69]
	s_andn2_b64 exec, exec, s[66:67]
	s_cbranch_execz .LBB119_48
.LBB119_42:                             ;   Parent Loop BB119_11 Depth=1
                                        ; =>  This Inner Loop Header: Depth=2
	global_load_dwordx2 v[26:27], v[22:23], off
	s_waitcnt vmcnt(0)
	v_subrev_co_u32_e32 v26, vcc, s45, v26
	s_nop 1
	v_subbrev_co_u32_e32 v27, vcc, 0, v27, vcc
	v_cmp_lt_i64_e32 vcc, v[26:27], v[14:15]
	v_cmp_ge_i64_e64 s[20:21], v[26:27], v[16:17]
	s_or_b64 s[72:73], vcc, s[20:21]
	s_mov_b64 s[20:21], 0
	s_and_saveexec_b64 s[74:75], s[72:73]
	s_xor_b64 s[72:73], exec, s[74:75]
; %bb.43:                               ;   in Loop: Header=BB119_42 Depth=2
	v_cmp_lt_i64_e32 vcc, v[26:27], v[16:17]
	s_and_b64 s[20:21], vcc, exec
; %bb.44:                               ;   in Loop: Header=BB119_42 Depth=2
	s_andn2_saveexec_b64 s[72:73], s[72:73]
	s_cbranch_execz .LBB119_46
; %bb.45:                               ;   in Loop: Header=BB119_42 Depth=2
	global_load_dwordx2 v[28:29], v[24:25], off
	v_sub_u32_e32 v30, v26, v14
	ds_write_b8 v30, v43 offset:16384
	v_lshlrev_b32_e32 v30, 3, v30
	s_or_b64 s[20:21], s[20:21], exec
	s_waitcnt vmcnt(0)
	v_mul_f64 v[28:29], v[4:5], v[28:29]
	ds_add_f64 v30, v[28:29]
.LBB119_46:                             ;   in Loop: Header=BB119_42 Depth=2
	s_or_b64 exec, exec, s[72:73]
	s_mov_b64 s[72:73], -1
	s_or_b64 s[70:71], s[70:71], exec
	s_and_saveexec_b64 s[74:75], s[20:21]
	s_cbranch_execz .LBB119_41
; %bb.47:                               ;   in Loop: Header=BB119_42 Depth=2
	v_lshl_add_u64 v[20:21], v[20:21], 0, s[58:59]
	v_cmp_le_i64_e32 vcc, s[64:65], v[20:21]
	v_lshl_add_u64 v[22:23], v[22:23], 0, s[60:61]
	v_lshl_add_u64 v[24:25], v[24:25], 0, s[60:61]
	s_andn2_b64 s[70:71], s[70:71], exec
	s_orn2_b64 s[72:73], vcc, exec
	s_branch .LBB119_41
.LBB119_48:                             ;   in Loop: Header=BB119_11 Depth=1
	s_or_b64 exec, exec, s[66:67]
	s_and_saveexec_b64 s[20:21], s[68:69]
	s_xor_b64 s[20:21], exec, s[20:21]
; %bb.49:                               ;   in Loop: Header=BB119_11 Depth=1
	v_cmp_lt_i64_e32 vcc, v[26:27], v[18:19]
	s_nop 1
	v_cndmask_b32_e32 v19, v19, v27, vcc
	v_cndmask_b32_e32 v18, v18, v26, vcc
; %bb.50:                               ;   in Loop: Header=BB119_11 Depth=1
	s_or_b64 exec, exec, s[20:21]
.LBB119_51:                             ;   in Loop: Header=BB119_11 Depth=1
	s_or_b64 exec, exec, s[22:23]
.LBB119_52:                             ;   in Loop: Header=BB119_11 Depth=1
	v_mov_b32_dpp v14, v18 row_shr:1 row_mask:0xf bank_mask:0xf
	v_mov_b32_dpp v15, v19 row_shr:1 row_mask:0xf bank_mask:0xf
	v_cmp_lt_i64_e32 vcc, v[14:15], v[18:19]
	s_nop 1
	v_cndmask_b32_e32 v15, v19, v15, vcc
	v_cndmask_b32_e32 v14, v18, v14, vcc
	s_nop 0
	v_mov_b32_dpp v17, v15 row_shr:2 row_mask:0xf bank_mask:0xf
	v_mov_b32_dpp v16, v14 row_shr:2 row_mask:0xf bank_mask:0xf
	v_cmp_lt_i64_e32 vcc, v[16:17], v[14:15]
	s_nop 1
	v_cndmask_b32_e32 v15, v15, v17, vcc
	v_cndmask_b32_e32 v14, v14, v16, vcc
	s_nop 0
	;; [unrolled: 7-line block ×3, first 2 shown]
	v_mov_b32_dpp v18, v15 row_shr:8 row_mask:0xf bank_mask:0xc
	v_mov_b32_dpp v16, v14 row_shr:8 row_mask:0xf bank_mask:0xc
	s_and_saveexec_b64 s[20:21], s[2:3]
	s_cbranch_execz .LBB119_57
; %bb.53:                               ;   in Loop: Header=BB119_11 Depth=1
	v_mov_b32_e32 v17, v18
	v_cmp_lt_i64_e32 vcc, v[16:17], v[14:15]
	s_mov_b64 s[64:65], exec
	s_mov_b64 s[22:23], -1
	v_cndmask_b32_e32 v15, v15, v18, vcc
	v_cndmask_b32_e32 v14, v14, v16, vcc
.LBB119_54:                             ;   Parent Loop BB119_11 Depth=1
                                        ; =>  This Inner Loop Header: Depth=2
	s_ff1_i32_b64 s68, s[64:65]
	v_readlane_b32 s69, v15, s68
	v_readlane_b32 s70, v14, s68
	s_nop 0
	v_mov_b32_e32 v17, s69
	v_mov_b32_e32 v16, s70
	v_cmp_lt_u64_e32 vcc, s[22:23], v[16:17]
	s_and_b64 s[66:67], vcc, exec
	s_cselect_b32 s23, s23, s69
	s_cselect_b32 s22, s22, s70
	s_lshl_b64 s[66:67], 1, s68
	s_andn2_b64 s[64:65], s[64:65], s[66:67]
	s_cmp_lg_u64 s[64:65], 0
	s_cbranch_scc1 .LBB119_54
; %bb.55:                               ;   in Loop: Header=BB119_11 Depth=1
	v_mbcnt_lo_u32_b32 v14, exec_lo, 0
	v_mbcnt_hi_u32_b32 v14, exec_hi, v14
	v_cmp_eq_u32_e32 vcc, 0, v14
	s_and_saveexec_b64 s[64:65], vcc
	s_xor_b64 s[64:65], exec, s[64:65]
; %bb.56:                               ;   in Loop: Header=BB119_11 Depth=1
	v_mov_b64_e32 v[14:15], s[22:23]
	ds_min_u64 v7, v[14:15] offset:18432
.LBB119_57:                             ;   in Loop: Header=BB119_11 Depth=1
	s_or_b64 exec, exec, s[20:21]
	s_mov_b64 s[20:21], 0
	v_mov_b32_e32 v18, v42
	v_mov_b32_e32 v19, v41
	s_waitcnt lgkmcnt(0)
	s_barrier
	s_branch .LBB119_59
.LBB119_58:                             ;   in Loop: Header=BB119_59 Depth=2
	s_or_b64 exec, exec, s[22:23]
	s_waitcnt lgkmcnt(0)
	s_barrier
	ds_read_b32 v14, v7 offset:28
	v_add_u32_e32 v19, 0x200, v19
	v_cmp_lt_u32_e32 vcc, s80, v19
	s_or_b64 s[20:21], vcc, s[20:21]
	v_add_u32_e32 v18, 0x1000, v18
	s_waitcnt lgkmcnt(0)
	v_ashrrev_i32_e32 v15, 31, v14
	v_lshl_add_u64 v[0:1], v[0:1], 0, v[14:15]
	s_andn2_b64 exec, exec, s[20:21]
	s_cbranch_execz .LBB119_10
.LBB119_59:                             ;   Parent Loop BB119_11 Depth=1
                                        ; =>  This Inner Loop Header: Depth=2
	ds_read_u8 v17, v19 offset:16896
	ds_read_b64 v[14:15], v18
	s_waitcnt lgkmcnt(0)
	s_barrier
	v_cmp_ne_u16_e32 vcc, 0, v17
	s_bcnt1_i32_b64 s22, vcc
	v_mov_b32_e32 v20, s22
	ds_write_b32 v40, v20
	s_waitcnt lgkmcnt(0)
	s_barrier
	ds_read_b128 v[20:23], v7
	v_and_b32_e32 v24, vcc_lo, v12
	v_and_b32_e32 v16, vcc_hi, v13
	v_bcnt_u32_b32 v24, v24, 0
	v_bcnt_u32_b32 v16, v16, v24
	ds_read_b96 v[24:26], v7 offset:16
	s_waitcnt lgkmcnt(0)
	v_cndmask_b32_e64 v20, v20, 0, s[6:7]
	v_add_u32_e32 v16, v20, v16
	v_cndmask_b32_e64 v20, v21, 0, s[8:9]
	v_cndmask_b32_e64 v21, v22, 0, s[10:11]
	v_add3_u32 v16, v16, v20, v21
	v_cndmask_b32_e64 v20, v23, 0, s[12:13]
	v_cndmask_b32_e64 v21, v24, 0, s[14:15]
	v_add3_u32 v16, v16, v20, v21
	v_cndmask_b32_e64 v20, v25, 0, s[16:17]
	v_cndmask_b32_e64 v21, v26, 0, s[18:19]
	v_and_b32_e32 v17, 1, v17
	v_add3_u32 v16, v16, v20, v21
	v_cmp_eq_u32_e32 vcc, 1, v17
	s_and_saveexec_b64 s[22:23], vcc
	s_cbranch_execz .LBB119_61
; %bb.60:                               ;   in Loop: Header=BB119_59 Depth=2
	v_lshl_add_u64 v[20:21], v[0:1], 3, s[48:49]
	v_ashrrev_i32_e32 v17, 31, v16
	v_lshl_add_u64 v[20:21], v[16:17], 3, v[20:21]
	global_store_dwordx2 v[20:21], v[14:15], off offset:-8
.LBB119_61:                             ;   in Loop: Header=BB119_59 Depth=2
	s_or_b64 exec, exec, s[22:23]
	s_and_saveexec_b64 s[22:23], s[4:5]
	s_cbranch_execz .LBB119_58
; %bb.62:                               ;   in Loop: Header=BB119_59 Depth=2
	ds_write_b32 v7, v16 offset:28
	s_branch .LBB119_58
.LBB119_63:
	s_endpgm
	.section	.rodata,"a",@progbits
	.p2align	6, 0x0
	.amdhsa_kernel _ZN9rocsparseL51csrgemm_numeric_fill_block_per_row_multipass_kernelILj512ELj16ELj2048ELj64ElldEEvT4_PKS1_S3_NS_24const_host_device_scalarIT5_EEPKT3_S3_PKS5_S9_S3_SB_S6_S9_S3_SB_S9_S3_PS5_PS7_21rocsparse_index_base_SE_SE_SE_bbb
		.amdhsa_group_segment_fixed_size 18440
		.amdhsa_private_segment_fixed_size 0
		.amdhsa_kernarg_size 164
		.amdhsa_user_sgpr_count 2
		.amdhsa_user_sgpr_dispatch_ptr 0
		.amdhsa_user_sgpr_queue_ptr 0
		.amdhsa_user_sgpr_kernarg_segment_ptr 1
		.amdhsa_user_sgpr_dispatch_id 0
		.amdhsa_user_sgpr_kernarg_preload_length 0
		.amdhsa_user_sgpr_kernarg_preload_offset 0
		.amdhsa_user_sgpr_private_segment_size 0
		.amdhsa_uses_dynamic_stack 0
		.amdhsa_enable_private_segment 0
		.amdhsa_system_sgpr_workgroup_id_x 1
		.amdhsa_system_sgpr_workgroup_id_y 0
		.amdhsa_system_sgpr_workgroup_id_z 0
		.amdhsa_system_sgpr_workgroup_info 0
		.amdhsa_system_vgpr_workitem_id 0
		.amdhsa_next_free_vgpr 49
		.amdhsa_next_free_sgpr 81
		.amdhsa_accum_offset 52
		.amdhsa_reserve_vcc 1
		.amdhsa_float_round_mode_32 0
		.amdhsa_float_round_mode_16_64 0
		.amdhsa_float_denorm_mode_32 3
		.amdhsa_float_denorm_mode_16_64 3
		.amdhsa_dx10_clamp 1
		.amdhsa_ieee_mode 1
		.amdhsa_fp16_overflow 0
		.amdhsa_tg_split 0
		.amdhsa_exception_fp_ieee_invalid_op 0
		.amdhsa_exception_fp_denorm_src 0
		.amdhsa_exception_fp_ieee_div_zero 0
		.amdhsa_exception_fp_ieee_overflow 0
		.amdhsa_exception_fp_ieee_underflow 0
		.amdhsa_exception_fp_ieee_inexact 0
		.amdhsa_exception_int_div_zero 0
	.end_amdhsa_kernel
	.section	.text._ZN9rocsparseL51csrgemm_numeric_fill_block_per_row_multipass_kernelILj512ELj16ELj2048ELj64ElldEEvT4_PKS1_S3_NS_24const_host_device_scalarIT5_EEPKT3_S3_PKS5_S9_S3_SB_S6_S9_S3_SB_S9_S3_PS5_PS7_21rocsparse_index_base_SE_SE_SE_bbb,"axG",@progbits,_ZN9rocsparseL51csrgemm_numeric_fill_block_per_row_multipass_kernelILj512ELj16ELj2048ELj64ElldEEvT4_PKS1_S3_NS_24const_host_device_scalarIT5_EEPKT3_S3_PKS5_S9_S3_SB_S6_S9_S3_SB_S9_S3_PS5_PS7_21rocsparse_index_base_SE_SE_SE_bbb,comdat
.Lfunc_end119:
	.size	_ZN9rocsparseL51csrgemm_numeric_fill_block_per_row_multipass_kernelILj512ELj16ELj2048ELj64ElldEEvT4_PKS1_S3_NS_24const_host_device_scalarIT5_EEPKT3_S3_PKS5_S9_S3_SB_S6_S9_S3_SB_S9_S3_PS5_PS7_21rocsparse_index_base_SE_SE_SE_bbb, .Lfunc_end119-_ZN9rocsparseL51csrgemm_numeric_fill_block_per_row_multipass_kernelILj512ELj16ELj2048ELj64ElldEEvT4_PKS1_S3_NS_24const_host_device_scalarIT5_EEPKT3_S3_PKS5_S9_S3_SB_S6_S9_S3_SB_S9_S3_PS5_PS7_21rocsparse_index_base_SE_SE_SE_bbb
                                        ; -- End function
	.set _ZN9rocsparseL51csrgemm_numeric_fill_block_per_row_multipass_kernelILj512ELj16ELj2048ELj64ElldEEvT4_PKS1_S3_NS_24const_host_device_scalarIT5_EEPKT3_S3_PKS5_S9_S3_SB_S6_S9_S3_SB_S9_S3_PS5_PS7_21rocsparse_index_base_SE_SE_SE_bbb.num_vgpr, 49
	.set _ZN9rocsparseL51csrgemm_numeric_fill_block_per_row_multipass_kernelILj512ELj16ELj2048ELj64ElldEEvT4_PKS1_S3_NS_24const_host_device_scalarIT5_EEPKT3_S3_PKS5_S9_S3_SB_S6_S9_S3_SB_S9_S3_PS5_PS7_21rocsparse_index_base_SE_SE_SE_bbb.num_agpr, 0
	.set _ZN9rocsparseL51csrgemm_numeric_fill_block_per_row_multipass_kernelILj512ELj16ELj2048ELj64ElldEEvT4_PKS1_S3_NS_24const_host_device_scalarIT5_EEPKT3_S3_PKS5_S9_S3_SB_S6_S9_S3_SB_S9_S3_PS5_PS7_21rocsparse_index_base_SE_SE_SE_bbb.numbered_sgpr, 81
	.set _ZN9rocsparseL51csrgemm_numeric_fill_block_per_row_multipass_kernelILj512ELj16ELj2048ELj64ElldEEvT4_PKS1_S3_NS_24const_host_device_scalarIT5_EEPKT3_S3_PKS5_S9_S3_SB_S6_S9_S3_SB_S9_S3_PS5_PS7_21rocsparse_index_base_SE_SE_SE_bbb.num_named_barrier, 0
	.set _ZN9rocsparseL51csrgemm_numeric_fill_block_per_row_multipass_kernelILj512ELj16ELj2048ELj64ElldEEvT4_PKS1_S3_NS_24const_host_device_scalarIT5_EEPKT3_S3_PKS5_S9_S3_SB_S6_S9_S3_SB_S9_S3_PS5_PS7_21rocsparse_index_base_SE_SE_SE_bbb.private_seg_size, 0
	.set _ZN9rocsparseL51csrgemm_numeric_fill_block_per_row_multipass_kernelILj512ELj16ELj2048ELj64ElldEEvT4_PKS1_S3_NS_24const_host_device_scalarIT5_EEPKT3_S3_PKS5_S9_S3_SB_S6_S9_S3_SB_S9_S3_PS5_PS7_21rocsparse_index_base_SE_SE_SE_bbb.uses_vcc, 1
	.set _ZN9rocsparseL51csrgemm_numeric_fill_block_per_row_multipass_kernelILj512ELj16ELj2048ELj64ElldEEvT4_PKS1_S3_NS_24const_host_device_scalarIT5_EEPKT3_S3_PKS5_S9_S3_SB_S6_S9_S3_SB_S9_S3_PS5_PS7_21rocsparse_index_base_SE_SE_SE_bbb.uses_flat_scratch, 0
	.set _ZN9rocsparseL51csrgemm_numeric_fill_block_per_row_multipass_kernelILj512ELj16ELj2048ELj64ElldEEvT4_PKS1_S3_NS_24const_host_device_scalarIT5_EEPKT3_S3_PKS5_S9_S3_SB_S6_S9_S3_SB_S9_S3_PS5_PS7_21rocsparse_index_base_SE_SE_SE_bbb.has_dyn_sized_stack, 0
	.set _ZN9rocsparseL51csrgemm_numeric_fill_block_per_row_multipass_kernelILj512ELj16ELj2048ELj64ElldEEvT4_PKS1_S3_NS_24const_host_device_scalarIT5_EEPKT3_S3_PKS5_S9_S3_SB_S6_S9_S3_SB_S9_S3_PS5_PS7_21rocsparse_index_base_SE_SE_SE_bbb.has_recursion, 0
	.set _ZN9rocsparseL51csrgemm_numeric_fill_block_per_row_multipass_kernelILj512ELj16ELj2048ELj64ElldEEvT4_PKS1_S3_NS_24const_host_device_scalarIT5_EEPKT3_S3_PKS5_S9_S3_SB_S6_S9_S3_SB_S9_S3_PS5_PS7_21rocsparse_index_base_SE_SE_SE_bbb.has_indirect_call, 0
	.section	.AMDGPU.csdata,"",@progbits
; Kernel info:
; codeLenInByte = 2512
; TotalNumSgprs: 87
; NumVgprs: 49
; NumAgprs: 0
; TotalNumVgprs: 49
; ScratchSize: 0
; MemoryBound: 0
; FloatMode: 240
; IeeeMode: 1
; LDSByteSize: 18440 bytes/workgroup (compile time only)
; SGPRBlocks: 10
; VGPRBlocks: 6
; NumSGPRsForWavesPerEU: 87
; NumVGPRsForWavesPerEU: 49
; AccumOffset: 52
; Occupancy: 8
; WaveLimiterHint : 1
; COMPUTE_PGM_RSRC2:SCRATCH_EN: 0
; COMPUTE_PGM_RSRC2:USER_SGPR: 2
; COMPUTE_PGM_RSRC2:TRAP_HANDLER: 0
; COMPUTE_PGM_RSRC2:TGID_X_EN: 1
; COMPUTE_PGM_RSRC2:TGID_Y_EN: 0
; COMPUTE_PGM_RSRC2:TGID_Z_EN: 0
; COMPUTE_PGM_RSRC2:TIDIG_COMP_CNT: 0
; COMPUTE_PGM_RSRC3_GFX90A:ACCUM_OFFSET: 12
; COMPUTE_PGM_RSRC3_GFX90A:TG_SPLIT: 0
	.section	.text._ZN9rocsparseL38csrgemm_numeric_fill_wf_per_row_kernelILj256ELj8ELj16ELj137Ell21rocsparse_complex_numIfEEEvT4_S3_PKS3_S5_NS_24const_host_device_scalarIT5_EEPKT3_S5_PKS7_SB_S5_SD_S8_SB_S5_SD_SB_S5_PS7_21rocsparse_index_base_SF_SF_SF_bbb,"axG",@progbits,_ZN9rocsparseL38csrgemm_numeric_fill_wf_per_row_kernelILj256ELj8ELj16ELj137Ell21rocsparse_complex_numIfEEEvT4_S3_PKS3_S5_NS_24const_host_device_scalarIT5_EEPKT3_S5_PKS7_SB_S5_SD_S8_SB_S5_SD_SB_S5_PS7_21rocsparse_index_base_SF_SF_SF_bbb,comdat
	.globl	_ZN9rocsparseL38csrgemm_numeric_fill_wf_per_row_kernelILj256ELj8ELj16ELj137Ell21rocsparse_complex_numIfEEEvT4_S3_PKS3_S5_NS_24const_host_device_scalarIT5_EEPKT3_S5_PKS7_SB_S5_SD_S8_SB_S5_SD_SB_S5_PS7_21rocsparse_index_base_SF_SF_SF_bbb ; -- Begin function _ZN9rocsparseL38csrgemm_numeric_fill_wf_per_row_kernelILj256ELj8ELj16ELj137Ell21rocsparse_complex_numIfEEEvT4_S3_PKS3_S5_NS_24const_host_device_scalarIT5_EEPKT3_S5_PKS7_SB_S5_SD_S8_SB_S5_SD_SB_S5_PS7_21rocsparse_index_base_SF_SF_SF_bbb
	.p2align	8
	.type	_ZN9rocsparseL38csrgemm_numeric_fill_wf_per_row_kernelILj256ELj8ELj16ELj137Ell21rocsparse_complex_numIfEEEvT4_S3_PKS3_S5_NS_24const_host_device_scalarIT5_EEPKT3_S5_PKS7_SB_S5_SD_S8_SB_S5_SD_SB_S5_PS7_21rocsparse_index_base_SF_SF_SF_bbb,@function
_ZN9rocsparseL38csrgemm_numeric_fill_wf_per_row_kernelILj256ELj8ELj16ELj137Ell21rocsparse_complex_numIfEEEvT4_S3_PKS3_S5_NS_24const_host_device_scalarIT5_EEPKT3_S5_PKS7_SB_S5_SD_S8_SB_S5_SD_SB_S5_PS7_21rocsparse_index_base_SF_SF_SF_bbb: ; @_ZN9rocsparseL38csrgemm_numeric_fill_wf_per_row_kernelILj256ELj8ELj16ELj137Ell21rocsparse_complex_numIfEEEvT4_S3_PKS3_S5_NS_24const_host_device_scalarIT5_EEPKT3_S5_PKS7_SB_S5_SD_S8_SB_S5_SD_SB_S5_PS7_21rocsparse_index_base_SF_SF_SF_bbb
; %bb.0:
	s_load_dwordx2 s[34:35], s[0:1], 0x78
	s_load_dwordx4 s[24:27], s[0:1], 0x58
	s_load_dword s3, s[0:1], 0xa0
	s_load_dwordx4 s[36:39], s[0:1], 0x10
	s_load_dwordx8 s[8:15], s[0:1], 0x28
	s_load_dwordx2 s[40:41], s[0:1], 0x88
	s_load_dwordx4 s[16:19], s[0:1], 0x90
	s_waitcnt lgkmcnt(0)
	s_bitcmp1_b32 s3, 0
	s_cselect_b64 s[46:47], -1, 0
	s_bitcmp1_b32 s3, 16
	s_cselect_b64 s[4:5], -1, 0
	s_xor_b64 s[4:5], s[4:5], -1
	v_cndmask_b32_e64 v1, 0, 1, s[4:5]
	s_mov_b32 s43, 0
	s_bitcmp0_b32 s3, 0
	v_cmp_ne_u32_e64 s[4:5], 1, v1
	s_mov_b32 s54, 0
	s_cbranch_scc1 .LBB120_5
; %bb.1:
	s_load_dwordx2 s[42:43], s[0:1], 0x20
	s_and_b64 vcc, exec, s[4:5]
	s_waitcnt lgkmcnt(0)
	s_mov_b32 s54, s42
	s_cbranch_vccnz .LBB120_3
; %bb.2:
	s_load_dword s54, s[42:43], 0x0
.LBB120_3:
	s_and_b64 vcc, exec, s[4:5]
	s_cbranch_vccnz .LBB120_5
; %bb.4:
	s_load_dword s43, s[42:43], 0x4
.LBB120_5:
	s_nop 0
	s_load_dwordx4 s[20:23], s[0:1], 0x68
	s_load_dwordx4 s[28:31], s[0:1], 0x48
	s_bitcmp1_b32 s3, 8
	s_cselect_b64 s[44:45], -1, 0
	s_bfe_u32 s3, s3, 0x10008
	s_mov_b32 s33, 0
	s_cmp_eq_u32 s3, 0
	s_mov_b32 s42, 0
	s_cbranch_scc1 .LBB120_11
; %bb.6:
	s_and_b64 vcc, exec, s[4:5]
	s_mov_b32 s33, s24
	s_cbranch_vccnz .LBB120_8
; %bb.7:
	s_load_dword s33, s[24:25], 0x0
.LBB120_8:
	s_and_b64 vcc, exec, s[4:5]
	s_cbranch_vccnz .LBB120_10
; %bb.9:
	s_load_dword s25, s[24:25], 0x4
.LBB120_10:
	s_waitcnt lgkmcnt(0)
	s_mov_b32 s42, s25
.LBB120_11:
	s_load_dwordx4 s[4:7], s[0:1], 0x0
	v_and_b32_e32 v24, 7, v0
	v_lshrrev_b32_e32 v6, 3, v0
	v_lshlrev_b32_e32 v0, 3, v24
	v_or_b32_e32 v20, -8, v24
	v_lshl_or_b32 v21, v6, 7, v0
	v_mov_b32_e32 v2, 0
	s_mov_b64 s[0:1], 0
	s_waitcnt lgkmcnt(0)
	v_mov_b64_e32 v[0:1], s[6:7]
	v_mov_b32_e32 v3, v2
	v_mov_b32_e32 v4, v21
	;; [unrolled: 1-line block ×3, first 2 shown]
.LBB120_12:                             ; =>This Inner Loop Header: Depth=1
	v_add_co_u32_e32 v5, vcc, 8, v5
	s_xor_b64 s[24:25], vcc, -1
	s_and_b64 s[24:25], exec, s[24:25]
	ds_write2st64_b64 v4, v[2:3], v[0:1] offset1:8
	s_or_b64 s[0:1], s[24:25], s[0:1]
	v_add_u32_e32 v4, 64, v4
	s_andn2_b64 exec, exec, s[0:1]
	s_cbranch_execnz .LBB120_12
; %bb.13:
	s_or_b64 exec, exec, s[0:1]
	s_lshl_b32 s0, s2, 5
	s_and_b32 s0, s0, 0x1fffffe0
	v_or_b32_e32 v4, s0, v6
	v_mov_b32_e32 v5, 0
	v_cmp_gt_i64_e32 vcc, s[4:5], v[4:5]
	s_waitcnt lgkmcnt(0)
	s_and_saveexec_b64 s[0:1], vcc
	s_cbranch_execz .LBB120_57
; %bb.14:
	s_cmp_eq_u64 s[38:39], 0
	s_cbranch_scc1 .LBB120_16
; %bb.15:
	s_load_dwordx2 s[0:1], s[36:37], 0x0
	v_lshlrev_b32_e32 v0, 3, v4
	s_waitcnt lgkmcnt(0)
	s_lshl_b64 s[0:1], s[0:1], 3
	s_add_u32 s0, s38, s0
	s_addc_u32 s1, s39, s1
	global_load_dwordx2 v[4:5], v0, s[0:1]
.LBB120_16:
	v_lshlrev_b32_e32 v23, 7, v6
	s_andn2_b64 vcc, exec, s[46:47]
	v_or_b32_e32 v22, 0x1000, v23
	s_cbranch_vccnz .LBB120_36
; %bb.17:
	s_waitcnt vmcnt(0)
	v_lshl_add_u64 v[0:1], v[4:5], 3, s[8:9]
	global_load_dwordx4 v[0:3], v[0:1], off
	v_subrev_co_u32_e32 v8, vcc, s16, v24
	s_nop 1
	v_subb_co_u32_e64 v9, s[0:1], 0, 0, vcc
	s_waitcnt vmcnt(0)
	v_subrev_co_u32_e32 v6, vcc, s16, v2
	s_nop 1
	v_subbrev_co_u32_e32 v7, vcc, 0, v3, vcc
	v_lshl_add_u64 v[8:9], v[0:1], 0, v[8:9]
	v_cmp_lt_i64_e32 vcc, v[8:9], v[6:7]
	s_and_saveexec_b64 s[0:1], vcc
	s_cbranch_execz .LBB120_35
; %bb.18:
	s_mov_b64 s[2:3], 0
	s_branch .LBB120_20
.LBB120_19:                             ;   in Loop: Header=BB120_20 Depth=1
	s_or_b64 exec, exec, s[4:5]
	v_lshl_add_u64 v[8:9], v[8:9], 0, 8
	v_cmp_ge_i64_e32 vcc, v[8:9], v[6:7]
	s_or_b64 s[2:3], vcc, s[2:3]
	s_andn2_b64 exec, exec, s[2:3]
	s_cbranch_execz .LBB120_35
.LBB120_20:                             ; =>This Loop Header: Depth=1
                                        ;     Child Loop BB120_24 Depth 2
                                        ;       Child Loop BB120_27 Depth 3
	v_lshl_add_u64 v[0:1], v[8:9], 3, s[10:11]
	global_load_dwordx2 v[0:1], v[0:1], off
	s_waitcnt vmcnt(0)
	v_subrev_co_u32_e32 v0, vcc, s16, v0
	s_nop 1
	v_subbrev_co_u32_e32 v1, vcc, 0, v1, vcc
	v_lshl_add_u64 v[0:1], v[0:1], 3, s[14:15]
	global_load_dwordx4 v[0:3], v[0:1], off
	s_waitcnt vmcnt(0)
	v_cmp_lt_i64_e32 vcc, v[0:1], v[2:3]
	s_and_saveexec_b64 s[4:5], vcc
	s_cbranch_execz .LBB120_19
; %bb.21:                               ;   in Loop: Header=BB120_20 Depth=1
	v_lshl_add_u64 v[10:11], v[8:9], 3, s[12:13]
	global_load_dwordx2 v[10:11], v[10:11], off
	v_subrev_co_u32_e32 v2, vcc, s17, v2
	s_mov_b64 s[8:9], 0
	s_nop 0
	v_subbrev_co_u32_e32 v3, vcc, 0, v3, vcc
	v_subrev_co_u32_e32 v0, vcc, s17, v0
	s_waitcnt vmcnt(0)
	v_mul_f32_e64 v25, v11, -s43
	v_mul_f32_e32 v26, s54, v11
	v_subbrev_co_u32_e32 v1, vcc, 0, v1, vcc
	v_fmac_f32_e32 v25, s54, v10
	v_fmac_f32_e32 v26, s43, v10
	s_branch .LBB120_24
.LBB120_22:                             ;   in Loop: Header=BB120_24 Depth=2
	s_or_b64 exec, exec, s[36:37]
.LBB120_23:                             ;   in Loop: Header=BB120_24 Depth=2
	s_or_b64 exec, exec, s[24:25]
	s_waitcnt vmcnt(0)
	v_mul_f32_e64 v13, v11, -v26
	v_mul_f32_e32 v11, v25, v11
	v_fmac_f32_e32 v13, v25, v10
	v_fmac_f32_e32 v11, v26, v10
	v_lshl_add_u32 v10, v12, 3, v23
	ds_add_f32 v10, v13
	ds_add_f32 v10, v11 offset:4
	v_lshl_add_u64 v[0:1], v[0:1], 0, 1
	v_cmp_ge_i64_e32 vcc, v[0:1], v[2:3]
	s_or_b64 s[8:9], vcc, s[8:9]
	s_andn2_b64 exec, exec, s[8:9]
	s_cbranch_execz .LBB120_19
.LBB120_24:                             ;   Parent Loop BB120_20 Depth=1
                                        ; =>  This Loop Header: Depth=2
                                        ;       Child Loop BB120_27 Depth 3
	v_lshlrev_b64 v[10:11], 3, v[0:1]
	v_lshl_add_u64 v[12:13], s[28:29], 0, v[10:11]
	global_load_dwordx2 v[12:13], v[12:13], off
	v_lshl_add_u64 v[10:11], s[30:31], 0, v[10:11]
	global_load_dwordx2 v[10:11], v[10:11], off
	s_waitcnt vmcnt(1)
	v_subrev_co_u32_e32 v14, vcc, s17, v12
	v_lshl_add_u32 v12, v14, 3, v14
	v_and_b32_e32 v12, 15, v12
	v_lshl_add_u32 v27, v12, 3, v22
	ds_read_b64 v[18:19], v27
	v_subbrev_co_u32_e32 v15, vcc, 0, v13, vcc
	s_waitcnt lgkmcnt(0)
	v_cmp_ne_u64_e32 vcc, v[18:19], v[14:15]
	s_and_saveexec_b64 s[24:25], vcc
	s_cbranch_execz .LBB120_23
; %bb.25:                               ;   in Loop: Header=BB120_24 Depth=2
	s_mov_b64 s[36:37], 0
                                        ; implicit-def: $sgpr38_sgpr39
                                        ; implicit-def: $sgpr46_sgpr47
	s_branch .LBB120_27
.LBB120_26:                             ;   in Loop: Header=BB120_27 Depth=3
	s_or_b64 exec, exec, s[52:53]
	s_and_b64 s[48:49], exec, s[50:51]
	s_or_b64 s[36:37], s[48:49], s[36:37]
	s_andn2_b64 s[38:39], s[38:39], exec
	s_and_b64 s[48:49], s[46:47], exec
	s_or_b64 s[38:39], s[38:39], s[48:49]
	s_andn2_b64 exec, exec, s[36:37]
	s_cbranch_execz .LBB120_33
.LBB120_27:                             ;   Parent Loop BB120_20 Depth=1
                                        ;     Parent Loop BB120_24 Depth=2
                                        ; =>    This Inner Loop Header: Depth=3
	v_mov_b64_e32 v[16:17], v[12:13]
	v_cmp_ne_u64_e32 vcc, s[6:7], v[18:19]
	s_mov_b64 s[48:49], 0
                                        ; implicit-def: $vgpr12_vgpr13
	s_and_saveexec_b64 s[50:51], vcc
	s_xor_b64 s[50:51], exec, s[50:51]
; %bb.28:                               ;   in Loop: Header=BB120_27 Depth=3
	v_add_u32_e32 v12, 1, v16
	s_mov_b64 s[48:49], exec
	v_and_b32_e32 v12, 15, v12
                                        ; implicit-def: $vgpr27
; %bb.29:                               ;   in Loop: Header=BB120_27 Depth=3
	s_andn2_saveexec_b64 s[50:51], s[50:51]
	s_cbranch_execz .LBB120_31
; %bb.30:                               ;   in Loop: Header=BB120_27 Depth=3
	v_mov_b64_e32 v[12:13], s[6:7]
	ds_cmpst_rtn_b64 v[12:13], v27, v[12:13], v[14:15]
	s_andn2_b64 s[48:49], s[48:49], exec
	s_waitcnt lgkmcnt(0)
	v_cmp_ne_u64_e32 vcc, s[6:7], v[12:13]
	s_and_b64 s[52:53], vcc, exec
	s_or_b64 s[48:49], s[48:49], s[52:53]
	v_mov_b64_e32 v[12:13], v[16:17]
.LBB120_31:                             ;   in Loop: Header=BB120_27 Depth=3
	s_or_b64 exec, exec, s[50:51]
	s_mov_b64 s[50:51], -1
	s_or_b64 s[46:47], s[46:47], exec
                                        ; implicit-def: $vgpr27
                                        ; implicit-def: $vgpr18_vgpr19
	s_and_saveexec_b64 s[52:53], s[48:49]
	s_cbranch_execz .LBB120_26
; %bb.32:                               ;   in Loop: Header=BB120_27 Depth=3
	v_lshl_add_u32 v27, v12, 3, v22
	ds_read_b64 v[18:19], v27
	s_andn2_b64 s[46:47], s[46:47], exec
	s_waitcnt lgkmcnt(0)
	v_cmp_eq_u64_e32 vcc, v[18:19], v[14:15]
	s_orn2_b64 s[50:51], vcc, exec
	s_branch .LBB120_26
.LBB120_33:                             ;   in Loop: Header=BB120_24 Depth=2
	s_or_b64 exec, exec, s[36:37]
	s_and_saveexec_b64 s[36:37], s[38:39]
	s_xor_b64 s[36:37], exec, s[36:37]
	s_cbranch_execz .LBB120_22
; %bb.34:                               ;   in Loop: Header=BB120_24 Depth=2
	v_mov_b32_e32 v12, v16
	s_branch .LBB120_22
.LBB120_35:
	s_or_b64 exec, exec, s[0:1]
.LBB120_36:
	s_andn2_b64 vcc, exec, s[44:45]
	s_cbranch_vccnz .LBB120_53
; %bb.37:
	s_waitcnt vmcnt(0)
	v_lshl_add_u64 v[0:1], v[4:5], 3, s[26:27]
	global_load_dwordx4 v[6:9], v[0:1], off
	v_subrev_co_u32_e32 v2, vcc, s19, v24
	s_nop 1
	v_subb_co_u32_e64 v3, s[0:1], 0, 0, vcc
	s_waitcnt vmcnt(0)
	v_subrev_co_u32_e32 v0, vcc, s19, v8
	s_nop 1
	v_subbrev_co_u32_e32 v1, vcc, 0, v9, vcc
	v_lshl_add_u64 v[2:3], v[6:7], 0, v[2:3]
	v_cmp_lt_i64_e32 vcc, v[2:3], v[0:1]
	s_and_saveexec_b64 s[0:1], vcc
	s_cbranch_execz .LBB120_52
; %bb.38:
	s_mov_b32 s26, s19
	s_mov_b64 s[2:3], 0
	s_branch .LBB120_41
.LBB120_39:                             ;   in Loop: Header=BB120_41 Depth=1
	s_or_b64 exec, exec, s[8:9]
.LBB120_40:                             ;   in Loop: Header=BB120_41 Depth=1
	s_or_b64 exec, exec, s[4:5]
	s_waitcnt vmcnt(0)
	v_mul_f32_e64 v9, v7, -s42
	v_mul_f32_e32 v7, s33, v7
	v_fmac_f32_e32 v9, s33, v6
	v_fmac_f32_e32 v7, s42, v6
	v_lshl_add_u32 v6, v8, 3, v23
	ds_add_f32 v6, v9
	ds_add_f32 v6, v7 offset:4
	v_lshl_add_u64 v[2:3], v[2:3], 0, 8
	v_cmp_ge_i64_e32 vcc, v[2:3], v[0:1]
	s_or_b64 s[2:3], vcc, s[2:3]
	s_andn2_b64 exec, exec, s[2:3]
	s_cbranch_execz .LBB120_52
.LBB120_41:                             ; =>This Loop Header: Depth=1
                                        ;     Child Loop BB120_44 Depth 2
	v_lshlrev_b64 v[6:7], 3, v[2:3]
	v_lshl_add_u64 v[8:9], s[20:21], 0, v[6:7]
	global_load_dwordx2 v[8:9], v[8:9], off
	v_lshl_add_u64 v[6:7], s[22:23], 0, v[6:7]
	global_load_dwordx2 v[6:7], v[6:7], off
	s_waitcnt vmcnt(1)
	v_subrev_co_u32_e32 v10, vcc, s26, v8
	v_lshl_add_u32 v8, v10, 3, v10
	v_and_b32_e32 v8, 15, v8
	v_lshl_add_u32 v16, v8, 3, v22
	ds_read_b64 v[14:15], v16
	v_subbrev_co_u32_e32 v11, vcc, 0, v9, vcc
	s_waitcnt lgkmcnt(0)
	v_cmp_ne_u64_e32 vcc, v[14:15], v[10:11]
	s_and_saveexec_b64 s[4:5], vcc
	s_cbranch_execz .LBB120_40
; %bb.42:                               ;   in Loop: Header=BB120_41 Depth=1
	s_mov_b64 s[8:9], 0
                                        ; implicit-def: $sgpr10_sgpr11
                                        ; implicit-def: $sgpr12_sgpr13
	s_branch .LBB120_44
.LBB120_43:                             ;   in Loop: Header=BB120_44 Depth=2
	s_or_b64 exec, exec, s[24:25]
	s_and_b64 s[14:15], exec, s[16:17]
	s_or_b64 s[8:9], s[14:15], s[8:9]
	s_andn2_b64 s[10:11], s[10:11], exec
	s_and_b64 s[14:15], s[12:13], exec
	s_or_b64 s[10:11], s[10:11], s[14:15]
	s_andn2_b64 exec, exec, s[8:9]
	s_cbranch_execz .LBB120_50
.LBB120_44:                             ;   Parent Loop BB120_41 Depth=1
                                        ; =>  This Inner Loop Header: Depth=2
	v_mov_b64_e32 v[12:13], v[8:9]
	v_cmp_ne_u64_e32 vcc, s[6:7], v[14:15]
	s_mov_b64 s[14:15], 0
                                        ; implicit-def: $vgpr8_vgpr9
	s_and_saveexec_b64 s[16:17], vcc
	s_xor_b64 s[16:17], exec, s[16:17]
; %bb.45:                               ;   in Loop: Header=BB120_44 Depth=2
	v_add_u32_e32 v8, 1, v12
	s_mov_b64 s[14:15], exec
	v_and_b32_e32 v8, 15, v8
                                        ; implicit-def: $vgpr16
; %bb.46:                               ;   in Loop: Header=BB120_44 Depth=2
	s_andn2_saveexec_b64 s[16:17], s[16:17]
	s_cbranch_execz .LBB120_48
; %bb.47:                               ;   in Loop: Header=BB120_44 Depth=2
	v_mov_b64_e32 v[8:9], s[6:7]
	ds_cmpst_rtn_b64 v[8:9], v16, v[8:9], v[10:11]
	s_andn2_b64 s[14:15], s[14:15], exec
	s_waitcnt lgkmcnt(0)
	v_cmp_ne_u64_e32 vcc, s[6:7], v[8:9]
	s_and_b64 s[24:25], vcc, exec
	s_or_b64 s[14:15], s[14:15], s[24:25]
	v_mov_b64_e32 v[8:9], v[12:13]
.LBB120_48:                             ;   in Loop: Header=BB120_44 Depth=2
	s_or_b64 exec, exec, s[16:17]
	s_mov_b64 s[16:17], -1
	s_or_b64 s[12:13], s[12:13], exec
                                        ; implicit-def: $vgpr16
                                        ; implicit-def: $vgpr14_vgpr15
	s_and_saveexec_b64 s[24:25], s[14:15]
	s_cbranch_execz .LBB120_43
; %bb.49:                               ;   in Loop: Header=BB120_44 Depth=2
	v_lshl_add_u32 v16, v8, 3, v22
	ds_read_b64 v[14:15], v16
	s_andn2_b64 s[12:13], s[12:13], exec
	s_waitcnt lgkmcnt(0)
	v_cmp_eq_u64_e32 vcc, v[14:15], v[10:11]
	s_orn2_b64 s[16:17], vcc, exec
	s_branch .LBB120_43
.LBB120_50:                             ;   in Loop: Header=BB120_41 Depth=1
	s_or_b64 exec, exec, s[8:9]
	s_and_saveexec_b64 s[8:9], s[10:11]
	s_xor_b64 s[8:9], exec, s[8:9]
	s_cbranch_execz .LBB120_39
; %bb.51:                               ;   in Loop: Header=BB120_41 Depth=1
	v_mov_b32_e32 v8, v12
	s_branch .LBB120_39
.LBB120_52:
	s_or_b64 exec, exec, s[0:1]
.LBB120_53:
	s_waitcnt vmcnt(0)
	v_lshl_add_u64 v[0:1], v[4:5], 3, s[34:35]
	s_waitcnt lgkmcnt(0)
	global_load_dwordx2 v[0:1], v[0:1], off
	s_mov_b64 s[0:1], 0
	v_mov_b32_e32 v3, 0
	s_waitcnt vmcnt(0)
	v_subrev_co_u32_e32 v0, vcc, s18, v0
	s_nop 1
	v_subbrev_co_u32_e32 v1, vcc, 0, v1, vcc
	v_lshl_add_u64 v[0:1], v[0:1], 3, s[40:41]
	s_branch .LBB120_55
.LBB120_54:                             ;   in Loop: Header=BB120_55 Depth=1
	s_or_b64 exec, exec, s[2:3]
	v_add_co_u32_e32 v20, vcc, 8, v20
	s_xor_b64 s[2:3], vcc, -1
	s_and_b64 s[2:3], exec, s[2:3]
	s_or_b64 s[0:1], s[2:3], s[0:1]
	v_add_u32_e32 v21, 64, v21
	s_andn2_b64 exec, exec, s[0:1]
	s_cbranch_execz .LBB120_57
.LBB120_55:                             ; =>This Inner Loop Header: Depth=1
	ds_read_b64 v[4:5], v21 offset:4096
	s_waitcnt lgkmcnt(0)
	v_cmp_gt_i64_e32 vcc, s[6:7], v[4:5]
	s_and_saveexec_b64 s[2:3], vcc
	s_cbranch_execz .LBB120_54
; %bb.56:                               ;   in Loop: Header=BB120_55 Depth=1
	ds_read_b128 v[6:9], v22
	ds_read_b128 v[10:13], v22 offset:16
	ds_read_b128 v[14:17], v22 offset:32
	ds_read_b128 v[24:27], v22 offset:48
	ds_read_b128 v[28:31], v22 offset:64
	ds_read_b128 v[32:35], v22 offset:80
	ds_read_b128 v[36:39], v22 offset:96
	ds_read_b128 v[40:43], v22 offset:112
	s_waitcnt lgkmcnt(7)
	v_cmp_gt_i64_e32 vcc, v[4:5], v[6:7]
	s_nop 1
	v_cndmask_b32_e64 v2, 0, 1, vcc
	v_lshlrev_b32_e32 v2, 3, v2
	v_cmp_gt_i64_e32 vcc, v[4:5], v[8:9]
	v_lshl_add_u64 v[6:7], v[0:1], 0, v[2:3]
	ds_read_b64 v[8:9], v21
	v_cndmask_b32_e64 v2, 0, 1, vcc
	v_lshlrev_b32_e32 v2, 3, v2
	s_waitcnt lgkmcnt(7)
	v_cmp_gt_i64_e32 vcc, v[4:5], v[10:11]
	v_lshl_add_u64 v[6:7], v[6:7], 0, v[2:3]
	s_nop 0
	v_cndmask_b32_e64 v2, 0, 1, vcc
	v_lshlrev_b32_e32 v2, 3, v2
	v_cmp_gt_i64_e32 vcc, v[4:5], v[12:13]
	v_lshl_add_u64 v[6:7], v[6:7], 0, v[2:3]
	s_nop 0
	v_cndmask_b32_e64 v2, 0, 1, vcc
	v_lshlrev_b32_e32 v2, 3, v2
	s_waitcnt lgkmcnt(6)
	v_cmp_gt_i64_e32 vcc, v[4:5], v[14:15]
	v_lshl_add_u64 v[6:7], v[6:7], 0, v[2:3]
	s_nop 0
	v_cndmask_b32_e64 v2, 0, 1, vcc
	v_lshlrev_b32_e32 v2, 3, v2
	v_cmp_gt_i64_e32 vcc, v[4:5], v[16:17]
	v_lshl_add_u64 v[6:7], v[6:7], 0, v[2:3]
	s_nop 0
	;; [unrolled: 11-line block ×7, first 2 shown]
	v_cndmask_b32_e64 v2, 0, 1, vcc
	v_lshlrev_b32_e32 v2, 3, v2
	v_lshl_add_u64 v[4:5], v[6:7], 0, v[2:3]
	s_waitcnt lgkmcnt(0)
	global_store_dwordx2 v[4:5], v[8:9], off
	s_branch .LBB120_54
.LBB120_57:
	s_endpgm
	.section	.rodata,"a",@progbits
	.p2align	6, 0x0
	.amdhsa_kernel _ZN9rocsparseL38csrgemm_numeric_fill_wf_per_row_kernelILj256ELj8ELj16ELj137Ell21rocsparse_complex_numIfEEEvT4_S3_PKS3_S5_NS_24const_host_device_scalarIT5_EEPKT3_S5_PKS7_SB_S5_SD_S8_SB_S5_SD_SB_S5_PS7_21rocsparse_index_base_SF_SF_SF_bbb
		.amdhsa_group_segment_fixed_size 8192
		.amdhsa_private_segment_fixed_size 0
		.amdhsa_kernarg_size 164
		.amdhsa_user_sgpr_count 2
		.amdhsa_user_sgpr_dispatch_ptr 0
		.amdhsa_user_sgpr_queue_ptr 0
		.amdhsa_user_sgpr_kernarg_segment_ptr 1
		.amdhsa_user_sgpr_dispatch_id 0
		.amdhsa_user_sgpr_kernarg_preload_length 0
		.amdhsa_user_sgpr_kernarg_preload_offset 0
		.amdhsa_user_sgpr_private_segment_size 0
		.amdhsa_uses_dynamic_stack 0
		.amdhsa_enable_private_segment 0
		.amdhsa_system_sgpr_workgroup_id_x 1
		.amdhsa_system_sgpr_workgroup_id_y 0
		.amdhsa_system_sgpr_workgroup_id_z 0
		.amdhsa_system_sgpr_workgroup_info 0
		.amdhsa_system_vgpr_workitem_id 0
		.amdhsa_next_free_vgpr 44
		.amdhsa_next_free_sgpr 55
		.amdhsa_accum_offset 44
		.amdhsa_reserve_vcc 1
		.amdhsa_float_round_mode_32 0
		.amdhsa_float_round_mode_16_64 0
		.amdhsa_float_denorm_mode_32 3
		.amdhsa_float_denorm_mode_16_64 3
		.amdhsa_dx10_clamp 1
		.amdhsa_ieee_mode 1
		.amdhsa_fp16_overflow 0
		.amdhsa_tg_split 0
		.amdhsa_exception_fp_ieee_invalid_op 0
		.amdhsa_exception_fp_denorm_src 0
		.amdhsa_exception_fp_ieee_div_zero 0
		.amdhsa_exception_fp_ieee_overflow 0
		.amdhsa_exception_fp_ieee_underflow 0
		.amdhsa_exception_fp_ieee_inexact 0
		.amdhsa_exception_int_div_zero 0
	.end_amdhsa_kernel
	.section	.text._ZN9rocsparseL38csrgemm_numeric_fill_wf_per_row_kernelILj256ELj8ELj16ELj137Ell21rocsparse_complex_numIfEEEvT4_S3_PKS3_S5_NS_24const_host_device_scalarIT5_EEPKT3_S5_PKS7_SB_S5_SD_S8_SB_S5_SD_SB_S5_PS7_21rocsparse_index_base_SF_SF_SF_bbb,"axG",@progbits,_ZN9rocsparseL38csrgemm_numeric_fill_wf_per_row_kernelILj256ELj8ELj16ELj137Ell21rocsparse_complex_numIfEEEvT4_S3_PKS3_S5_NS_24const_host_device_scalarIT5_EEPKT3_S5_PKS7_SB_S5_SD_S8_SB_S5_SD_SB_S5_PS7_21rocsparse_index_base_SF_SF_SF_bbb,comdat
.Lfunc_end120:
	.size	_ZN9rocsparseL38csrgemm_numeric_fill_wf_per_row_kernelILj256ELj8ELj16ELj137Ell21rocsparse_complex_numIfEEEvT4_S3_PKS3_S5_NS_24const_host_device_scalarIT5_EEPKT3_S5_PKS7_SB_S5_SD_S8_SB_S5_SD_SB_S5_PS7_21rocsparse_index_base_SF_SF_SF_bbb, .Lfunc_end120-_ZN9rocsparseL38csrgemm_numeric_fill_wf_per_row_kernelILj256ELj8ELj16ELj137Ell21rocsparse_complex_numIfEEEvT4_S3_PKS3_S5_NS_24const_host_device_scalarIT5_EEPKT3_S5_PKS7_SB_S5_SD_S8_SB_S5_SD_SB_S5_PS7_21rocsparse_index_base_SF_SF_SF_bbb
                                        ; -- End function
	.set _ZN9rocsparseL38csrgemm_numeric_fill_wf_per_row_kernelILj256ELj8ELj16ELj137Ell21rocsparse_complex_numIfEEEvT4_S3_PKS3_S5_NS_24const_host_device_scalarIT5_EEPKT3_S5_PKS7_SB_S5_SD_S8_SB_S5_SD_SB_S5_PS7_21rocsparse_index_base_SF_SF_SF_bbb.num_vgpr, 44
	.set _ZN9rocsparseL38csrgemm_numeric_fill_wf_per_row_kernelILj256ELj8ELj16ELj137Ell21rocsparse_complex_numIfEEEvT4_S3_PKS3_S5_NS_24const_host_device_scalarIT5_EEPKT3_S5_PKS7_SB_S5_SD_S8_SB_S5_SD_SB_S5_PS7_21rocsparse_index_base_SF_SF_SF_bbb.num_agpr, 0
	.set _ZN9rocsparseL38csrgemm_numeric_fill_wf_per_row_kernelILj256ELj8ELj16ELj137Ell21rocsparse_complex_numIfEEEvT4_S3_PKS3_S5_NS_24const_host_device_scalarIT5_EEPKT3_S5_PKS7_SB_S5_SD_S8_SB_S5_SD_SB_S5_PS7_21rocsparse_index_base_SF_SF_SF_bbb.numbered_sgpr, 55
	.set _ZN9rocsparseL38csrgemm_numeric_fill_wf_per_row_kernelILj256ELj8ELj16ELj137Ell21rocsparse_complex_numIfEEEvT4_S3_PKS3_S5_NS_24const_host_device_scalarIT5_EEPKT3_S5_PKS7_SB_S5_SD_S8_SB_S5_SD_SB_S5_PS7_21rocsparse_index_base_SF_SF_SF_bbb.num_named_barrier, 0
	.set _ZN9rocsparseL38csrgemm_numeric_fill_wf_per_row_kernelILj256ELj8ELj16ELj137Ell21rocsparse_complex_numIfEEEvT4_S3_PKS3_S5_NS_24const_host_device_scalarIT5_EEPKT3_S5_PKS7_SB_S5_SD_S8_SB_S5_SD_SB_S5_PS7_21rocsparse_index_base_SF_SF_SF_bbb.private_seg_size, 0
	.set _ZN9rocsparseL38csrgemm_numeric_fill_wf_per_row_kernelILj256ELj8ELj16ELj137Ell21rocsparse_complex_numIfEEEvT4_S3_PKS3_S5_NS_24const_host_device_scalarIT5_EEPKT3_S5_PKS7_SB_S5_SD_S8_SB_S5_SD_SB_S5_PS7_21rocsparse_index_base_SF_SF_SF_bbb.uses_vcc, 1
	.set _ZN9rocsparseL38csrgemm_numeric_fill_wf_per_row_kernelILj256ELj8ELj16ELj137Ell21rocsparse_complex_numIfEEEvT4_S3_PKS3_S5_NS_24const_host_device_scalarIT5_EEPKT3_S5_PKS7_SB_S5_SD_S8_SB_S5_SD_SB_S5_PS7_21rocsparse_index_base_SF_SF_SF_bbb.uses_flat_scratch, 0
	.set _ZN9rocsparseL38csrgemm_numeric_fill_wf_per_row_kernelILj256ELj8ELj16ELj137Ell21rocsparse_complex_numIfEEEvT4_S3_PKS3_S5_NS_24const_host_device_scalarIT5_EEPKT3_S5_PKS7_SB_S5_SD_S8_SB_S5_SD_SB_S5_PS7_21rocsparse_index_base_SF_SF_SF_bbb.has_dyn_sized_stack, 0
	.set _ZN9rocsparseL38csrgemm_numeric_fill_wf_per_row_kernelILj256ELj8ELj16ELj137Ell21rocsparse_complex_numIfEEEvT4_S3_PKS3_S5_NS_24const_host_device_scalarIT5_EEPKT3_S5_PKS7_SB_S5_SD_S8_SB_S5_SD_SB_S5_PS7_21rocsparse_index_base_SF_SF_SF_bbb.has_recursion, 0
	.set _ZN9rocsparseL38csrgemm_numeric_fill_wf_per_row_kernelILj256ELj8ELj16ELj137Ell21rocsparse_complex_numIfEEEvT4_S3_PKS3_S5_NS_24const_host_device_scalarIT5_EEPKT3_S5_PKS7_SB_S5_SD_S8_SB_S5_SD_SB_S5_PS7_21rocsparse_index_base_SF_SF_SF_bbb.has_indirect_call, 0
	.section	.AMDGPU.csdata,"",@progbits
; Kernel info:
; codeLenInByte = 2224
; TotalNumSgprs: 61
; NumVgprs: 44
; NumAgprs: 0
; TotalNumVgprs: 44
; ScratchSize: 0
; MemoryBound: 0
; FloatMode: 240
; IeeeMode: 1
; LDSByteSize: 8192 bytes/workgroup (compile time only)
; SGPRBlocks: 7
; VGPRBlocks: 5
; NumSGPRsForWavesPerEU: 61
; NumVGPRsForWavesPerEU: 44
; AccumOffset: 44
; Occupancy: 8
; WaveLimiterHint : 1
; COMPUTE_PGM_RSRC2:SCRATCH_EN: 0
; COMPUTE_PGM_RSRC2:USER_SGPR: 2
; COMPUTE_PGM_RSRC2:TRAP_HANDLER: 0
; COMPUTE_PGM_RSRC2:TGID_X_EN: 1
; COMPUTE_PGM_RSRC2:TGID_Y_EN: 0
; COMPUTE_PGM_RSRC2:TGID_Z_EN: 0
; COMPUTE_PGM_RSRC2:TIDIG_COMP_CNT: 0
; COMPUTE_PGM_RSRC3_GFX90A:ACCUM_OFFSET: 10
; COMPUTE_PGM_RSRC3_GFX90A:TG_SPLIT: 0
	.section	.text._ZN9rocsparseL38csrgemm_numeric_fill_wf_per_row_kernelILj256ELj16ELj32ELj137Ell21rocsparse_complex_numIfEEEvT4_S3_PKS3_S5_NS_24const_host_device_scalarIT5_EEPKT3_S5_PKS7_SB_S5_SD_S8_SB_S5_SD_SB_S5_PS7_21rocsparse_index_base_SF_SF_SF_bbb,"axG",@progbits,_ZN9rocsparseL38csrgemm_numeric_fill_wf_per_row_kernelILj256ELj16ELj32ELj137Ell21rocsparse_complex_numIfEEEvT4_S3_PKS3_S5_NS_24const_host_device_scalarIT5_EEPKT3_S5_PKS7_SB_S5_SD_S8_SB_S5_SD_SB_S5_PS7_21rocsparse_index_base_SF_SF_SF_bbb,comdat
	.globl	_ZN9rocsparseL38csrgemm_numeric_fill_wf_per_row_kernelILj256ELj16ELj32ELj137Ell21rocsparse_complex_numIfEEEvT4_S3_PKS3_S5_NS_24const_host_device_scalarIT5_EEPKT3_S5_PKS7_SB_S5_SD_S8_SB_S5_SD_SB_S5_PS7_21rocsparse_index_base_SF_SF_SF_bbb ; -- Begin function _ZN9rocsparseL38csrgemm_numeric_fill_wf_per_row_kernelILj256ELj16ELj32ELj137Ell21rocsparse_complex_numIfEEEvT4_S3_PKS3_S5_NS_24const_host_device_scalarIT5_EEPKT3_S5_PKS7_SB_S5_SD_S8_SB_S5_SD_SB_S5_PS7_21rocsparse_index_base_SF_SF_SF_bbb
	.p2align	8
	.type	_ZN9rocsparseL38csrgemm_numeric_fill_wf_per_row_kernelILj256ELj16ELj32ELj137Ell21rocsparse_complex_numIfEEEvT4_S3_PKS3_S5_NS_24const_host_device_scalarIT5_EEPKT3_S5_PKS7_SB_S5_SD_S8_SB_S5_SD_SB_S5_PS7_21rocsparse_index_base_SF_SF_SF_bbb,@function
_ZN9rocsparseL38csrgemm_numeric_fill_wf_per_row_kernelILj256ELj16ELj32ELj137Ell21rocsparse_complex_numIfEEEvT4_S3_PKS3_S5_NS_24const_host_device_scalarIT5_EEPKT3_S5_PKS7_SB_S5_SD_S8_SB_S5_SD_SB_S5_PS7_21rocsparse_index_base_SF_SF_SF_bbb: ; @_ZN9rocsparseL38csrgemm_numeric_fill_wf_per_row_kernelILj256ELj16ELj32ELj137Ell21rocsparse_complex_numIfEEEvT4_S3_PKS3_S5_NS_24const_host_device_scalarIT5_EEPKT3_S5_PKS7_SB_S5_SD_S8_SB_S5_SD_SB_S5_PS7_21rocsparse_index_base_SF_SF_SF_bbb
; %bb.0:
	s_load_dwordx2 s[6:7], s[0:1], 0x78
	s_load_dwordx4 s[28:31], s[0:1], 0x58
	s_load_dword s3, s[0:1], 0xa0
	s_load_dwordx4 s[40:43], s[0:1], 0x10
	s_load_dwordx8 s[8:15], s[0:1], 0x28
	s_load_dwordx2 s[34:35], s[0:1], 0x88
	s_load_dwordx4 s[20:23], s[0:1], 0x90
	s_waitcnt lgkmcnt(0)
	s_bitcmp1_b32 s3, 0
	s_cselect_b64 s[48:49], -1, 0
	s_bitcmp1_b32 s3, 16
	s_cselect_b64 s[4:5], -1, 0
	s_xor_b64 s[4:5], s[4:5], -1
	v_cndmask_b32_e64 v1, 0, 1, s[4:5]
	s_mov_b32 s45, 0
	s_bitcmp0_b32 s3, 0
	v_cmp_ne_u32_e64 s[4:5], 1, v1
	s_mov_b32 s54, 0
	s_cbranch_scc1 .LBB121_5
; %bb.1:
	s_load_dwordx2 s[44:45], s[0:1], 0x20
	s_and_b64 vcc, exec, s[4:5]
	s_waitcnt lgkmcnt(0)
	s_mov_b32 s54, s44
	s_cbranch_vccnz .LBB121_3
; %bb.2:
	s_load_dword s54, s[44:45], 0x0
.LBB121_3:
	s_and_b64 vcc, exec, s[4:5]
	s_cbranch_vccnz .LBB121_5
; %bb.4:
	s_load_dword s45, s[44:45], 0x4
.LBB121_5:
	s_nop 0
	s_load_dwordx4 s[24:27], s[0:1], 0x68
	s_load_dwordx4 s[36:39], s[0:1], 0x48
	s_bitcmp1_b32 s3, 8
	s_cselect_b64 s[46:47], -1, 0
	s_bfe_u32 s3, s3, 0x10008
	s_mov_b32 s33, 0
	s_cmp_eq_u32 s3, 0
	s_mov_b32 s44, 0
	s_cbranch_scc1 .LBB121_11
; %bb.6:
	s_and_b64 vcc, exec, s[4:5]
	s_mov_b32 s33, s28
	s_cbranch_vccnz .LBB121_8
; %bb.7:
	s_load_dword s33, s[28:29], 0x0
.LBB121_8:
	s_and_b64 vcc, exec, s[4:5]
	s_cbranch_vccnz .LBB121_10
; %bb.9:
	s_load_dword s29, s[28:29], 0x4
.LBB121_10:
	s_waitcnt lgkmcnt(0)
	s_mov_b32 s44, s29
.LBB121_11:
	s_load_dwordx4 s[16:19], s[0:1], 0x0
	v_and_b32_e32 v24, 15, v0
	v_lshrrev_b32_e32 v6, 4, v0
	v_lshlrev_b32_e32 v0, 3, v24
	v_or_b32_e32 v20, -16, v24
	v_lshl_or_b32 v21, v6, 8, v0
	v_mov_b32_e32 v2, 0
	s_mov_b64 s[0:1], 0
	s_waitcnt lgkmcnt(0)
	v_mov_b64_e32 v[0:1], s[18:19]
	v_mov_b32_e32 v3, v2
	v_mov_b32_e32 v4, v21
	v_mov_b32_e32 v5, v20
.LBB121_12:                             ; =>This Inner Loop Header: Depth=1
	v_add_co_u32_e32 v5, vcc, 16, v5
	s_xor_b64 s[4:5], vcc, -1
	s_and_b64 s[4:5], exec, s[4:5]
	ds_write2st64_b64 v4, v[2:3], v[0:1] offset1:8
	s_or_b64 s[0:1], s[4:5], s[0:1]
	v_add_u32_e32 v4, 0x80, v4
	s_andn2_b64 exec, exec, s[0:1]
	s_cbranch_execnz .LBB121_12
; %bb.13:
	s_or_b64 exec, exec, s[0:1]
	s_lshl_b32 s0, s2, 4
	s_and_b32 s0, s0, 0xffffff0
	v_or_b32_e32 v4, s0, v6
	v_mov_b32_e32 v5, 0
	v_cmp_gt_i64_e32 vcc, s[16:17], v[4:5]
	s_waitcnt lgkmcnt(0)
	s_and_saveexec_b64 s[0:1], vcc
	s_cbranch_execz .LBB121_57
; %bb.14:
	s_cmp_eq_u64 s[42:43], 0
	s_cbranch_scc1 .LBB121_16
; %bb.15:
	s_load_dwordx2 s[0:1], s[40:41], 0x0
	v_lshlrev_b32_e32 v0, 3, v4
	s_waitcnt lgkmcnt(0)
	s_lshl_b64 s[0:1], s[0:1], 3
	s_add_u32 s0, s42, s0
	s_addc_u32 s1, s43, s1
	global_load_dwordx2 v[4:5], v0, s[0:1]
.LBB121_16:
	v_lshlrev_b32_e32 v23, 8, v6
	s_andn2_b64 vcc, exec, s[48:49]
	v_or_b32_e32 v22, 0x1000, v23
	s_cbranch_vccnz .LBB121_36
; %bb.17:
	s_waitcnt vmcnt(0)
	v_lshl_add_u64 v[0:1], v[4:5], 3, s[8:9]
	global_load_dwordx4 v[0:3], v[0:1], off
	v_subrev_co_u32_e32 v8, vcc, s20, v24
	s_nop 1
	v_subb_co_u32_e64 v9, s[0:1], 0, 0, vcc
	s_waitcnt vmcnt(0)
	v_subrev_co_u32_e32 v6, vcc, s20, v2
	s_nop 1
	v_subbrev_co_u32_e32 v7, vcc, 0, v3, vcc
	v_lshl_add_u64 v[8:9], v[0:1], 0, v[8:9]
	v_cmp_lt_i64_e32 vcc, v[8:9], v[6:7]
	s_and_saveexec_b64 s[0:1], vcc
	s_cbranch_execz .LBB121_35
; %bb.18:
	s_mov_b64 s[2:3], 0
	s_branch .LBB121_20
.LBB121_19:                             ;   in Loop: Header=BB121_20 Depth=1
	s_or_b64 exec, exec, s[4:5]
	v_lshl_add_u64 v[8:9], v[8:9], 0, 16
	v_cmp_ge_i64_e32 vcc, v[8:9], v[6:7]
	s_or_b64 s[2:3], vcc, s[2:3]
	s_andn2_b64 exec, exec, s[2:3]
	s_cbranch_execz .LBB121_35
.LBB121_20:                             ; =>This Loop Header: Depth=1
                                        ;     Child Loop BB121_24 Depth 2
                                        ;       Child Loop BB121_27 Depth 3
	v_lshl_add_u64 v[0:1], v[8:9], 3, s[10:11]
	global_load_dwordx2 v[0:1], v[0:1], off
	s_waitcnt vmcnt(0)
	v_subrev_co_u32_e32 v0, vcc, s20, v0
	s_nop 1
	v_subbrev_co_u32_e32 v1, vcc, 0, v1, vcc
	v_lshl_add_u64 v[0:1], v[0:1], 3, s[14:15]
	global_load_dwordx4 v[0:3], v[0:1], off
	s_waitcnt vmcnt(0)
	v_cmp_lt_i64_e32 vcc, v[0:1], v[2:3]
	s_and_saveexec_b64 s[4:5], vcc
	s_cbranch_execz .LBB121_19
; %bb.21:                               ;   in Loop: Header=BB121_20 Depth=1
	v_lshl_add_u64 v[10:11], v[8:9], 3, s[12:13]
	global_load_dwordx2 v[10:11], v[10:11], off
	v_subrev_co_u32_e32 v2, vcc, s21, v2
	s_mov_b64 s[8:9], 0
	s_nop 0
	v_subbrev_co_u32_e32 v3, vcc, 0, v3, vcc
	v_subrev_co_u32_e32 v0, vcc, s21, v0
	s_waitcnt vmcnt(0)
	v_mul_f32_e64 v25, v11, -s45
	v_mul_f32_e32 v26, s54, v11
	v_subbrev_co_u32_e32 v1, vcc, 0, v1, vcc
	v_fmac_f32_e32 v25, s54, v10
	v_fmac_f32_e32 v26, s45, v10
	s_branch .LBB121_24
.LBB121_22:                             ;   in Loop: Header=BB121_24 Depth=2
	s_or_b64 exec, exec, s[28:29]
.LBB121_23:                             ;   in Loop: Header=BB121_24 Depth=2
	s_or_b64 exec, exec, s[16:17]
	s_waitcnt vmcnt(0)
	v_mul_f32_e64 v13, v11, -v26
	v_mul_f32_e32 v11, v25, v11
	v_fmac_f32_e32 v13, v25, v10
	v_fmac_f32_e32 v11, v26, v10
	v_lshl_add_u32 v10, v12, 3, v23
	ds_add_f32 v10, v13
	ds_add_f32 v10, v11 offset:4
	v_lshl_add_u64 v[0:1], v[0:1], 0, 1
	v_cmp_ge_i64_e32 vcc, v[0:1], v[2:3]
	s_or_b64 s[8:9], vcc, s[8:9]
	s_andn2_b64 exec, exec, s[8:9]
	s_cbranch_execz .LBB121_19
.LBB121_24:                             ;   Parent Loop BB121_20 Depth=1
                                        ; =>  This Loop Header: Depth=2
                                        ;       Child Loop BB121_27 Depth 3
	v_lshlrev_b64 v[10:11], 3, v[0:1]
	v_lshl_add_u64 v[12:13], s[36:37], 0, v[10:11]
	global_load_dwordx2 v[12:13], v[12:13], off
	v_lshl_add_u64 v[10:11], s[38:39], 0, v[10:11]
	global_load_dwordx2 v[10:11], v[10:11], off
	s_waitcnt vmcnt(1)
	v_subrev_co_u32_e32 v14, vcc, s21, v12
	v_lshl_add_u32 v12, v14, 3, v14
	v_and_b32_e32 v12, 31, v12
	v_lshl_add_u32 v27, v12, 3, v22
	ds_read_b64 v[18:19], v27
	v_subbrev_co_u32_e32 v15, vcc, 0, v13, vcc
	s_waitcnt lgkmcnt(0)
	v_cmp_ne_u64_e32 vcc, v[18:19], v[14:15]
	s_and_saveexec_b64 s[16:17], vcc
	s_cbranch_execz .LBB121_23
; %bb.25:                               ;   in Loop: Header=BB121_24 Depth=2
	s_mov_b64 s[28:29], 0
                                        ; implicit-def: $sgpr40_sgpr41
                                        ; implicit-def: $sgpr42_sgpr43
	s_branch .LBB121_27
.LBB121_26:                             ;   in Loop: Header=BB121_27 Depth=3
	s_or_b64 exec, exec, s[52:53]
	s_and_b64 s[48:49], exec, s[50:51]
	s_or_b64 s[28:29], s[48:49], s[28:29]
	s_andn2_b64 s[40:41], s[40:41], exec
	s_and_b64 s[48:49], s[42:43], exec
	s_or_b64 s[40:41], s[40:41], s[48:49]
	s_andn2_b64 exec, exec, s[28:29]
	s_cbranch_execz .LBB121_33
.LBB121_27:                             ;   Parent Loop BB121_20 Depth=1
                                        ;     Parent Loop BB121_24 Depth=2
                                        ; =>    This Inner Loop Header: Depth=3
	v_mov_b64_e32 v[16:17], v[12:13]
	v_cmp_ne_u64_e32 vcc, s[18:19], v[18:19]
	s_mov_b64 s[48:49], 0
                                        ; implicit-def: $vgpr12_vgpr13
	s_and_saveexec_b64 s[50:51], vcc
	s_xor_b64 s[50:51], exec, s[50:51]
; %bb.28:                               ;   in Loop: Header=BB121_27 Depth=3
	v_add_u32_e32 v12, 1, v16
	s_mov_b64 s[48:49], exec
	v_and_b32_e32 v12, 31, v12
                                        ; implicit-def: $vgpr27
; %bb.29:                               ;   in Loop: Header=BB121_27 Depth=3
	s_andn2_saveexec_b64 s[50:51], s[50:51]
	s_cbranch_execz .LBB121_31
; %bb.30:                               ;   in Loop: Header=BB121_27 Depth=3
	v_mov_b64_e32 v[12:13], s[18:19]
	ds_cmpst_rtn_b64 v[12:13], v27, v[12:13], v[14:15]
	s_andn2_b64 s[48:49], s[48:49], exec
	s_waitcnt lgkmcnt(0)
	v_cmp_ne_u64_e32 vcc, s[18:19], v[12:13]
	s_and_b64 s[52:53], vcc, exec
	s_or_b64 s[48:49], s[48:49], s[52:53]
	v_mov_b64_e32 v[12:13], v[16:17]
.LBB121_31:                             ;   in Loop: Header=BB121_27 Depth=3
	s_or_b64 exec, exec, s[50:51]
	s_mov_b64 s[50:51], -1
	s_or_b64 s[42:43], s[42:43], exec
                                        ; implicit-def: $vgpr27
                                        ; implicit-def: $vgpr18_vgpr19
	s_and_saveexec_b64 s[52:53], s[48:49]
	s_cbranch_execz .LBB121_26
; %bb.32:                               ;   in Loop: Header=BB121_27 Depth=3
	v_lshl_add_u32 v27, v12, 3, v22
	ds_read_b64 v[18:19], v27
	s_andn2_b64 s[42:43], s[42:43], exec
	s_waitcnt lgkmcnt(0)
	v_cmp_eq_u64_e32 vcc, v[18:19], v[14:15]
	s_orn2_b64 s[50:51], vcc, exec
	s_branch .LBB121_26
.LBB121_33:                             ;   in Loop: Header=BB121_24 Depth=2
	s_or_b64 exec, exec, s[28:29]
	s_and_saveexec_b64 s[28:29], s[40:41]
	s_xor_b64 s[28:29], exec, s[28:29]
	s_cbranch_execz .LBB121_22
; %bb.34:                               ;   in Loop: Header=BB121_24 Depth=2
	v_mov_b32_e32 v12, v16
	s_branch .LBB121_22
.LBB121_35:
	s_or_b64 exec, exec, s[0:1]
.LBB121_36:
	s_andn2_b64 vcc, exec, s[46:47]
	s_cbranch_vccnz .LBB121_53
; %bb.37:
	s_waitcnt vmcnt(0)
	v_lshl_add_u64 v[0:1], v[4:5], 3, s[30:31]
	global_load_dwordx4 v[6:9], v[0:1], off
	v_subrev_co_u32_e32 v2, vcc, s23, v24
	s_nop 1
	v_subb_co_u32_e64 v3, s[0:1], 0, 0, vcc
	s_waitcnt vmcnt(0)
	v_subrev_co_u32_e32 v0, vcc, s23, v8
	s_nop 1
	v_subbrev_co_u32_e32 v1, vcc, 0, v9, vcc
	v_lshl_add_u64 v[2:3], v[6:7], 0, v[2:3]
	v_cmp_lt_i64_e32 vcc, v[2:3], v[0:1]
	s_and_saveexec_b64 s[0:1], vcc
	s_cbranch_execz .LBB121_52
; %bb.38:
	s_mov_b32 s28, s23
	s_mov_b64 s[2:3], 0
	s_branch .LBB121_41
.LBB121_39:                             ;   in Loop: Header=BB121_41 Depth=1
	s_or_b64 exec, exec, s[8:9]
.LBB121_40:                             ;   in Loop: Header=BB121_41 Depth=1
	s_or_b64 exec, exec, s[4:5]
	s_waitcnt vmcnt(0)
	v_mul_f32_e64 v9, v7, -s44
	v_mul_f32_e32 v7, s33, v7
	v_fmac_f32_e32 v9, s33, v6
	v_fmac_f32_e32 v7, s44, v6
	v_lshl_add_u32 v6, v8, 3, v23
	ds_add_f32 v6, v9
	ds_add_f32 v6, v7 offset:4
	v_lshl_add_u64 v[2:3], v[2:3], 0, 16
	v_cmp_ge_i64_e32 vcc, v[2:3], v[0:1]
	s_or_b64 s[2:3], vcc, s[2:3]
	s_andn2_b64 exec, exec, s[2:3]
	s_cbranch_execz .LBB121_52
.LBB121_41:                             ; =>This Loop Header: Depth=1
                                        ;     Child Loop BB121_44 Depth 2
	v_lshlrev_b64 v[6:7], 3, v[2:3]
	v_lshl_add_u64 v[8:9], s[24:25], 0, v[6:7]
	global_load_dwordx2 v[8:9], v[8:9], off
	v_lshl_add_u64 v[6:7], s[26:27], 0, v[6:7]
	global_load_dwordx2 v[6:7], v[6:7], off
	s_waitcnt vmcnt(1)
	v_subrev_co_u32_e32 v10, vcc, s28, v8
	v_lshl_add_u32 v8, v10, 3, v10
	v_and_b32_e32 v8, 31, v8
	v_lshl_add_u32 v16, v8, 3, v22
	ds_read_b64 v[14:15], v16
	v_subbrev_co_u32_e32 v11, vcc, 0, v9, vcc
	s_waitcnt lgkmcnt(0)
	v_cmp_ne_u64_e32 vcc, v[14:15], v[10:11]
	s_and_saveexec_b64 s[4:5], vcc
	s_cbranch_execz .LBB121_40
; %bb.42:                               ;   in Loop: Header=BB121_41 Depth=1
	s_mov_b64 s[8:9], 0
                                        ; implicit-def: $sgpr10_sgpr11
                                        ; implicit-def: $sgpr12_sgpr13
	s_branch .LBB121_44
.LBB121_43:                             ;   in Loop: Header=BB121_44 Depth=2
	s_or_b64 exec, exec, s[20:21]
	s_and_b64 s[14:15], exec, s[16:17]
	s_or_b64 s[8:9], s[14:15], s[8:9]
	s_andn2_b64 s[10:11], s[10:11], exec
	s_and_b64 s[14:15], s[12:13], exec
	s_or_b64 s[10:11], s[10:11], s[14:15]
	s_andn2_b64 exec, exec, s[8:9]
	s_cbranch_execz .LBB121_50
.LBB121_44:                             ;   Parent Loop BB121_41 Depth=1
                                        ; =>  This Inner Loop Header: Depth=2
	v_mov_b64_e32 v[12:13], v[8:9]
	v_cmp_ne_u64_e32 vcc, s[18:19], v[14:15]
	s_mov_b64 s[14:15], 0
                                        ; implicit-def: $vgpr8_vgpr9
	s_and_saveexec_b64 s[16:17], vcc
	s_xor_b64 s[16:17], exec, s[16:17]
; %bb.45:                               ;   in Loop: Header=BB121_44 Depth=2
	v_add_u32_e32 v8, 1, v12
	s_mov_b64 s[14:15], exec
	v_and_b32_e32 v8, 31, v8
                                        ; implicit-def: $vgpr16
; %bb.46:                               ;   in Loop: Header=BB121_44 Depth=2
	s_andn2_saveexec_b64 s[16:17], s[16:17]
	s_cbranch_execz .LBB121_48
; %bb.47:                               ;   in Loop: Header=BB121_44 Depth=2
	v_mov_b64_e32 v[8:9], s[18:19]
	ds_cmpst_rtn_b64 v[8:9], v16, v[8:9], v[10:11]
	s_andn2_b64 s[14:15], s[14:15], exec
	s_waitcnt lgkmcnt(0)
	v_cmp_ne_u64_e32 vcc, s[18:19], v[8:9]
	s_and_b64 s[20:21], vcc, exec
	s_or_b64 s[14:15], s[14:15], s[20:21]
	v_mov_b64_e32 v[8:9], v[12:13]
.LBB121_48:                             ;   in Loop: Header=BB121_44 Depth=2
	s_or_b64 exec, exec, s[16:17]
	s_mov_b64 s[16:17], -1
	s_or_b64 s[12:13], s[12:13], exec
                                        ; implicit-def: $vgpr16
                                        ; implicit-def: $vgpr14_vgpr15
	s_and_saveexec_b64 s[20:21], s[14:15]
	s_cbranch_execz .LBB121_43
; %bb.49:                               ;   in Loop: Header=BB121_44 Depth=2
	v_lshl_add_u32 v16, v8, 3, v22
	ds_read_b64 v[14:15], v16
	s_andn2_b64 s[12:13], s[12:13], exec
	s_waitcnt lgkmcnt(0)
	v_cmp_eq_u64_e32 vcc, v[14:15], v[10:11]
	s_orn2_b64 s[16:17], vcc, exec
	s_branch .LBB121_43
.LBB121_50:                             ;   in Loop: Header=BB121_41 Depth=1
	s_or_b64 exec, exec, s[8:9]
	s_and_saveexec_b64 s[8:9], s[10:11]
	s_xor_b64 s[8:9], exec, s[8:9]
	s_cbranch_execz .LBB121_39
; %bb.51:                               ;   in Loop: Header=BB121_41 Depth=1
	v_mov_b32_e32 v8, v12
	s_branch .LBB121_39
.LBB121_52:
	s_or_b64 exec, exec, s[0:1]
.LBB121_53:
	s_waitcnt vmcnt(0)
	v_lshl_add_u64 v[0:1], v[4:5], 3, s[6:7]
	s_waitcnt lgkmcnt(0)
	global_load_dwordx2 v[0:1], v[0:1], off
	s_mov_b64 s[14:15], 0
	v_mov_b32_e32 v3, 0
	s_waitcnt vmcnt(0)
	v_subrev_co_u32_e32 v0, vcc, s22, v0
	s_nop 1
	v_subbrev_co_u32_e32 v1, vcc, 0, v1, vcc
	v_lshl_add_u64 v[0:1], v[0:1], 3, s[34:35]
	s_branch .LBB121_55
.LBB121_54:                             ;   in Loop: Header=BB121_55 Depth=1
	s_or_b64 exec, exec, s[16:17]
	v_add_co_u32_e32 v20, vcc, 16, v20
	s_xor_b64 s[0:1], vcc, -1
	s_and_b64 s[0:1], exec, s[0:1]
	s_or_b64 s[14:15], s[0:1], s[14:15]
	v_add_u32_e32 v21, 0x80, v21
	s_andn2_b64 exec, exec, s[14:15]
	s_cbranch_execz .LBB121_57
.LBB121_55:                             ; =>This Inner Loop Header: Depth=1
	ds_read_b64 v[4:5], v21 offset:4096
	s_waitcnt lgkmcnt(0)
	v_cmp_gt_i64_e32 vcc, s[18:19], v[4:5]
	s_and_saveexec_b64 s[16:17], vcc
	s_cbranch_execz .LBB121_54
; %bb.56:                               ;   in Loop: Header=BB121_55 Depth=1
	ds_read_b128 v[6:9], v22
	ds_read_b128 v[10:13], v22 offset:16
	ds_read_b128 v[14:17], v22 offset:32
	;; [unrolled: 1-line block ×3, first 2 shown]
	s_waitcnt lgkmcnt(3)
	v_cmp_gt_i64_e64 s[12:13], v[4:5], v[6:7]
	v_cmp_gt_i64_e64 s[8:9], v[4:5], v[8:9]
	s_nop 0
	v_cndmask_b32_e64 v2, 0, 1, s[12:13]
	v_lshlrev_b32_e32 v2, 3, v2
	v_lshl_add_u64 v[6:7], v[0:1], 0, v[2:3]
	v_cndmask_b32_e64 v2, 0, 1, s[8:9]
	s_waitcnt lgkmcnt(2)
	v_cmp_gt_i64_e64 s[10:11], v[4:5], v[10:11]
	v_lshlrev_b32_e32 v2, 3, v2
	v_lshl_add_u64 v[6:7], v[6:7], 0, v[2:3]
	v_cndmask_b32_e64 v2, 0, 1, s[10:11]
	v_cmp_gt_i64_e64 s[4:5], v[4:5], v[12:13]
	v_lshlrev_b32_e32 v2, 3, v2
	v_lshl_add_u64 v[6:7], v[6:7], 0, v[2:3]
	v_cndmask_b32_e64 v2, 0, 1, s[4:5]
	s_waitcnt lgkmcnt(1)
	v_cmp_gt_i64_e64 s[6:7], v[4:5], v[14:15]
	v_lshlrev_b32_e32 v2, 3, v2
	v_lshl_add_u64 v[6:7], v[6:7], 0, v[2:3]
	v_cndmask_b32_e64 v2, 0, 1, s[6:7]
	v_cmp_gt_i64_e64 s[0:1], v[4:5], v[16:17]
	v_lshlrev_b32_e32 v2, 3, v2
	v_lshl_add_u64 v[6:7], v[6:7], 0, v[2:3]
	v_cndmask_b32_e64 v2, 0, 1, s[0:1]
	s_waitcnt lgkmcnt(0)
	v_cmp_gt_i64_e64 s[2:3], v[4:5], v[24:25]
	v_lshlrev_b32_e32 v2, 3, v2
	v_lshl_add_u64 v[6:7], v[6:7], 0, v[2:3]
	v_cndmask_b32_e64 v2, 0, 1, s[2:3]
	v_cmp_gt_i64_e32 vcc, v[4:5], v[26:27]
	v_lshlrev_b32_e32 v2, 3, v2
	v_lshl_add_u64 v[6:7], v[6:7], 0, v[2:3]
	v_cndmask_b32_e64 v2, 0, 1, vcc
	ds_read_b128 v[8:11], v22 offset:64
	ds_read_b128 v[12:15], v22 offset:80
	;; [unrolled: 1-line block ×12, first 2 shown]
	v_lshlrev_b32_e32 v2, 3, v2
	s_waitcnt lgkmcnt(11)
	v_cmp_gt_i64_e32 vcc, v[4:5], v[8:9]
	v_lshl_add_u64 v[6:7], v[6:7], 0, v[2:3]
	ds_read_b64 v[8:9], v21
	v_cndmask_b32_e64 v2, 0, 1, vcc
	v_lshlrev_b32_e32 v2, 3, v2
	v_cmp_gt_i64_e32 vcc, v[4:5], v[10:11]
	v_lshl_add_u64 v[6:7], v[6:7], 0, v[2:3]
	s_nop 0
	v_cndmask_b32_e64 v2, 0, 1, vcc
	v_lshlrev_b32_e32 v2, 3, v2
	s_waitcnt lgkmcnt(11)
	v_cmp_gt_i64_e32 vcc, v[4:5], v[12:13]
	v_lshl_add_u64 v[6:7], v[6:7], 0, v[2:3]
	s_nop 0
	v_cndmask_b32_e64 v2, 0, 1, vcc
	v_lshlrev_b32_e32 v2, 3, v2
	v_cmp_gt_i64_e32 vcc, v[4:5], v[14:15]
	v_lshl_add_u64 v[6:7], v[6:7], 0, v[2:3]
	s_nop 0
	v_cndmask_b32_e64 v2, 0, 1, vcc
	v_lshlrev_b32_e32 v2, 3, v2
	s_waitcnt lgkmcnt(10)
	v_cmp_gt_i64_e32 vcc, v[4:5], v[16:17]
	v_lshl_add_u64 v[6:7], v[6:7], 0, v[2:3]
	s_nop 0
	;; [unrolled: 11-line block ×11, first 2 shown]
	v_cndmask_b32_e64 v2, 0, 1, vcc
	v_lshlrev_b32_e32 v2, 3, v2
	v_cmp_gt_i64_e32 vcc, v[4:5], v[58:59]
	v_lshl_add_u64 v[6:7], v[6:7], 0, v[2:3]
	s_nop 0
	v_cndmask_b32_e64 v2, 0, 1, vcc
	v_lshlrev_b32_e32 v2, 3, v2
	v_lshl_add_u64 v[4:5], v[6:7], 0, v[2:3]
	s_waitcnt lgkmcnt(0)
	global_store_dwordx2 v[4:5], v[8:9], off
	s_branch .LBB121_54
.LBB121_57:
	s_endpgm
	.section	.rodata,"a",@progbits
	.p2align	6, 0x0
	.amdhsa_kernel _ZN9rocsparseL38csrgemm_numeric_fill_wf_per_row_kernelILj256ELj16ELj32ELj137Ell21rocsparse_complex_numIfEEEvT4_S3_PKS3_S5_NS_24const_host_device_scalarIT5_EEPKT3_S5_PKS7_SB_S5_SD_S8_SB_S5_SD_SB_S5_PS7_21rocsparse_index_base_SF_SF_SF_bbb
		.amdhsa_group_segment_fixed_size 8192
		.amdhsa_private_segment_fixed_size 0
		.amdhsa_kernarg_size 164
		.amdhsa_user_sgpr_count 2
		.amdhsa_user_sgpr_dispatch_ptr 0
		.amdhsa_user_sgpr_queue_ptr 0
		.amdhsa_user_sgpr_kernarg_segment_ptr 1
		.amdhsa_user_sgpr_dispatch_id 0
		.amdhsa_user_sgpr_kernarg_preload_length 0
		.amdhsa_user_sgpr_kernarg_preload_offset 0
		.amdhsa_user_sgpr_private_segment_size 0
		.amdhsa_uses_dynamic_stack 0
		.amdhsa_enable_private_segment 0
		.amdhsa_system_sgpr_workgroup_id_x 1
		.amdhsa_system_sgpr_workgroup_id_y 0
		.amdhsa_system_sgpr_workgroup_id_z 0
		.amdhsa_system_sgpr_workgroup_info 0
		.amdhsa_system_vgpr_workitem_id 0
		.amdhsa_next_free_vgpr 60
		.amdhsa_next_free_sgpr 55
		.amdhsa_accum_offset 60
		.amdhsa_reserve_vcc 1
		.amdhsa_float_round_mode_32 0
		.amdhsa_float_round_mode_16_64 0
		.amdhsa_float_denorm_mode_32 3
		.amdhsa_float_denorm_mode_16_64 3
		.amdhsa_dx10_clamp 1
		.amdhsa_ieee_mode 1
		.amdhsa_fp16_overflow 0
		.amdhsa_tg_split 0
		.amdhsa_exception_fp_ieee_invalid_op 0
		.amdhsa_exception_fp_denorm_src 0
		.amdhsa_exception_fp_ieee_div_zero 0
		.amdhsa_exception_fp_ieee_overflow 0
		.amdhsa_exception_fp_ieee_underflow 0
		.amdhsa_exception_fp_ieee_inexact 0
		.amdhsa_exception_int_div_zero 0
	.end_amdhsa_kernel
	.section	.text._ZN9rocsparseL38csrgemm_numeric_fill_wf_per_row_kernelILj256ELj16ELj32ELj137Ell21rocsparse_complex_numIfEEEvT4_S3_PKS3_S5_NS_24const_host_device_scalarIT5_EEPKT3_S5_PKS7_SB_S5_SD_S8_SB_S5_SD_SB_S5_PS7_21rocsparse_index_base_SF_SF_SF_bbb,"axG",@progbits,_ZN9rocsparseL38csrgemm_numeric_fill_wf_per_row_kernelILj256ELj16ELj32ELj137Ell21rocsparse_complex_numIfEEEvT4_S3_PKS3_S5_NS_24const_host_device_scalarIT5_EEPKT3_S5_PKS7_SB_S5_SD_S8_SB_S5_SD_SB_S5_PS7_21rocsparse_index_base_SF_SF_SF_bbb,comdat
.Lfunc_end121:
	.size	_ZN9rocsparseL38csrgemm_numeric_fill_wf_per_row_kernelILj256ELj16ELj32ELj137Ell21rocsparse_complex_numIfEEEvT4_S3_PKS3_S5_NS_24const_host_device_scalarIT5_EEPKT3_S5_PKS7_SB_S5_SD_S8_SB_S5_SD_SB_S5_PS7_21rocsparse_index_base_SF_SF_SF_bbb, .Lfunc_end121-_ZN9rocsparseL38csrgemm_numeric_fill_wf_per_row_kernelILj256ELj16ELj32ELj137Ell21rocsparse_complex_numIfEEEvT4_S3_PKS3_S5_NS_24const_host_device_scalarIT5_EEPKT3_S5_PKS7_SB_S5_SD_S8_SB_S5_SD_SB_S5_PS7_21rocsparse_index_base_SF_SF_SF_bbb
                                        ; -- End function
	.set _ZN9rocsparseL38csrgemm_numeric_fill_wf_per_row_kernelILj256ELj16ELj32ELj137Ell21rocsparse_complex_numIfEEEvT4_S3_PKS3_S5_NS_24const_host_device_scalarIT5_EEPKT3_S5_PKS7_SB_S5_SD_S8_SB_S5_SD_SB_S5_PS7_21rocsparse_index_base_SF_SF_SF_bbb.num_vgpr, 60
	.set _ZN9rocsparseL38csrgemm_numeric_fill_wf_per_row_kernelILj256ELj16ELj32ELj137Ell21rocsparse_complex_numIfEEEvT4_S3_PKS3_S5_NS_24const_host_device_scalarIT5_EEPKT3_S5_PKS7_SB_S5_SD_S8_SB_S5_SD_SB_S5_PS7_21rocsparse_index_base_SF_SF_SF_bbb.num_agpr, 0
	.set _ZN9rocsparseL38csrgemm_numeric_fill_wf_per_row_kernelILj256ELj16ELj32ELj137Ell21rocsparse_complex_numIfEEEvT4_S3_PKS3_S5_NS_24const_host_device_scalarIT5_EEPKT3_S5_PKS7_SB_S5_SD_S8_SB_S5_SD_SB_S5_PS7_21rocsparse_index_base_SF_SF_SF_bbb.numbered_sgpr, 55
	.set _ZN9rocsparseL38csrgemm_numeric_fill_wf_per_row_kernelILj256ELj16ELj32ELj137Ell21rocsparse_complex_numIfEEEvT4_S3_PKS3_S5_NS_24const_host_device_scalarIT5_EEPKT3_S5_PKS7_SB_S5_SD_S8_SB_S5_SD_SB_S5_PS7_21rocsparse_index_base_SF_SF_SF_bbb.num_named_barrier, 0
	.set _ZN9rocsparseL38csrgemm_numeric_fill_wf_per_row_kernelILj256ELj16ELj32ELj137Ell21rocsparse_complex_numIfEEEvT4_S3_PKS3_S5_NS_24const_host_device_scalarIT5_EEPKT3_S5_PKS7_SB_S5_SD_S8_SB_S5_SD_SB_S5_PS7_21rocsparse_index_base_SF_SF_SF_bbb.private_seg_size, 0
	.set _ZN9rocsparseL38csrgemm_numeric_fill_wf_per_row_kernelILj256ELj16ELj32ELj137Ell21rocsparse_complex_numIfEEEvT4_S3_PKS3_S5_NS_24const_host_device_scalarIT5_EEPKT3_S5_PKS7_SB_S5_SD_S8_SB_S5_SD_SB_S5_PS7_21rocsparse_index_base_SF_SF_SF_bbb.uses_vcc, 1
	.set _ZN9rocsparseL38csrgemm_numeric_fill_wf_per_row_kernelILj256ELj16ELj32ELj137Ell21rocsparse_complex_numIfEEEvT4_S3_PKS3_S5_NS_24const_host_device_scalarIT5_EEPKT3_S5_PKS7_SB_S5_SD_S8_SB_S5_SD_SB_S5_PS7_21rocsparse_index_base_SF_SF_SF_bbb.uses_flat_scratch, 0
	.set _ZN9rocsparseL38csrgemm_numeric_fill_wf_per_row_kernelILj256ELj16ELj32ELj137Ell21rocsparse_complex_numIfEEEvT4_S3_PKS3_S5_NS_24const_host_device_scalarIT5_EEPKT3_S5_PKS7_SB_S5_SD_S8_SB_S5_SD_SB_S5_PS7_21rocsparse_index_base_SF_SF_SF_bbb.has_dyn_sized_stack, 0
	.set _ZN9rocsparseL38csrgemm_numeric_fill_wf_per_row_kernelILj256ELj16ELj32ELj137Ell21rocsparse_complex_numIfEEEvT4_S3_PKS3_S5_NS_24const_host_device_scalarIT5_EEPKT3_S5_PKS7_SB_S5_SD_S8_SB_S5_SD_SB_S5_PS7_21rocsparse_index_base_SF_SF_SF_bbb.has_recursion, 0
	.set _ZN9rocsparseL38csrgemm_numeric_fill_wf_per_row_kernelILj256ELj16ELj32ELj137Ell21rocsparse_complex_numIfEEEvT4_S3_PKS3_S5_NS_24const_host_device_scalarIT5_EEPKT3_S5_PKS7_SB_S5_SD_S8_SB_S5_SD_SB_S5_PS7_21rocsparse_index_base_SF_SF_SF_bbb.has_indirect_call, 0
	.section	.AMDGPU.csdata,"",@progbits
; Kernel info:
; codeLenInByte = 2776
; TotalNumSgprs: 61
; NumVgprs: 60
; NumAgprs: 0
; TotalNumVgprs: 60
; ScratchSize: 0
; MemoryBound: 0
; FloatMode: 240
; IeeeMode: 1
; LDSByteSize: 8192 bytes/workgroup (compile time only)
; SGPRBlocks: 7
; VGPRBlocks: 7
; NumSGPRsForWavesPerEU: 61
; NumVGPRsForWavesPerEU: 60
; AccumOffset: 60
; Occupancy: 8
; WaveLimiterHint : 1
; COMPUTE_PGM_RSRC2:SCRATCH_EN: 0
; COMPUTE_PGM_RSRC2:USER_SGPR: 2
; COMPUTE_PGM_RSRC2:TRAP_HANDLER: 0
; COMPUTE_PGM_RSRC2:TGID_X_EN: 1
; COMPUTE_PGM_RSRC2:TGID_Y_EN: 0
; COMPUTE_PGM_RSRC2:TGID_Z_EN: 0
; COMPUTE_PGM_RSRC2:TIDIG_COMP_CNT: 0
; COMPUTE_PGM_RSRC3_GFX90A:ACCUM_OFFSET: 14
; COMPUTE_PGM_RSRC3_GFX90A:TG_SPLIT: 0
	.section	.text._ZN9rocsparseL41csrgemm_numeric_fill_block_per_row_kernelILj128ELj16ELj256ELj137ELj32Ell21rocsparse_complex_numIfEEEvT5_PKS3_S5_NS_24const_host_device_scalarIT6_EEPKT4_S5_PKS7_SB_S5_SD_S8_SB_S5_SD_SB_S5_PS7_21rocsparse_index_base_SF_SF_SF_bbb,"axG",@progbits,_ZN9rocsparseL41csrgemm_numeric_fill_block_per_row_kernelILj128ELj16ELj256ELj137ELj32Ell21rocsparse_complex_numIfEEEvT5_PKS3_S5_NS_24const_host_device_scalarIT6_EEPKT4_S5_PKS7_SB_S5_SD_S8_SB_S5_SD_SB_S5_PS7_21rocsparse_index_base_SF_SF_SF_bbb,comdat
	.globl	_ZN9rocsparseL41csrgemm_numeric_fill_block_per_row_kernelILj128ELj16ELj256ELj137ELj32Ell21rocsparse_complex_numIfEEEvT5_PKS3_S5_NS_24const_host_device_scalarIT6_EEPKT4_S5_PKS7_SB_S5_SD_S8_SB_S5_SD_SB_S5_PS7_21rocsparse_index_base_SF_SF_SF_bbb ; -- Begin function _ZN9rocsparseL41csrgemm_numeric_fill_block_per_row_kernelILj128ELj16ELj256ELj137ELj32Ell21rocsparse_complex_numIfEEEvT5_PKS3_S5_NS_24const_host_device_scalarIT6_EEPKT4_S5_PKS7_SB_S5_SD_S8_SB_S5_SD_SB_S5_PS7_21rocsparse_index_base_SF_SF_SF_bbb
	.p2align	8
	.type	_ZN9rocsparseL41csrgemm_numeric_fill_block_per_row_kernelILj128ELj16ELj256ELj137ELj32Ell21rocsparse_complex_numIfEEEvT5_PKS3_S5_NS_24const_host_device_scalarIT6_EEPKT4_S5_PKS7_SB_S5_SD_S8_SB_S5_SD_SB_S5_PS7_21rocsparse_index_base_SF_SF_SF_bbb,@function
_ZN9rocsparseL41csrgemm_numeric_fill_block_per_row_kernelILj128ELj16ELj256ELj137ELj32Ell21rocsparse_complex_numIfEEEvT5_PKS3_S5_NS_24const_host_device_scalarIT6_EEPKT4_S5_PKS7_SB_S5_SD_S8_SB_S5_SD_SB_S5_PS7_21rocsparse_index_base_SF_SF_SF_bbb: ; @_ZN9rocsparseL41csrgemm_numeric_fill_block_per_row_kernelILj128ELj16ELj256ELj137ELj32Ell21rocsparse_complex_numIfEEEvT5_PKS3_S5_NS_24const_host_device_scalarIT6_EEPKT4_S5_PKS7_SB_S5_SD_S8_SB_S5_SD_SB_S5_PS7_21rocsparse_index_base_SF_SF_SF_bbb
; %bb.0:
	s_load_dwordx2 s[40:41], s[0:1], 0x70
	s_load_dwordx4 s[24:27], s[0:1], 0x50
	s_load_dword s3, s[0:1], 0x98
	s_load_dwordx4 s[36:39], s[0:1], 0x8
	s_load_dwordx8 s[8:15], s[0:1], 0x20
	s_load_dwordx2 s[34:35], s[0:1], 0x80
	s_load_dwordx4 s[16:19], s[0:1], 0x88
	s_waitcnt lgkmcnt(0)
	s_bitcmp1_b32 s3, 0
	s_cselect_b64 s[44:45], -1, 0
	s_bitcmp1_b32 s3, 16
	s_cselect_b64 s[4:5], -1, 0
	s_xor_b64 s[4:5], s[4:5], -1
	v_cndmask_b32_e64 v1, 0, 1, s[4:5]
	s_mov_b32 s7, 0
	s_bitcmp0_b32 s3, 0
	v_cmp_ne_u32_e64 s[4:5], 1, v1
	s_mov_b32 s61, 0
	s_cbranch_scc1 .LBB122_5
; %bb.1:
	s_load_dwordx2 s[6:7], s[0:1], 0x18
	s_and_b64 vcc, exec, s[4:5]
	s_waitcnt lgkmcnt(0)
	s_mov_b32 s61, s6
	s_cbranch_vccnz .LBB122_3
; %bb.2:
	s_load_dword s61, s[6:7], 0x0
.LBB122_3:
	s_and_b64 vcc, exec, s[4:5]
	s_cbranch_vccnz .LBB122_5
; %bb.4:
	s_load_dword s7, s[6:7], 0x4
.LBB122_5:
	s_nop 0
	s_load_dwordx4 s[20:23], s[0:1], 0x60
	s_load_dwordx4 s[28:31], s[0:1], 0x40
	s_bitcmp1_b32 s3, 8
	s_cselect_b64 s[42:43], -1, 0
	s_bfe_u32 s3, s3, 0x10008
	s_mov_b32 s33, 0
	s_cmp_eq_u32 s3, 0
	s_mov_b32 s60, 0
	s_cbranch_scc1 .LBB122_11
; %bb.6:
	s_and_b64 vcc, exec, s[4:5]
	s_mov_b32 s33, s24
	s_cbranch_vccnz .LBB122_8
; %bb.7:
	s_load_dword s33, s[24:25], 0x0
.LBB122_8:
	s_and_b64 vcc, exec, s[4:5]
	s_cbranch_vccnz .LBB122_10
; %bb.9:
	s_load_dword s25, s[24:25], 0x4
.LBB122_10:
	s_waitcnt lgkmcnt(0)
	s_mov_b32 s60, s25
.LBB122_11:
	s_load_dwordx2 s[24:25], s[0:1], 0x0
	s_movk_i32 s0, 0x100
	v_cmp_gt_u32_e64 s[0:1], s0, v0
	v_lshl_add_u32 v1, v0, 3, 0
	s_and_saveexec_b64 s[4:5], s[0:1]
	s_cbranch_execz .LBB122_14
; %bb.12:
	v_or_b32_e32 v2, 0xffffff80, v0
	v_lshl_add_u32 v3, v0, 3, 0
	s_mov_b64 s[46:47], 0
	s_waitcnt lgkmcnt(0)
	v_mov_b64_e32 v[6:7], s[24:25]
	v_mov_b32_e32 v4, 0
.LBB122_13:                             ; =>This Inner Loop Header: Depth=1
	v_add_co_u32_e32 v2, vcc, 0x80, v2
	s_xor_b64 s[48:49], vcc, -1
	s_and_b64 s[48:49], exec, s[48:49]
	ds_write_b64 v3, v[6:7]
	v_add_u32_e32 v5, 0x800, v3
	v_add_u32_e32 v3, 0x400, v3
	s_or_b64 s[46:47], s[48:49], s[46:47]
	ds_write2_b32 v5, v4, v4 offset1:1
	s_andn2_b64 exec, exec, s[46:47]
	s_cbranch_execnz .LBB122_13
.LBB122_14:
	s_or_b64 exec, exec, s[4:5]
	s_waitcnt lgkmcnt(0)
	s_barrier
	s_load_dwordx2 s[4:5], s[36:37], 0x0
	s_mov_b32 s3, 0
	s_waitcnt lgkmcnt(0)
	s_lshl_b64 s[4:5], s[4:5], 3
	s_add_u32 s4, s38, s4
	s_addc_u32 s5, s39, s5
	s_lshl_b64 s[2:3], s[2:3], 3
	s_add_u32 s2, s4, s2
	s_addc_u32 s3, s5, s3
	s_load_dwordx2 s[36:37], s[2:3], 0x0
	s_and_b64 vcc, exec, s[44:45]
	s_cbranch_vccz .LBB122_34
; %bb.15:
	s_waitcnt lgkmcnt(0)
	s_lshl_b64 s[2:3], s[36:37], 3
	s_add_u32 s2, s8, s2
	s_addc_u32 s3, s9, s3
	s_load_dwordx4 s[44:47], s[2:3], 0x0
	v_lshrrev_b32_e32 v2, 4, v0
	v_subrev_co_u32_e32 v2, vcc, s16, v2
	s_waitcnt lgkmcnt(0)
	s_sub_u32 s2, s46, s16
	v_subb_co_u32_e64 v3, s[4:5], 0, 0, vcc
	s_subb_u32 s3, s47, 0
	v_lshl_add_u64 v[2:3], s[44:45], 0, v[2:3]
	v_cmp_gt_i64_e32 vcc, s[2:3], v[2:3]
	s_and_saveexec_b64 s[4:5], vcc
	s_cbranch_execz .LBB122_33
; %bb.16:
	v_and_b32_e32 v4, 15, v0
	v_subrev_co_u32_e32 v4, vcc, s17, v4
	s_mov_b32 s6, s17
	s_nop 0
	v_subb_co_u32_e64 v5, s[8:9], 0, 0, vcc
	s_mov_b64 s[8:9], 0
	s_movk_i32 s17, 0x89
	s_branch .LBB122_18
.LBB122_17:                             ;   in Loop: Header=BB122_18 Depth=1
	s_or_b64 exec, exec, s[38:39]
	v_lshl_add_u64 v[2:3], v[2:3], 0, 8
	v_cmp_le_i64_e32 vcc, s[2:3], v[2:3]
	s_or_b64 s[8:9], vcc, s[8:9]
	s_andn2_b64 exec, exec, s[8:9]
	s_cbranch_execz .LBB122_33
.LBB122_18:                             ; =>This Loop Header: Depth=1
                                        ;     Child Loop BB122_22 Depth 2
                                        ;       Child Loop BB122_25 Depth 3
	v_lshl_add_u64 v[6:7], v[2:3], 3, s[10:11]
	global_load_dwordx2 v[6:7], v[6:7], off
	s_waitcnt vmcnt(0)
	v_subrev_co_u32_e32 v6, vcc, s16, v6
	s_nop 1
	v_subbrev_co_u32_e32 v7, vcc, 0, v7, vcc
	v_lshl_add_u64 v[6:7], v[6:7], 3, s[14:15]
	global_load_dwordx4 v[8:11], v[6:7], off
	s_waitcnt vmcnt(0)
	v_subrev_co_u32_e32 v6, vcc, s6, v10
	s_nop 1
	v_subbrev_co_u32_e32 v7, vcc, 0, v11, vcc
	v_lshl_add_u64 v[8:9], v[8:9], 0, v[4:5]
	v_cmp_lt_i64_e32 vcc, v[8:9], v[6:7]
	s_and_saveexec_b64 s[38:39], vcc
	s_cbranch_execz .LBB122_17
; %bb.19:                               ;   in Loop: Header=BB122_18 Depth=1
	v_lshl_add_u64 v[10:11], v[2:3], 3, s[12:13]
	global_load_dwordx2 v[10:11], v[10:11], off
	s_mov_b64 s[44:45], 0
	s_waitcnt vmcnt(0)
	v_mul_f32_e64 v20, v11, -s7
	v_mul_f32_e32 v21, s61, v11
	v_fmac_f32_e32 v20, s61, v10
	v_fmac_f32_e32 v21, s7, v10
	s_branch .LBB122_22
.LBB122_20:                             ;   in Loop: Header=BB122_22 Depth=2
	s_or_b64 exec, exec, s[48:49]
.LBB122_21:                             ;   in Loop: Header=BB122_22 Depth=2
	s_or_b64 exec, exec, s[46:47]
	s_waitcnt vmcnt(0)
	v_mul_f32_e64 v13, v11, -v21
	v_mul_f32_e32 v11, v20, v11
	v_fmac_f32_e32 v13, v20, v10
	v_fmac_f32_e32 v11, v21, v10
	v_lshl_add_u32 v10, v12, 3, 0
	ds_add_f32 v10, v13 offset:2048
	ds_add_f32 v10, v11 offset:2052
	v_lshl_add_u64 v[8:9], v[8:9], 0, 16
	v_cmp_ge_i64_e32 vcc, v[8:9], v[6:7]
	s_or_b64 s[44:45], vcc, s[44:45]
	s_andn2_b64 exec, exec, s[44:45]
	s_cbranch_execz .LBB122_17
.LBB122_22:                             ;   Parent Loop BB122_18 Depth=1
                                        ; =>  This Loop Header: Depth=2
                                        ;       Child Loop BB122_25 Depth 3
	v_lshlrev_b64 v[10:11], 3, v[8:9]
	v_lshl_add_u64 v[12:13], s[28:29], 0, v[10:11]
	global_load_dwordx2 v[12:13], v[12:13], off
	v_lshl_add_u64 v[10:11], s[30:31], 0, v[10:11]
	global_load_dwordx2 v[10:11], v[10:11], off
	s_waitcnt vmcnt(1)
	v_subrev_co_u32_e32 v14, vcc, s6, v12
	v_mul_lo_u32 v12, v14, s17
	v_and_b32_e32 v12, 0xff, v12
	v_lshl_add_u32 v22, v12, 3, 0
	ds_read_b64 v[18:19], v22
	v_subbrev_co_u32_e32 v15, vcc, 0, v13, vcc
	s_waitcnt lgkmcnt(0)
	v_cmp_ne_u64_e32 vcc, v[18:19], v[14:15]
	s_and_saveexec_b64 s[46:47], vcc
	s_cbranch_execz .LBB122_21
; %bb.23:                               ;   in Loop: Header=BB122_22 Depth=2
	s_mov_b64 s[48:49], 0
                                        ; implicit-def: $sgpr50_sgpr51
                                        ; implicit-def: $sgpr52_sgpr53
	s_branch .LBB122_25
.LBB122_24:                             ;   in Loop: Header=BB122_25 Depth=3
	s_or_b64 exec, exec, s[58:59]
	s_and_b64 s[54:55], exec, s[56:57]
	s_or_b64 s[48:49], s[54:55], s[48:49]
	s_andn2_b64 s[50:51], s[50:51], exec
	s_and_b64 s[54:55], s[52:53], exec
	s_or_b64 s[50:51], s[50:51], s[54:55]
	s_andn2_b64 exec, exec, s[48:49]
	s_cbranch_execz .LBB122_31
.LBB122_25:                             ;   Parent Loop BB122_18 Depth=1
                                        ;     Parent Loop BB122_22 Depth=2
                                        ; =>    This Inner Loop Header: Depth=3
	v_mov_b64_e32 v[16:17], v[12:13]
	v_cmp_ne_u64_e32 vcc, s[24:25], v[18:19]
	s_mov_b64 s[54:55], 0
                                        ; implicit-def: $vgpr12_vgpr13
	s_and_saveexec_b64 s[56:57], vcc
	s_xor_b64 s[56:57], exec, s[56:57]
; %bb.26:                               ;   in Loop: Header=BB122_25 Depth=3
	v_add_u32_e32 v12, 1, v16
	s_mov_b64 s[54:55], exec
	v_and_b32_e32 v12, 0xff, v12
                                        ; implicit-def: $vgpr22
; %bb.27:                               ;   in Loop: Header=BB122_25 Depth=3
	s_andn2_saveexec_b64 s[56:57], s[56:57]
	s_cbranch_execz .LBB122_29
; %bb.28:                               ;   in Loop: Header=BB122_25 Depth=3
	v_mov_b64_e32 v[12:13], s[24:25]
	ds_cmpst_rtn_b64 v[12:13], v22, v[12:13], v[14:15]
	s_andn2_b64 s[54:55], s[54:55], exec
	s_waitcnt lgkmcnt(0)
	v_cmp_ne_u64_e32 vcc, s[24:25], v[12:13]
	s_and_b64 s[58:59], vcc, exec
	s_or_b64 s[54:55], s[54:55], s[58:59]
	v_mov_b64_e32 v[12:13], v[16:17]
.LBB122_29:                             ;   in Loop: Header=BB122_25 Depth=3
	s_or_b64 exec, exec, s[56:57]
	s_mov_b64 s[56:57], -1
	s_or_b64 s[52:53], s[52:53], exec
                                        ; implicit-def: $vgpr22
                                        ; implicit-def: $vgpr18_vgpr19
	s_and_saveexec_b64 s[58:59], s[54:55]
	s_cbranch_execz .LBB122_24
; %bb.30:                               ;   in Loop: Header=BB122_25 Depth=3
	v_lshl_add_u32 v22, v12, 3, 0
	ds_read_b64 v[18:19], v22
	s_andn2_b64 s[52:53], s[52:53], exec
	s_waitcnt lgkmcnt(0)
	v_cmp_eq_u64_e32 vcc, v[18:19], v[14:15]
	s_orn2_b64 s[56:57], vcc, exec
	s_branch .LBB122_24
.LBB122_31:                             ;   in Loop: Header=BB122_22 Depth=2
	s_or_b64 exec, exec, s[48:49]
	s_and_saveexec_b64 s[48:49], s[50:51]
	s_xor_b64 s[48:49], exec, s[48:49]
	s_cbranch_execz .LBB122_20
; %bb.32:                               ;   in Loop: Header=BB122_22 Depth=2
	v_mov_b32_e32 v12, v16
	s_branch .LBB122_20
.LBB122_33:
	s_or_b64 exec, exec, s[4:5]
.LBB122_34:
	s_andn2_b64 vcc, exec, s[42:43]
	s_cbranch_vccnz .LBB122_51
; %bb.35:
	s_waitcnt lgkmcnt(0)
	s_lshl_b64 s[2:3], s[36:37], 3
	s_add_u32 s2, s26, s2
	s_addc_u32 s3, s27, s3
	s_load_dwordx4 s[4:7], s[2:3], 0x0
	v_subrev_co_u32_e32 v2, vcc, s19, v0
	s_waitcnt lgkmcnt(0)
	s_sub_u32 s2, s6, s19
	s_subb_u32 s3, s7, 0
	v_subb_co_u32_e64 v3, s[6:7], 0, 0, vcc
	v_lshl_add_u64 v[2:3], s[4:5], 0, v[2:3]
	v_cmp_gt_i64_e32 vcc, s[2:3], v[2:3]
	s_and_saveexec_b64 s[4:5], vcc
	s_cbranch_execz .LBB122_50
; %bb.36:
	s_mov_b32 s38, s19
	s_mov_b64 s[6:7], 0
	s_movk_i32 s19, 0x89
	s_mov_b64 s[8:9], 0x80
	s_branch .LBB122_39
.LBB122_37:                             ;   in Loop: Header=BB122_39 Depth=1
	s_or_b64 exec, exec, s[12:13]
.LBB122_38:                             ;   in Loop: Header=BB122_39 Depth=1
	s_or_b64 exec, exec, s[10:11]
	s_waitcnt vmcnt(0)
	v_mul_f32_e64 v7, v5, -s60
	v_mul_f32_e32 v5, s33, v5
	v_fmac_f32_e32 v7, s33, v4
	v_fmac_f32_e32 v5, s60, v4
	v_lshl_add_u32 v4, v6, 3, 0
	ds_add_f32 v4, v7 offset:2048
	ds_add_f32 v4, v5 offset:2052
	v_lshl_add_u64 v[2:3], v[2:3], 0, s[8:9]
	v_cmp_le_i64_e32 vcc, s[2:3], v[2:3]
	s_or_b64 s[6:7], vcc, s[6:7]
	s_andn2_b64 exec, exec, s[6:7]
	s_cbranch_execz .LBB122_50
.LBB122_39:                             ; =>This Loop Header: Depth=1
                                        ;     Child Loop BB122_42 Depth 2
	v_lshlrev_b64 v[4:5], 3, v[2:3]
	v_lshl_add_u64 v[6:7], s[20:21], 0, v[4:5]
	global_load_dwordx2 v[6:7], v[6:7], off
	v_lshl_add_u64 v[4:5], s[22:23], 0, v[4:5]
	global_load_dwordx2 v[4:5], v[4:5], off
	s_waitcnt vmcnt(1)
	v_subrev_co_u32_e32 v8, vcc, s38, v6
	v_mul_lo_u32 v6, v8, s19
	v_and_b32_e32 v6, 0xff, v6
	v_lshl_add_u32 v14, v6, 3, 0
	ds_read_b64 v[12:13], v14
	v_subbrev_co_u32_e32 v9, vcc, 0, v7, vcc
	s_waitcnt lgkmcnt(0)
	v_cmp_ne_u64_e32 vcc, v[12:13], v[8:9]
	s_and_saveexec_b64 s[10:11], vcc
	s_cbranch_execz .LBB122_38
; %bb.40:                               ;   in Loop: Header=BB122_39 Depth=1
	s_mov_b64 s[12:13], 0
                                        ; implicit-def: $sgpr14_sgpr15
                                        ; implicit-def: $sgpr16_sgpr17
	s_branch .LBB122_42
.LBB122_41:                             ;   in Loop: Header=BB122_42 Depth=2
	s_or_b64 exec, exec, s[30:31]
	s_and_b64 s[26:27], exec, s[28:29]
	s_or_b64 s[12:13], s[26:27], s[12:13]
	s_andn2_b64 s[14:15], s[14:15], exec
	s_and_b64 s[26:27], s[16:17], exec
	s_or_b64 s[14:15], s[14:15], s[26:27]
	s_andn2_b64 exec, exec, s[12:13]
	s_cbranch_execz .LBB122_48
.LBB122_42:                             ;   Parent Loop BB122_39 Depth=1
                                        ; =>  This Inner Loop Header: Depth=2
	v_mov_b64_e32 v[10:11], v[6:7]
	v_cmp_ne_u64_e32 vcc, s[24:25], v[12:13]
	s_mov_b64 s[26:27], 0
                                        ; implicit-def: $vgpr6_vgpr7
	s_and_saveexec_b64 s[28:29], vcc
	s_xor_b64 s[28:29], exec, s[28:29]
; %bb.43:                               ;   in Loop: Header=BB122_42 Depth=2
	v_add_u32_e32 v6, 1, v10
	s_mov_b64 s[26:27], exec
	v_and_b32_e32 v6, 0xff, v6
                                        ; implicit-def: $vgpr14
; %bb.44:                               ;   in Loop: Header=BB122_42 Depth=2
	s_andn2_saveexec_b64 s[28:29], s[28:29]
	s_cbranch_execz .LBB122_46
; %bb.45:                               ;   in Loop: Header=BB122_42 Depth=2
	v_mov_b64_e32 v[6:7], s[24:25]
	ds_cmpst_rtn_b64 v[6:7], v14, v[6:7], v[8:9]
	s_andn2_b64 s[26:27], s[26:27], exec
	s_waitcnt lgkmcnt(0)
	v_cmp_ne_u64_e32 vcc, s[24:25], v[6:7]
	s_and_b64 s[30:31], vcc, exec
	s_or_b64 s[26:27], s[26:27], s[30:31]
	v_mov_b64_e32 v[6:7], v[10:11]
.LBB122_46:                             ;   in Loop: Header=BB122_42 Depth=2
	s_or_b64 exec, exec, s[28:29]
	s_mov_b64 s[28:29], -1
	s_or_b64 s[16:17], s[16:17], exec
                                        ; implicit-def: $vgpr14
                                        ; implicit-def: $vgpr12_vgpr13
	s_and_saveexec_b64 s[30:31], s[26:27]
	s_cbranch_execz .LBB122_41
; %bb.47:                               ;   in Loop: Header=BB122_42 Depth=2
	v_lshl_add_u32 v14, v6, 3, 0
	ds_read_b64 v[12:13], v14
	s_andn2_b64 s[16:17], s[16:17], exec
	s_waitcnt lgkmcnt(0)
	v_cmp_eq_u64_e32 vcc, v[12:13], v[8:9]
	s_orn2_b64 s[28:29], vcc, exec
	s_branch .LBB122_41
.LBB122_48:                             ;   in Loop: Header=BB122_39 Depth=1
	s_or_b64 exec, exec, s[12:13]
	s_and_saveexec_b64 s[12:13], s[14:15]
	s_xor_b64 s[12:13], exec, s[12:13]
	s_cbranch_execz .LBB122_37
; %bb.49:                               ;   in Loop: Header=BB122_39 Depth=1
	v_mov_b32_e32 v6, v10
	s_branch .LBB122_37
.LBB122_50:
	s_or_b64 exec, exec, s[4:5]
.LBB122_51:
	s_waitcnt lgkmcnt(0)
	s_barrier
	s_and_saveexec_b64 s[8:9], s[0:1]
	s_cbranch_execz .LBB122_64
; %bb.52:
	v_mbcnt_lo_u32_b32 v2, -1, 0
	v_mbcnt_hi_u32_b32 v2, -1, v2
	v_sub_u32_e32 v2, 63, v2
	v_lshrrev_b64 v[4:5], v2, -1
	v_lshrrev_b32_e32 v2, 2, v0
	v_and_b32_e32 v2, 24, v2
	s_movk_i32 s0, 0x7f
	s_movk_i32 s6, 0x5f
	v_mov_b32_e32 v3, 0
	v_add_u32_e32 v14, 0, v2
	v_cmp_eq_u32_e64 s[0:1], s0, v0
	v_cmp_lt_u32_e64 s[2:3], 31, v0
	v_cmp_lt_u32_e64 s[4:5], 63, v0
	;; [unrolled: 1-line block ×3, first 2 shown]
	v_or_b32_e32 v15, 0xffffff80, v0
	s_mov_b64 s[10:11], 0
	v_mov_b64_e32 v[6:7], 0
	s_branch .LBB122_54
.LBB122_53:                             ;   in Loop: Header=BB122_54 Depth=1
	s_or_b64 exec, exec, s[12:13]
	s_waitcnt lgkmcnt(0)
	s_barrier
	ds_read_b64 v[8:9], v3 offset:4120
	v_add_co_u32_e32 v15, vcc, 0x80, v15
	s_xor_b64 s[12:13], vcc, -1
	s_and_b64 s[12:13], exec, s[12:13]
	s_waitcnt lgkmcnt(0)
	v_lshl_add_u64 v[6:7], v[8:9], 0, v[6:7]
	s_or_b64 s[10:11], s[12:13], s[10:11]
	v_add_u32_e32 v1, 0x400, v1
	s_andn2_b64 exec, exec, s[10:11]
	s_cbranch_execz .LBB122_64
.LBB122_54:                             ; =>This Inner Loop Header: Depth=1
	ds_read_b64 v[8:9], v1
	v_add_u32_e32 v2, 0x800, v1
	ds_read2_b32 v[10:11], v2 offset1:1
	s_waitcnt lgkmcnt(0)
	s_barrier
	v_cmp_gt_i64_e32 vcc, s[24:25], v[8:9]
	s_bcnt1_i32_b64 s12, vcc
	v_mov_b32_e32 v2, s12
	v_and_b32_e32 v13, vcc_lo, v4
	v_and_b32_e32 v12, vcc_hi, v5
	v_bcnt_u32_b32 v13, v13, 0
	v_bcnt_u32_b32 v12, v12, v13
	ds_write_b64 v14, v[2:3] offset:4096
	s_waitcnt lgkmcnt(0)
	s_barrier
	s_and_saveexec_b64 s[12:13], s[2:3]
	s_cbranch_execnz .LBB122_59
; %bb.55:                               ;   in Loop: Header=BB122_54 Depth=1
	s_or_b64 exec, exec, s[12:13]
	s_and_saveexec_b64 s[12:13], s[4:5]
	s_cbranch_execnz .LBB122_60
.LBB122_56:                             ;   in Loop: Header=BB122_54 Depth=1
	s_or_b64 exec, exec, s[12:13]
	s_and_saveexec_b64 s[12:13], s[6:7]
	s_cbranch_execnz .LBB122_61
.LBB122_57:                             ;   in Loop: Header=BB122_54 Depth=1
	s_or_b64 exec, exec, s[12:13]
	v_ashrrev_i32_e32 v13, 31, v12
	s_and_saveexec_b64 s[12:13], vcc
	s_cbranch_execnz .LBB122_62
.LBB122_58:                             ;   in Loop: Header=BB122_54 Depth=1
	s_or_b64 exec, exec, s[12:13]
	s_and_saveexec_b64 s[12:13], s[0:1]
	s_cbranch_execz .LBB122_53
	s_branch .LBB122_63
.LBB122_59:                             ;   in Loop: Header=BB122_54 Depth=1
	ds_read_b32 v2, v3 offset:4096
	s_waitcnt lgkmcnt(0)
	v_add_u32_e32 v12, v2, v12
	s_or_b64 exec, exec, s[12:13]
	s_and_saveexec_b64 s[12:13], s[4:5]
	s_cbranch_execz .LBB122_56
.LBB122_60:                             ;   in Loop: Header=BB122_54 Depth=1
	ds_read_b32 v2, v3 offset:4104
	s_waitcnt lgkmcnt(0)
	v_add_u32_e32 v12, v12, v2
	s_or_b64 exec, exec, s[12:13]
	s_and_saveexec_b64 s[12:13], s[6:7]
	s_cbranch_execz .LBB122_57
.LBB122_61:                             ;   in Loop: Header=BB122_54 Depth=1
	ds_read_b32 v2, v3 offset:4112
	s_waitcnt lgkmcnt(0)
	v_add_u32_e32 v12, v12, v2
	s_or_b64 exec, exec, s[12:13]
	v_ashrrev_i32_e32 v13, 31, v12
	s_and_saveexec_b64 s[12:13], vcc
	s_cbranch_execz .LBB122_58
.LBB122_62:                             ;   in Loop: Header=BB122_54 Depth=1
	v_add3_u32 v2, v6, -1, v12
	v_add_u32_e32 v16, v6, v12
	v_lshl_add_u32 v2, v2, 3, 0
	v_lshl_add_u32 v16, v16, 3, 0
	v_add_u32_e32 v16, 0x7f8, v16
	ds_write_b64 v2, v[8:9]
	ds_write2_b32 v16, v10, v11 offset1:1
	s_or_b64 exec, exec, s[12:13]
	s_and_saveexec_b64 s[12:13], s[0:1]
	s_cbranch_execz .LBB122_53
.LBB122_63:                             ;   in Loop: Header=BB122_54 Depth=1
	ds_write_b64 v3, v[12:13] offset:4120
	s_branch .LBB122_53
.LBB122_64:
	s_or_b64 exec, exec, s[8:9]
	s_lshl_b64 s[0:1], s[36:37], 3
	s_add_u32 s4, s40, s0
	s_addc_u32 s5, s41, s1
	s_load_dwordx4 s[0:3], s[4:5], 0x0
	v_mov_b32_e32 v1, 0
	s_waitcnt lgkmcnt(0)
	s_sub_u32 s4, s2, s0
	s_subb_u32 s5, s3, s1
	v_cmp_gt_i64_e32 vcc, s[4:5], v[0:1]
	s_and_saveexec_b64 s[6:7], vcc
	s_cbranch_execz .LBB122_74
; %bb.65:
	s_sub_u32 s8, s0, s18
	s_subb_u32 s9, s1, 0
	s_and_b32 s6, s4, 7
	s_sub_u32 s0, s0, s2
	s_mov_b32 s7, 0
	s_subb_u32 s1, s1, s3
	s_and_b32 s10, s4, -8
	s_cmp_lg_u64 s[6:7], 0
	v_cmp_lt_u64_e64 s[0:1], s[0:1], -7
	s_cselect_b64 s[2:3], -1, 0
	s_mov_b32 s11, s5
	v_cndmask_b32_e64 v2, 0, 1, s[0:1]
	v_cmp_ne_u32_e64 s[0:1], 1, v2
	v_cndmask_b32_e64 v2, 0, 1, s[2:3]
	s_mov_b64 s[12:13], 0
	v_cmp_ne_u32_e64 s[2:3], 1, v2
	s_mov_b64 s[14:15], 0x80
	s_branch .LBB122_67
.LBB122_66:                             ;   in Loop: Header=BB122_67 Depth=1
	v_lshl_add_u64 v[0:1], v[0:1], 0, s[14:15]
	v_cmp_le_i64_e32 vcc, s[4:5], v[0:1]
	s_waitcnt lgkmcnt(1)
	v_lshl_add_u64 v[4:5], v[6:7], 3, s[34:35]
	s_or_b64 s[12:13], vcc, s[12:13]
	s_waitcnt lgkmcnt(0)
	global_store_dwordx2 v[4:5], v[2:3], off
	s_andn2_b64 exec, exec, s[12:13]
	s_cbranch_execz .LBB122_74
.LBB122_67:                             ; =>This Loop Header: Depth=1
                                        ;     Child Loop BB122_69 Depth 2
                                        ;     Child Loop BB122_73 Depth 2
	v_lshl_add_u32 v2, v0, 3, 0
	v_add_u32_e32 v3, 0x800, v2
	ds_read_b64 v[4:5], v2
	ds_read2_b32 v[2:3], v3 offset1:1
	s_and_b64 vcc, exec, s[0:1]
	v_mov_b64_e32 v[6:7], s[8:9]
	s_mov_b64 s[16:17], 0
	s_cbranch_vccnz .LBB122_71
; %bb.68:                               ;   in Loop: Header=BB122_67 Depth=1
	s_mov_b32 s18, 0
	v_mov_b64_e32 v[6:7], s[8:9]
.LBB122_69:                             ;   Parent Loop BB122_67 Depth=1
                                        ; =>  This Inner Loop Header: Depth=2
	v_mov_b32_e32 v20, s18
	ds_read2_b64 v[8:11], v20 offset1:1
	ds_read2_b64 v[12:15], v20 offset0:2 offset1:3
	ds_read2_b64 v[16:19], v20 offset0:4 offset1:5
	;; [unrolled: 1-line block ×3, first 2 shown]
	v_mov_b32_e32 v25, s7
	s_waitcnt lgkmcnt(3)
	v_cmp_gt_i64_e32 vcc, v[4:5], v[8:9]
	v_mov_b32_e32 v27, s7
	v_mov_b32_e32 v29, s7
	v_cndmask_b32_e64 v24, 0, 1, vcc
	v_cmp_gt_i64_e32 vcc, v[4:5], v[10:11]
	v_lshl_add_u64 v[6:7], v[6:7], 0, v[24:25]
	v_mov_b32_e32 v31, s7
	v_cndmask_b32_e64 v26, 0, 1, vcc
	s_waitcnt lgkmcnt(2)
	v_cmp_gt_i64_e32 vcc, v[4:5], v[12:13]
	v_lshl_add_u64 v[6:7], v[6:7], 0, v[26:27]
	v_mov_b32_e32 v33, s7
	v_cndmask_b32_e64 v28, 0, 1, vcc
	v_cmp_gt_i64_e32 vcc, v[4:5], v[14:15]
	v_lshl_add_u64 v[6:7], v[6:7], 0, v[28:29]
	v_mov_b32_e32 v35, s7
	v_cndmask_b32_e64 v30, 0, 1, vcc
	s_waitcnt lgkmcnt(1)
	v_cmp_gt_i64_e32 vcc, v[4:5], v[16:17]
	v_lshl_add_u64 v[6:7], v[6:7], 0, v[30:31]
	v_mov_b32_e32 v37, s7
	v_cndmask_b32_e64 v32, 0, 1, vcc
	v_cmp_gt_i64_e32 vcc, v[4:5], v[18:19]
	v_lshl_add_u64 v[6:7], v[6:7], 0, v[32:33]
	s_add_u32 s16, s16, 8
	v_cndmask_b32_e64 v34, 0, 1, vcc
	s_waitcnt lgkmcnt(0)
	v_cmp_gt_i64_e32 vcc, v[4:5], v[20:21]
	v_lshl_add_u64 v[6:7], v[6:7], 0, v[34:35]
	v_mov_b32_e32 v39, s7
	v_cndmask_b32_e64 v36, 0, 1, vcc
	v_cmp_gt_i64_e32 vcc, v[4:5], v[22:23]
	s_addc_u32 s17, s17, 0
	s_add_i32 s18, s18, 64
	v_cndmask_b32_e64 v38, 0, 1, vcc
	v_lshl_add_u64 v[6:7], v[6:7], 0, v[36:37]
	s_cmp_eq_u64 s[10:11], s[16:17]
	v_lshl_add_u64 v[6:7], v[6:7], 0, v[38:39]
	s_cbranch_scc0 .LBB122_69
; %bb.70:                               ;   in Loop: Header=BB122_67 Depth=1
	s_mov_b64 s[16:17], s[10:11]
.LBB122_71:                             ;   in Loop: Header=BB122_67 Depth=1
	s_and_b64 vcc, exec, s[2:3]
	s_cbranch_vccnz .LBB122_66
; %bb.72:                               ;   in Loop: Header=BB122_67 Depth=1
	s_lshl_b32 s16, s16, 3
	s_add_i32 s18, s16, 0
	s_mov_b64 s[16:17], s[6:7]
.LBB122_73:                             ;   Parent Loop BB122_67 Depth=1
                                        ; =>  This Inner Loop Header: Depth=2
	v_mov_b32_e32 v8, s18
	ds_read_b64 v[10:11], v8
	s_add_i32 s18, s18, 8
	s_add_u32 s16, s16, -1
	v_mov_b32_e32 v9, s7
	s_addc_u32 s17, s17, -1
	s_waitcnt lgkmcnt(0)
	v_cmp_gt_i64_e32 vcc, v[4:5], v[10:11]
	s_cmp_lg_u64 s[16:17], 0
	s_nop 0
	v_cndmask_b32_e64 v8, 0, 1, vcc
	v_lshl_add_u64 v[6:7], v[6:7], 0, v[8:9]
	s_cbranch_scc1 .LBB122_73
	s_branch .LBB122_66
.LBB122_74:
	s_endpgm
	.section	.rodata,"a",@progbits
	.p2align	6, 0x0
	.amdhsa_kernel _ZN9rocsparseL41csrgemm_numeric_fill_block_per_row_kernelILj128ELj16ELj256ELj137ELj32Ell21rocsparse_complex_numIfEEEvT5_PKS3_S5_NS_24const_host_device_scalarIT6_EEPKT4_S5_PKS7_SB_S5_SD_S8_SB_S5_SD_SB_S5_PS7_21rocsparse_index_base_SF_SF_SF_bbb
		.amdhsa_group_segment_fixed_size 0
		.amdhsa_private_segment_fixed_size 0
		.amdhsa_kernarg_size 156
		.amdhsa_user_sgpr_count 2
		.amdhsa_user_sgpr_dispatch_ptr 0
		.amdhsa_user_sgpr_queue_ptr 0
		.amdhsa_user_sgpr_kernarg_segment_ptr 1
		.amdhsa_user_sgpr_dispatch_id 0
		.amdhsa_user_sgpr_kernarg_preload_length 0
		.amdhsa_user_sgpr_kernarg_preload_offset 0
		.amdhsa_user_sgpr_private_segment_size 0
		.amdhsa_uses_dynamic_stack 0
		.amdhsa_enable_private_segment 0
		.amdhsa_system_sgpr_workgroup_id_x 1
		.amdhsa_system_sgpr_workgroup_id_y 0
		.amdhsa_system_sgpr_workgroup_id_z 0
		.amdhsa_system_sgpr_workgroup_info 0
		.amdhsa_system_vgpr_workitem_id 0
		.amdhsa_next_free_vgpr 40
		.amdhsa_next_free_sgpr 62
		.amdhsa_accum_offset 40
		.amdhsa_reserve_vcc 1
		.amdhsa_float_round_mode_32 0
		.amdhsa_float_round_mode_16_64 0
		.amdhsa_float_denorm_mode_32 3
		.amdhsa_float_denorm_mode_16_64 3
		.amdhsa_dx10_clamp 1
		.amdhsa_ieee_mode 1
		.amdhsa_fp16_overflow 0
		.amdhsa_tg_split 0
		.amdhsa_exception_fp_ieee_invalid_op 0
		.amdhsa_exception_fp_denorm_src 0
		.amdhsa_exception_fp_ieee_div_zero 0
		.amdhsa_exception_fp_ieee_overflow 0
		.amdhsa_exception_fp_ieee_underflow 0
		.amdhsa_exception_fp_ieee_inexact 0
		.amdhsa_exception_int_div_zero 0
	.end_amdhsa_kernel
	.section	.text._ZN9rocsparseL41csrgemm_numeric_fill_block_per_row_kernelILj128ELj16ELj256ELj137ELj32Ell21rocsparse_complex_numIfEEEvT5_PKS3_S5_NS_24const_host_device_scalarIT6_EEPKT4_S5_PKS7_SB_S5_SD_S8_SB_S5_SD_SB_S5_PS7_21rocsparse_index_base_SF_SF_SF_bbb,"axG",@progbits,_ZN9rocsparseL41csrgemm_numeric_fill_block_per_row_kernelILj128ELj16ELj256ELj137ELj32Ell21rocsparse_complex_numIfEEEvT5_PKS3_S5_NS_24const_host_device_scalarIT6_EEPKT4_S5_PKS7_SB_S5_SD_S8_SB_S5_SD_SB_S5_PS7_21rocsparse_index_base_SF_SF_SF_bbb,comdat
.Lfunc_end122:
	.size	_ZN9rocsparseL41csrgemm_numeric_fill_block_per_row_kernelILj128ELj16ELj256ELj137ELj32Ell21rocsparse_complex_numIfEEEvT5_PKS3_S5_NS_24const_host_device_scalarIT6_EEPKT4_S5_PKS7_SB_S5_SD_S8_SB_S5_SD_SB_S5_PS7_21rocsparse_index_base_SF_SF_SF_bbb, .Lfunc_end122-_ZN9rocsparseL41csrgemm_numeric_fill_block_per_row_kernelILj128ELj16ELj256ELj137ELj32Ell21rocsparse_complex_numIfEEEvT5_PKS3_S5_NS_24const_host_device_scalarIT6_EEPKT4_S5_PKS7_SB_S5_SD_S8_SB_S5_SD_SB_S5_PS7_21rocsparse_index_base_SF_SF_SF_bbb
                                        ; -- End function
	.set _ZN9rocsparseL41csrgemm_numeric_fill_block_per_row_kernelILj128ELj16ELj256ELj137ELj32Ell21rocsparse_complex_numIfEEEvT5_PKS3_S5_NS_24const_host_device_scalarIT6_EEPKT4_S5_PKS7_SB_S5_SD_S8_SB_S5_SD_SB_S5_PS7_21rocsparse_index_base_SF_SF_SF_bbb.num_vgpr, 40
	.set _ZN9rocsparseL41csrgemm_numeric_fill_block_per_row_kernelILj128ELj16ELj256ELj137ELj32Ell21rocsparse_complex_numIfEEEvT5_PKS3_S5_NS_24const_host_device_scalarIT6_EEPKT4_S5_PKS7_SB_S5_SD_S8_SB_S5_SD_SB_S5_PS7_21rocsparse_index_base_SF_SF_SF_bbb.num_agpr, 0
	.set _ZN9rocsparseL41csrgemm_numeric_fill_block_per_row_kernelILj128ELj16ELj256ELj137ELj32Ell21rocsparse_complex_numIfEEEvT5_PKS3_S5_NS_24const_host_device_scalarIT6_EEPKT4_S5_PKS7_SB_S5_SD_S8_SB_S5_SD_SB_S5_PS7_21rocsparse_index_base_SF_SF_SF_bbb.numbered_sgpr, 62
	.set _ZN9rocsparseL41csrgemm_numeric_fill_block_per_row_kernelILj128ELj16ELj256ELj137ELj32Ell21rocsparse_complex_numIfEEEvT5_PKS3_S5_NS_24const_host_device_scalarIT6_EEPKT4_S5_PKS7_SB_S5_SD_S8_SB_S5_SD_SB_S5_PS7_21rocsparse_index_base_SF_SF_SF_bbb.num_named_barrier, 0
	.set _ZN9rocsparseL41csrgemm_numeric_fill_block_per_row_kernelILj128ELj16ELj256ELj137ELj32Ell21rocsparse_complex_numIfEEEvT5_PKS3_S5_NS_24const_host_device_scalarIT6_EEPKT4_S5_PKS7_SB_S5_SD_S8_SB_S5_SD_SB_S5_PS7_21rocsparse_index_base_SF_SF_SF_bbb.private_seg_size, 0
	.set _ZN9rocsparseL41csrgemm_numeric_fill_block_per_row_kernelILj128ELj16ELj256ELj137ELj32Ell21rocsparse_complex_numIfEEEvT5_PKS3_S5_NS_24const_host_device_scalarIT6_EEPKT4_S5_PKS7_SB_S5_SD_S8_SB_S5_SD_SB_S5_PS7_21rocsparse_index_base_SF_SF_SF_bbb.uses_vcc, 1
	.set _ZN9rocsparseL41csrgemm_numeric_fill_block_per_row_kernelILj128ELj16ELj256ELj137ELj32Ell21rocsparse_complex_numIfEEEvT5_PKS3_S5_NS_24const_host_device_scalarIT6_EEPKT4_S5_PKS7_SB_S5_SD_S8_SB_S5_SD_SB_S5_PS7_21rocsparse_index_base_SF_SF_SF_bbb.uses_flat_scratch, 0
	.set _ZN9rocsparseL41csrgemm_numeric_fill_block_per_row_kernelILj128ELj16ELj256ELj137ELj32Ell21rocsparse_complex_numIfEEEvT5_PKS3_S5_NS_24const_host_device_scalarIT6_EEPKT4_S5_PKS7_SB_S5_SD_S8_SB_S5_SD_SB_S5_PS7_21rocsparse_index_base_SF_SF_SF_bbb.has_dyn_sized_stack, 0
	.set _ZN9rocsparseL41csrgemm_numeric_fill_block_per_row_kernelILj128ELj16ELj256ELj137ELj32Ell21rocsparse_complex_numIfEEEvT5_PKS3_S5_NS_24const_host_device_scalarIT6_EEPKT4_S5_PKS7_SB_S5_SD_S8_SB_S5_SD_SB_S5_PS7_21rocsparse_index_base_SF_SF_SF_bbb.has_recursion, 0
	.set _ZN9rocsparseL41csrgemm_numeric_fill_block_per_row_kernelILj128ELj16ELj256ELj137ELj32Ell21rocsparse_complex_numIfEEEvT5_PKS3_S5_NS_24const_host_device_scalarIT6_EEPKT4_S5_PKS7_SB_S5_SD_S8_SB_S5_SD_SB_S5_PS7_21rocsparse_index_base_SF_SF_SF_bbb.has_indirect_call, 0
	.section	.AMDGPU.csdata,"",@progbits
; Kernel info:
; codeLenInByte = 2700
; TotalNumSgprs: 68
; NumVgprs: 40
; NumAgprs: 0
; TotalNumVgprs: 40
; ScratchSize: 0
; MemoryBound: 0
; FloatMode: 240
; IeeeMode: 1
; LDSByteSize: 0 bytes/workgroup (compile time only)
; SGPRBlocks: 8
; VGPRBlocks: 4
; NumSGPRsForWavesPerEU: 68
; NumVGPRsForWavesPerEU: 40
; AccumOffset: 40
; Occupancy: 8
; WaveLimiterHint : 1
; COMPUTE_PGM_RSRC2:SCRATCH_EN: 0
; COMPUTE_PGM_RSRC2:USER_SGPR: 2
; COMPUTE_PGM_RSRC2:TRAP_HANDLER: 0
; COMPUTE_PGM_RSRC2:TGID_X_EN: 1
; COMPUTE_PGM_RSRC2:TGID_Y_EN: 0
; COMPUTE_PGM_RSRC2:TGID_Z_EN: 0
; COMPUTE_PGM_RSRC2:TIDIG_COMP_CNT: 0
; COMPUTE_PGM_RSRC3_GFX90A:ACCUM_OFFSET: 9
; COMPUTE_PGM_RSRC3_GFX90A:TG_SPLIT: 0
	.section	.text._ZN9rocsparseL41csrgemm_numeric_fill_block_per_row_kernelILj128ELj16ELj256ELj137ELj64Ell21rocsparse_complex_numIfEEEvT5_PKS3_S5_NS_24const_host_device_scalarIT6_EEPKT4_S5_PKS7_SB_S5_SD_S8_SB_S5_SD_SB_S5_PS7_21rocsparse_index_base_SF_SF_SF_bbb,"axG",@progbits,_ZN9rocsparseL41csrgemm_numeric_fill_block_per_row_kernelILj128ELj16ELj256ELj137ELj64Ell21rocsparse_complex_numIfEEEvT5_PKS3_S5_NS_24const_host_device_scalarIT6_EEPKT4_S5_PKS7_SB_S5_SD_S8_SB_S5_SD_SB_S5_PS7_21rocsparse_index_base_SF_SF_SF_bbb,comdat
	.globl	_ZN9rocsparseL41csrgemm_numeric_fill_block_per_row_kernelILj128ELj16ELj256ELj137ELj64Ell21rocsparse_complex_numIfEEEvT5_PKS3_S5_NS_24const_host_device_scalarIT6_EEPKT4_S5_PKS7_SB_S5_SD_S8_SB_S5_SD_SB_S5_PS7_21rocsparse_index_base_SF_SF_SF_bbb ; -- Begin function _ZN9rocsparseL41csrgemm_numeric_fill_block_per_row_kernelILj128ELj16ELj256ELj137ELj64Ell21rocsparse_complex_numIfEEEvT5_PKS3_S5_NS_24const_host_device_scalarIT6_EEPKT4_S5_PKS7_SB_S5_SD_S8_SB_S5_SD_SB_S5_PS7_21rocsparse_index_base_SF_SF_SF_bbb
	.p2align	8
	.type	_ZN9rocsparseL41csrgemm_numeric_fill_block_per_row_kernelILj128ELj16ELj256ELj137ELj64Ell21rocsparse_complex_numIfEEEvT5_PKS3_S5_NS_24const_host_device_scalarIT6_EEPKT4_S5_PKS7_SB_S5_SD_S8_SB_S5_SD_SB_S5_PS7_21rocsparse_index_base_SF_SF_SF_bbb,@function
_ZN9rocsparseL41csrgemm_numeric_fill_block_per_row_kernelILj128ELj16ELj256ELj137ELj64Ell21rocsparse_complex_numIfEEEvT5_PKS3_S5_NS_24const_host_device_scalarIT6_EEPKT4_S5_PKS7_SB_S5_SD_S8_SB_S5_SD_SB_S5_PS7_21rocsparse_index_base_SF_SF_SF_bbb: ; @_ZN9rocsparseL41csrgemm_numeric_fill_block_per_row_kernelILj128ELj16ELj256ELj137ELj64Ell21rocsparse_complex_numIfEEEvT5_PKS3_S5_NS_24const_host_device_scalarIT6_EEPKT4_S5_PKS7_SB_S5_SD_S8_SB_S5_SD_SB_S5_PS7_21rocsparse_index_base_SF_SF_SF_bbb
; %bb.0:
	s_load_dwordx2 s[34:35], s[0:1], 0x70
	s_load_dwordx4 s[24:27], s[0:1], 0x50
	s_load_dword s3, s[0:1], 0x98
	s_load_dwordx4 s[36:39], s[0:1], 0x8
	s_load_dwordx8 s[8:15], s[0:1], 0x20
	s_load_dwordx2 s[6:7], s[0:1], 0x80
	s_load_dwordx4 s[16:19], s[0:1], 0x88
	s_waitcnt lgkmcnt(0)
	s_bitcmp1_b32 s3, 0
	s_cselect_b64 s[44:45], -1, 0
	s_bitcmp1_b32 s3, 16
	s_cselect_b64 s[4:5], -1, 0
	s_xor_b64 s[4:5], s[4:5], -1
	v_cndmask_b32_e64 v1, 0, 1, s[4:5]
	s_mov_b32 s41, 0
	s_bitcmp0_b32 s3, 0
	v_cmp_ne_u32_e64 s[4:5], 1, v1
	s_mov_b32 s60, 0
	s_cbranch_scc1 .LBB123_5
; %bb.1:
	s_load_dwordx2 s[40:41], s[0:1], 0x18
	s_and_b64 vcc, exec, s[4:5]
	s_waitcnt lgkmcnt(0)
	s_mov_b32 s60, s40
	s_cbranch_vccnz .LBB123_3
; %bb.2:
	s_load_dword s60, s[40:41], 0x0
.LBB123_3:
	s_and_b64 vcc, exec, s[4:5]
	s_cbranch_vccnz .LBB123_5
; %bb.4:
	s_load_dword s41, s[40:41], 0x4
.LBB123_5:
	s_nop 0
	s_load_dwordx4 s[20:23], s[0:1], 0x60
	s_load_dwordx4 s[28:31], s[0:1], 0x40
	s_bitcmp1_b32 s3, 8
	s_cselect_b64 s[42:43], -1, 0
	s_bfe_u32 s3, s3, 0x10008
	s_mov_b32 s33, 0
	s_cmp_eq_u32 s3, 0
	s_mov_b32 s40, 0
	s_cbranch_scc1 .LBB123_11
; %bb.6:
	s_and_b64 vcc, exec, s[4:5]
	s_mov_b32 s33, s24
	s_cbranch_vccnz .LBB123_8
; %bb.7:
	s_load_dword s33, s[24:25], 0x0
.LBB123_8:
	s_and_b64 vcc, exec, s[4:5]
	s_cbranch_vccnz .LBB123_10
; %bb.9:
	s_load_dword s25, s[24:25], 0x4
.LBB123_10:
	s_waitcnt lgkmcnt(0)
	s_mov_b32 s40, s25
.LBB123_11:
	s_load_dwordx2 s[4:5], s[0:1], 0x0
	s_movk_i32 s0, 0x100
	v_cmp_gt_u32_e64 s[0:1], s0, v0
	v_lshl_add_u32 v1, v0, 3, 0
	s_and_saveexec_b64 s[24:25], s[0:1]
	s_cbranch_execz .LBB123_14
; %bb.12:
	v_or_b32_e32 v2, 0xffffff80, v0
	v_lshl_add_u32 v3, v0, 3, 0
	s_mov_b64 s[46:47], 0
	s_waitcnt lgkmcnt(0)
	v_mov_b64_e32 v[6:7], s[4:5]
	v_mov_b32_e32 v4, 0
.LBB123_13:                             ; =>This Inner Loop Header: Depth=1
	v_add_co_u32_e32 v2, vcc, 0x80, v2
	s_xor_b64 s[48:49], vcc, -1
	s_and_b64 s[48:49], exec, s[48:49]
	ds_write_b64 v3, v[6:7]
	v_add_u32_e32 v5, 0x800, v3
	v_add_u32_e32 v3, 0x400, v3
	s_or_b64 s[46:47], s[48:49], s[46:47]
	ds_write2_b32 v5, v4, v4 offset1:1
	s_andn2_b64 exec, exec, s[46:47]
	s_cbranch_execnz .LBB123_13
.LBB123_14:
	s_or_b64 exec, exec, s[24:25]
	s_waitcnt lgkmcnt(0)
	s_barrier
	s_load_dwordx2 s[24:25], s[36:37], 0x0
	s_mov_b32 s3, 0
	s_waitcnt lgkmcnt(0)
	s_lshl_b64 s[24:25], s[24:25], 3
	s_add_u32 s24, s38, s24
	s_addc_u32 s25, s39, s25
	s_lshl_b64 s[2:3], s[2:3], 3
	s_add_u32 s2, s24, s2
	s_addc_u32 s3, s25, s3
	s_load_dwordx2 s[24:25], s[2:3], 0x0
	s_and_b64 vcc, exec, s[44:45]
	s_cbranch_vccz .LBB123_34
; %bb.15:
	s_waitcnt lgkmcnt(0)
	s_lshl_b64 s[2:3], s[24:25], 3
	s_add_u32 s2, s8, s2
	s_addc_u32 s3, s9, s3
	s_load_dwordx4 s[36:39], s[2:3], 0x0
	v_lshrrev_b32_e32 v2, 4, v0
	v_subrev_co_u32_e32 v2, vcc, s16, v2
	s_waitcnt lgkmcnt(0)
	s_sub_u32 s2, s38, s16
	v_subb_co_u32_e64 v3, s[8:9], 0, 0, vcc
	s_subb_u32 s3, s39, 0
	v_lshl_add_u64 v[2:3], s[36:37], 0, v[2:3]
	v_cmp_gt_i64_e32 vcc, s[2:3], v[2:3]
	s_and_saveexec_b64 s[8:9], vcc
	s_cbranch_execz .LBB123_33
; %bb.16:
	v_and_b32_e32 v4, 15, v0
	v_subrev_co_u32_e32 v4, vcc, s17, v4
	s_mov_b32 s61, s17
	s_nop 0
	v_subb_co_u32_e64 v5, s[36:37], 0, 0, vcc
	s_mov_b64 s[36:37], 0
	s_movk_i32 s17, 0x89
	s_branch .LBB123_18
.LBB123_17:                             ;   in Loop: Header=BB123_18 Depth=1
	s_or_b64 exec, exec, s[38:39]
	v_lshl_add_u64 v[2:3], v[2:3], 0, 8
	v_cmp_le_i64_e32 vcc, s[2:3], v[2:3]
	s_or_b64 s[36:37], vcc, s[36:37]
	s_andn2_b64 exec, exec, s[36:37]
	s_cbranch_execz .LBB123_33
.LBB123_18:                             ; =>This Loop Header: Depth=1
                                        ;     Child Loop BB123_22 Depth 2
                                        ;       Child Loop BB123_25 Depth 3
	v_lshl_add_u64 v[6:7], v[2:3], 3, s[10:11]
	global_load_dwordx2 v[6:7], v[6:7], off
	s_waitcnt vmcnt(0)
	v_subrev_co_u32_e32 v6, vcc, s16, v6
	s_nop 1
	v_subbrev_co_u32_e32 v7, vcc, 0, v7, vcc
	v_lshl_add_u64 v[6:7], v[6:7], 3, s[14:15]
	global_load_dwordx4 v[8:11], v[6:7], off
	s_waitcnt vmcnt(0)
	v_subrev_co_u32_e32 v6, vcc, s61, v10
	s_nop 1
	v_subbrev_co_u32_e32 v7, vcc, 0, v11, vcc
	v_lshl_add_u64 v[8:9], v[8:9], 0, v[4:5]
	v_cmp_lt_i64_e32 vcc, v[8:9], v[6:7]
	s_and_saveexec_b64 s[38:39], vcc
	s_cbranch_execz .LBB123_17
; %bb.19:                               ;   in Loop: Header=BB123_18 Depth=1
	v_lshl_add_u64 v[10:11], v[2:3], 3, s[12:13]
	global_load_dwordx2 v[10:11], v[10:11], off
	s_mov_b64 s[44:45], 0
	s_waitcnt vmcnt(0)
	v_mul_f32_e64 v20, v11, -s41
	v_mul_f32_e32 v21, s60, v11
	v_fmac_f32_e32 v20, s60, v10
	v_fmac_f32_e32 v21, s41, v10
	s_branch .LBB123_22
.LBB123_20:                             ;   in Loop: Header=BB123_22 Depth=2
	s_or_b64 exec, exec, s[48:49]
.LBB123_21:                             ;   in Loop: Header=BB123_22 Depth=2
	s_or_b64 exec, exec, s[46:47]
	s_waitcnt vmcnt(0)
	v_mul_f32_e64 v13, v11, -v21
	v_mul_f32_e32 v11, v20, v11
	v_fmac_f32_e32 v13, v20, v10
	v_fmac_f32_e32 v11, v21, v10
	v_lshl_add_u32 v10, v12, 3, 0
	ds_add_f32 v10, v13 offset:2048
	ds_add_f32 v10, v11 offset:2052
	v_lshl_add_u64 v[8:9], v[8:9], 0, 16
	v_cmp_ge_i64_e32 vcc, v[8:9], v[6:7]
	s_or_b64 s[44:45], vcc, s[44:45]
	s_andn2_b64 exec, exec, s[44:45]
	s_cbranch_execz .LBB123_17
.LBB123_22:                             ;   Parent Loop BB123_18 Depth=1
                                        ; =>  This Loop Header: Depth=2
                                        ;       Child Loop BB123_25 Depth 3
	v_lshlrev_b64 v[10:11], 3, v[8:9]
	v_lshl_add_u64 v[12:13], s[28:29], 0, v[10:11]
	global_load_dwordx2 v[12:13], v[12:13], off
	v_lshl_add_u64 v[10:11], s[30:31], 0, v[10:11]
	global_load_dwordx2 v[10:11], v[10:11], off
	s_waitcnt vmcnt(1)
	v_subrev_co_u32_e32 v14, vcc, s61, v12
	v_mul_lo_u32 v12, v14, s17
	v_and_b32_e32 v12, 0xff, v12
	v_lshl_add_u32 v22, v12, 3, 0
	ds_read_b64 v[18:19], v22
	v_subbrev_co_u32_e32 v15, vcc, 0, v13, vcc
	s_waitcnt lgkmcnt(0)
	v_cmp_ne_u64_e32 vcc, v[18:19], v[14:15]
	s_and_saveexec_b64 s[46:47], vcc
	s_cbranch_execz .LBB123_21
; %bb.23:                               ;   in Loop: Header=BB123_22 Depth=2
	s_mov_b64 s[48:49], 0
                                        ; implicit-def: $sgpr50_sgpr51
                                        ; implicit-def: $sgpr52_sgpr53
	s_branch .LBB123_25
.LBB123_24:                             ;   in Loop: Header=BB123_25 Depth=3
	s_or_b64 exec, exec, s[58:59]
	s_and_b64 s[54:55], exec, s[56:57]
	s_or_b64 s[48:49], s[54:55], s[48:49]
	s_andn2_b64 s[50:51], s[50:51], exec
	s_and_b64 s[54:55], s[52:53], exec
	s_or_b64 s[50:51], s[50:51], s[54:55]
	s_andn2_b64 exec, exec, s[48:49]
	s_cbranch_execz .LBB123_31
.LBB123_25:                             ;   Parent Loop BB123_18 Depth=1
                                        ;     Parent Loop BB123_22 Depth=2
                                        ; =>    This Inner Loop Header: Depth=3
	v_mov_b64_e32 v[16:17], v[12:13]
	v_cmp_ne_u64_e32 vcc, s[4:5], v[18:19]
	s_mov_b64 s[54:55], 0
                                        ; implicit-def: $vgpr12_vgpr13
	s_and_saveexec_b64 s[56:57], vcc
	s_xor_b64 s[56:57], exec, s[56:57]
; %bb.26:                               ;   in Loop: Header=BB123_25 Depth=3
	v_add_u32_e32 v12, 1, v16
	s_mov_b64 s[54:55], exec
	v_and_b32_e32 v12, 0xff, v12
                                        ; implicit-def: $vgpr22
; %bb.27:                               ;   in Loop: Header=BB123_25 Depth=3
	s_andn2_saveexec_b64 s[56:57], s[56:57]
	s_cbranch_execz .LBB123_29
; %bb.28:                               ;   in Loop: Header=BB123_25 Depth=3
	v_mov_b64_e32 v[12:13], s[4:5]
	ds_cmpst_rtn_b64 v[12:13], v22, v[12:13], v[14:15]
	s_andn2_b64 s[54:55], s[54:55], exec
	s_waitcnt lgkmcnt(0)
	v_cmp_ne_u64_e32 vcc, s[4:5], v[12:13]
	s_and_b64 s[58:59], vcc, exec
	s_or_b64 s[54:55], s[54:55], s[58:59]
	v_mov_b64_e32 v[12:13], v[16:17]
.LBB123_29:                             ;   in Loop: Header=BB123_25 Depth=3
	s_or_b64 exec, exec, s[56:57]
	s_mov_b64 s[56:57], -1
	s_or_b64 s[52:53], s[52:53], exec
                                        ; implicit-def: $vgpr22
                                        ; implicit-def: $vgpr18_vgpr19
	s_and_saveexec_b64 s[58:59], s[54:55]
	s_cbranch_execz .LBB123_24
; %bb.30:                               ;   in Loop: Header=BB123_25 Depth=3
	v_lshl_add_u32 v22, v12, 3, 0
	ds_read_b64 v[18:19], v22
	s_andn2_b64 s[52:53], s[52:53], exec
	s_waitcnt lgkmcnt(0)
	v_cmp_eq_u64_e32 vcc, v[18:19], v[14:15]
	s_orn2_b64 s[56:57], vcc, exec
	s_branch .LBB123_24
.LBB123_31:                             ;   in Loop: Header=BB123_22 Depth=2
	s_or_b64 exec, exec, s[48:49]
	s_and_saveexec_b64 s[48:49], s[50:51]
	s_xor_b64 s[48:49], exec, s[48:49]
	s_cbranch_execz .LBB123_20
; %bb.32:                               ;   in Loop: Header=BB123_22 Depth=2
	v_mov_b32_e32 v12, v16
	s_branch .LBB123_20
.LBB123_33:
	s_or_b64 exec, exec, s[8:9]
.LBB123_34:
	s_andn2_b64 vcc, exec, s[42:43]
	s_cbranch_vccnz .LBB123_51
; %bb.35:
	s_waitcnt lgkmcnt(0)
	s_lshl_b64 s[2:3], s[24:25], 3
	s_add_u32 s2, s26, s2
	s_addc_u32 s3, s27, s3
	s_load_dwordx4 s[8:11], s[2:3], 0x0
	v_subrev_co_u32_e32 v2, vcc, s19, v0
	s_waitcnt lgkmcnt(0)
	s_sub_u32 s2, s10, s19
	s_subb_u32 s3, s11, 0
	v_subb_co_u32_e64 v3, s[10:11], 0, 0, vcc
	v_lshl_add_u64 v[2:3], s[8:9], 0, v[2:3]
	v_cmp_gt_i64_e32 vcc, s[2:3], v[2:3]
	s_and_saveexec_b64 s[8:9], vcc
	s_cbranch_execz .LBB123_50
; %bb.36:
	s_mov_b32 s41, s19
	s_mov_b64 s[10:11], 0
	s_movk_i32 s19, 0x89
	s_mov_b64 s[12:13], 0x80
	s_branch .LBB123_39
.LBB123_37:                             ;   in Loop: Header=BB123_39 Depth=1
	s_or_b64 exec, exec, s[16:17]
.LBB123_38:                             ;   in Loop: Header=BB123_39 Depth=1
	s_or_b64 exec, exec, s[14:15]
	s_waitcnt vmcnt(0)
	v_mul_f32_e64 v7, v5, -s40
	v_mul_f32_e32 v5, s33, v5
	v_fmac_f32_e32 v7, s33, v4
	v_fmac_f32_e32 v5, s40, v4
	v_lshl_add_u32 v4, v6, 3, 0
	ds_add_f32 v4, v7 offset:2048
	ds_add_f32 v4, v5 offset:2052
	v_lshl_add_u64 v[2:3], v[2:3], 0, s[12:13]
	v_cmp_le_i64_e32 vcc, s[2:3], v[2:3]
	s_or_b64 s[10:11], vcc, s[10:11]
	s_andn2_b64 exec, exec, s[10:11]
	s_cbranch_execz .LBB123_50
.LBB123_39:                             ; =>This Loop Header: Depth=1
                                        ;     Child Loop BB123_42 Depth 2
	v_lshlrev_b64 v[4:5], 3, v[2:3]
	v_lshl_add_u64 v[6:7], s[20:21], 0, v[4:5]
	global_load_dwordx2 v[6:7], v[6:7], off
	v_lshl_add_u64 v[4:5], s[22:23], 0, v[4:5]
	global_load_dwordx2 v[4:5], v[4:5], off
	s_waitcnt vmcnt(1)
	v_subrev_co_u32_e32 v8, vcc, s41, v6
	v_mul_lo_u32 v6, v8, s19
	v_and_b32_e32 v6, 0xff, v6
	v_lshl_add_u32 v14, v6, 3, 0
	ds_read_b64 v[12:13], v14
	v_subbrev_co_u32_e32 v9, vcc, 0, v7, vcc
	s_waitcnt lgkmcnt(0)
	v_cmp_ne_u64_e32 vcc, v[12:13], v[8:9]
	s_and_saveexec_b64 s[14:15], vcc
	s_cbranch_execz .LBB123_38
; %bb.40:                               ;   in Loop: Header=BB123_39 Depth=1
	s_mov_b64 s[16:17], 0
                                        ; implicit-def: $sgpr26_sgpr27
                                        ; implicit-def: $sgpr28_sgpr29
	s_branch .LBB123_42
.LBB123_41:                             ;   in Loop: Header=BB123_42 Depth=2
	s_or_b64 exec, exec, s[38:39]
	s_and_b64 s[30:31], exec, s[36:37]
	s_or_b64 s[16:17], s[30:31], s[16:17]
	s_andn2_b64 s[26:27], s[26:27], exec
	s_and_b64 s[30:31], s[28:29], exec
	s_or_b64 s[26:27], s[26:27], s[30:31]
	s_andn2_b64 exec, exec, s[16:17]
	s_cbranch_execz .LBB123_48
.LBB123_42:                             ;   Parent Loop BB123_39 Depth=1
                                        ; =>  This Inner Loop Header: Depth=2
	v_mov_b64_e32 v[10:11], v[6:7]
	v_cmp_ne_u64_e32 vcc, s[4:5], v[12:13]
	s_mov_b64 s[30:31], 0
                                        ; implicit-def: $vgpr6_vgpr7
	s_and_saveexec_b64 s[36:37], vcc
	s_xor_b64 s[36:37], exec, s[36:37]
; %bb.43:                               ;   in Loop: Header=BB123_42 Depth=2
	v_add_u32_e32 v6, 1, v10
	s_mov_b64 s[30:31], exec
	v_and_b32_e32 v6, 0xff, v6
                                        ; implicit-def: $vgpr14
; %bb.44:                               ;   in Loop: Header=BB123_42 Depth=2
	s_andn2_saveexec_b64 s[36:37], s[36:37]
	s_cbranch_execz .LBB123_46
; %bb.45:                               ;   in Loop: Header=BB123_42 Depth=2
	v_mov_b64_e32 v[6:7], s[4:5]
	ds_cmpst_rtn_b64 v[6:7], v14, v[6:7], v[8:9]
	s_andn2_b64 s[30:31], s[30:31], exec
	s_waitcnt lgkmcnt(0)
	v_cmp_ne_u64_e32 vcc, s[4:5], v[6:7]
	s_and_b64 s[38:39], vcc, exec
	s_or_b64 s[30:31], s[30:31], s[38:39]
	v_mov_b64_e32 v[6:7], v[10:11]
.LBB123_46:                             ;   in Loop: Header=BB123_42 Depth=2
	s_or_b64 exec, exec, s[36:37]
	s_mov_b64 s[36:37], -1
	s_or_b64 s[28:29], s[28:29], exec
                                        ; implicit-def: $vgpr14
                                        ; implicit-def: $vgpr12_vgpr13
	s_and_saveexec_b64 s[38:39], s[30:31]
	s_cbranch_execz .LBB123_41
; %bb.47:                               ;   in Loop: Header=BB123_42 Depth=2
	v_lshl_add_u32 v14, v6, 3, 0
	ds_read_b64 v[12:13], v14
	s_andn2_b64 s[28:29], s[28:29], exec
	s_waitcnt lgkmcnt(0)
	v_cmp_eq_u64_e32 vcc, v[12:13], v[8:9]
	s_orn2_b64 s[36:37], vcc, exec
	s_branch .LBB123_41
.LBB123_48:                             ;   in Loop: Header=BB123_39 Depth=1
	s_or_b64 exec, exec, s[16:17]
	s_and_saveexec_b64 s[16:17], s[26:27]
	s_xor_b64 s[16:17], exec, s[16:17]
	s_cbranch_execz .LBB123_37
; %bb.49:                               ;   in Loop: Header=BB123_39 Depth=1
	v_mov_b32_e32 v6, v10
	s_branch .LBB123_37
.LBB123_50:
	s_or_b64 exec, exec, s[8:9]
.LBB123_51:
	s_waitcnt lgkmcnt(0)
	s_barrier
	s_and_saveexec_b64 s[8:9], s[0:1]
	s_cbranch_execz .LBB123_60
; %bb.52:
	v_mbcnt_lo_u32_b32 v2, -1, 0
	v_mbcnt_hi_u32_b32 v2, -1, v2
	v_sub_u32_e32 v2, 63, v2
	v_lshrrev_b64 v[4:5], v2, -1
	v_lshrrev_b32_e32 v2, 3, v0
	v_and_b32_e32 v2, 8, v2
	s_movk_i32 s2, 0x7f
	v_mov_b32_e32 v3, 0
	v_add_u32_e32 v14, 0, v2
	v_cmp_lt_u32_e64 s[0:1], 63, v0
	v_cmp_eq_u32_e64 s[2:3], s2, v0
	v_or_b32_e32 v15, 0xffffff80, v0
	s_mov_b64 s[10:11], 0
	v_mov_b64_e32 v[6:7], 0
	s_branch .LBB123_54
.LBB123_53:                             ;   in Loop: Header=BB123_54 Depth=1
	s_or_b64 exec, exec, s[12:13]
	s_waitcnt lgkmcnt(0)
	s_barrier
	ds_read_b64 v[8:9], v3 offset:4104
	v_add_co_u32_e32 v15, vcc, 0x80, v15
	s_xor_b64 s[12:13], vcc, -1
	s_and_b64 s[12:13], exec, s[12:13]
	s_waitcnt lgkmcnt(0)
	v_lshl_add_u64 v[6:7], v[8:9], 0, v[6:7]
	s_or_b64 s[10:11], s[12:13], s[10:11]
	v_add_u32_e32 v1, 0x400, v1
	s_andn2_b64 exec, exec, s[10:11]
	s_cbranch_execz .LBB123_60
.LBB123_54:                             ; =>This Inner Loop Header: Depth=1
	ds_read_b64 v[8:9], v1
	v_add_u32_e32 v2, 0x800, v1
	ds_read2_b32 v[10:11], v2 offset1:1
	v_mov_b32_e32 v17, v3
	s_waitcnt lgkmcnt(0)
	v_cmp_gt_i64_e32 vcc, s[4:5], v[8:9]
	s_bcnt1_i32_b64 s12, vcc
	v_mov_b32_e32 v16, s12
	v_and_b32_e32 v12, vcc_lo, v4
	v_and_b32_e32 v2, vcc_hi, v5
	v_bcnt_u32_b32 v12, v12, 0
	v_bcnt_u32_b32 v2, v2, v12
	v_mov_b64_e32 v[12:13], v[2:3]
	s_barrier
	ds_write_b64 v14, v[16:17] offset:4096
	s_waitcnt lgkmcnt(0)
	s_barrier
	s_and_saveexec_b64 s[12:13], s[0:1]
	s_cbranch_execnz .LBB123_57
; %bb.55:                               ;   in Loop: Header=BB123_54 Depth=1
	s_or_b64 exec, exec, s[12:13]
	s_and_saveexec_b64 s[12:13], vcc
	s_cbranch_execnz .LBB123_58
.LBB123_56:                             ;   in Loop: Header=BB123_54 Depth=1
	s_or_b64 exec, exec, s[12:13]
	s_and_saveexec_b64 s[12:13], s[2:3]
	s_cbranch_execz .LBB123_53
	s_branch .LBB123_59
.LBB123_57:                             ;   in Loop: Header=BB123_54 Depth=1
	ds_read_b64 v[12:13], v3 offset:4096
	s_waitcnt lgkmcnt(0)
	v_lshl_add_u64 v[12:13], v[12:13], 0, v[2:3]
	s_or_b64 exec, exec, s[12:13]
	s_and_saveexec_b64 s[12:13], vcc
	s_cbranch_execz .LBB123_56
.LBB123_58:                             ;   in Loop: Header=BB123_54 Depth=1
	v_add3_u32 v2, v6, -1, v12
	v_add_u32_e32 v13, v6, v12
	v_lshl_add_u32 v2, v2, 3, 0
	v_lshl_add_u32 v13, v13, 3, 0
	v_add_u32_e32 v13, 0x7f8, v13
	ds_write_b64 v2, v[8:9]
	ds_write2_b32 v13, v10, v11 offset1:1
	s_or_b64 exec, exec, s[12:13]
	s_and_saveexec_b64 s[12:13], s[2:3]
	s_cbranch_execz .LBB123_53
.LBB123_59:                             ;   in Loop: Header=BB123_54 Depth=1
	v_ashrrev_i32_e32 v13, 31, v12
	ds_write_b64 v3, v[12:13] offset:4104
	s_branch .LBB123_53
.LBB123_60:
	s_or_b64 exec, exec, s[8:9]
	s_lshl_b64 s[0:1], s[24:25], 3
	s_add_u32 s4, s34, s0
	s_addc_u32 s5, s35, s1
	s_load_dwordx4 s[0:3], s[4:5], 0x0
	v_mov_b32_e32 v1, 0
	s_waitcnt lgkmcnt(0)
	s_sub_u32 s4, s2, s0
	s_subb_u32 s5, s3, s1
	v_cmp_gt_i64_e32 vcc, s[4:5], v[0:1]
	s_and_saveexec_b64 s[8:9], vcc
	s_cbranch_execz .LBB123_70
; %bb.61:
	s_sub_u32 s10, s0, s18
	s_subb_u32 s11, s1, 0
	s_and_b32 s8, s4, 7
	s_sub_u32 s0, s0, s2
	s_mov_b32 s9, 0
	s_subb_u32 s1, s1, s3
	s_and_b32 s12, s4, -8
	s_cmp_lg_u64 s[8:9], 0
	v_cmp_lt_u64_e64 s[0:1], s[0:1], -7
	s_cselect_b64 s[2:3], -1, 0
	s_mov_b32 s13, s5
	v_cndmask_b32_e64 v2, 0, 1, s[0:1]
	v_cmp_ne_u32_e64 s[0:1], 1, v2
	v_cndmask_b32_e64 v2, 0, 1, s[2:3]
	s_mov_b64 s[14:15], 0
	v_cmp_ne_u32_e64 s[2:3], 1, v2
	s_mov_b64 s[16:17], 0x80
	s_branch .LBB123_63
.LBB123_62:                             ;   in Loop: Header=BB123_63 Depth=1
	v_lshl_add_u64 v[0:1], v[0:1], 0, s[16:17]
	v_cmp_le_i64_e32 vcc, s[4:5], v[0:1]
	s_waitcnt lgkmcnt(1)
	v_lshl_add_u64 v[4:5], v[6:7], 3, s[6:7]
	s_or_b64 s[14:15], vcc, s[14:15]
	s_waitcnt lgkmcnt(0)
	global_store_dwordx2 v[4:5], v[2:3], off
	s_andn2_b64 exec, exec, s[14:15]
	s_cbranch_execz .LBB123_70
.LBB123_63:                             ; =>This Loop Header: Depth=1
                                        ;     Child Loop BB123_65 Depth 2
                                        ;     Child Loop BB123_69 Depth 2
	v_lshl_add_u32 v2, v0, 3, 0
	v_add_u32_e32 v3, 0x800, v2
	ds_read_b64 v[4:5], v2
	ds_read2_b32 v[2:3], v3 offset1:1
	s_and_b64 vcc, exec, s[0:1]
	v_mov_b64_e32 v[6:7], s[10:11]
	s_mov_b64 s[18:19], 0
	s_cbranch_vccnz .LBB123_67
; %bb.64:                               ;   in Loop: Header=BB123_63 Depth=1
	s_mov_b32 s20, 0
	v_mov_b64_e32 v[6:7], s[10:11]
.LBB123_65:                             ;   Parent Loop BB123_63 Depth=1
                                        ; =>  This Inner Loop Header: Depth=2
	v_mov_b32_e32 v20, s20
	ds_read2_b64 v[8:11], v20 offset1:1
	ds_read2_b64 v[12:15], v20 offset0:2 offset1:3
	ds_read2_b64 v[16:19], v20 offset0:4 offset1:5
	;; [unrolled: 1-line block ×3, first 2 shown]
	v_mov_b32_e32 v25, s9
	s_waitcnt lgkmcnt(3)
	v_cmp_gt_i64_e32 vcc, v[4:5], v[8:9]
	v_mov_b32_e32 v27, s9
	v_mov_b32_e32 v29, s9
	v_cndmask_b32_e64 v24, 0, 1, vcc
	v_cmp_gt_i64_e32 vcc, v[4:5], v[10:11]
	v_lshl_add_u64 v[6:7], v[6:7], 0, v[24:25]
	v_mov_b32_e32 v31, s9
	v_cndmask_b32_e64 v26, 0, 1, vcc
	s_waitcnt lgkmcnt(2)
	v_cmp_gt_i64_e32 vcc, v[4:5], v[12:13]
	v_lshl_add_u64 v[6:7], v[6:7], 0, v[26:27]
	v_mov_b32_e32 v33, s9
	v_cndmask_b32_e64 v28, 0, 1, vcc
	v_cmp_gt_i64_e32 vcc, v[4:5], v[14:15]
	v_lshl_add_u64 v[6:7], v[6:7], 0, v[28:29]
	v_mov_b32_e32 v35, s9
	v_cndmask_b32_e64 v30, 0, 1, vcc
	s_waitcnt lgkmcnt(1)
	v_cmp_gt_i64_e32 vcc, v[4:5], v[16:17]
	v_lshl_add_u64 v[6:7], v[6:7], 0, v[30:31]
	v_mov_b32_e32 v37, s9
	v_cndmask_b32_e64 v32, 0, 1, vcc
	v_cmp_gt_i64_e32 vcc, v[4:5], v[18:19]
	v_lshl_add_u64 v[6:7], v[6:7], 0, v[32:33]
	s_add_u32 s18, s18, 8
	v_cndmask_b32_e64 v34, 0, 1, vcc
	s_waitcnt lgkmcnt(0)
	v_cmp_gt_i64_e32 vcc, v[4:5], v[20:21]
	v_lshl_add_u64 v[6:7], v[6:7], 0, v[34:35]
	v_mov_b32_e32 v39, s9
	v_cndmask_b32_e64 v36, 0, 1, vcc
	v_cmp_gt_i64_e32 vcc, v[4:5], v[22:23]
	s_addc_u32 s19, s19, 0
	s_add_i32 s20, s20, 64
	v_cndmask_b32_e64 v38, 0, 1, vcc
	v_lshl_add_u64 v[6:7], v[6:7], 0, v[36:37]
	s_cmp_eq_u64 s[12:13], s[18:19]
	v_lshl_add_u64 v[6:7], v[6:7], 0, v[38:39]
	s_cbranch_scc0 .LBB123_65
; %bb.66:                               ;   in Loop: Header=BB123_63 Depth=1
	s_mov_b64 s[18:19], s[12:13]
.LBB123_67:                             ;   in Loop: Header=BB123_63 Depth=1
	s_and_b64 vcc, exec, s[2:3]
	s_cbranch_vccnz .LBB123_62
; %bb.68:                               ;   in Loop: Header=BB123_63 Depth=1
	s_lshl_b32 s18, s18, 3
	s_add_i32 s20, s18, 0
	s_mov_b64 s[18:19], s[8:9]
.LBB123_69:                             ;   Parent Loop BB123_63 Depth=1
                                        ; =>  This Inner Loop Header: Depth=2
	v_mov_b32_e32 v8, s20
	ds_read_b64 v[10:11], v8
	s_add_i32 s20, s20, 8
	s_add_u32 s18, s18, -1
	v_mov_b32_e32 v9, s9
	s_addc_u32 s19, s19, -1
	s_waitcnt lgkmcnt(0)
	v_cmp_gt_i64_e32 vcc, v[4:5], v[10:11]
	s_cmp_lg_u64 s[18:19], 0
	s_nop 0
	v_cndmask_b32_e64 v8, 0, 1, vcc
	v_lshl_add_u64 v[6:7], v[6:7], 0, v[8:9]
	s_cbranch_scc1 .LBB123_69
	s_branch .LBB123_62
.LBB123_70:
	s_endpgm
	.section	.rodata,"a",@progbits
	.p2align	6, 0x0
	.amdhsa_kernel _ZN9rocsparseL41csrgemm_numeric_fill_block_per_row_kernelILj128ELj16ELj256ELj137ELj64Ell21rocsparse_complex_numIfEEEvT5_PKS3_S5_NS_24const_host_device_scalarIT6_EEPKT4_S5_PKS7_SB_S5_SD_S8_SB_S5_SD_SB_S5_PS7_21rocsparse_index_base_SF_SF_SF_bbb
		.amdhsa_group_segment_fixed_size 0
		.amdhsa_private_segment_fixed_size 0
		.amdhsa_kernarg_size 156
		.amdhsa_user_sgpr_count 2
		.amdhsa_user_sgpr_dispatch_ptr 0
		.amdhsa_user_sgpr_queue_ptr 0
		.amdhsa_user_sgpr_kernarg_segment_ptr 1
		.amdhsa_user_sgpr_dispatch_id 0
		.amdhsa_user_sgpr_kernarg_preload_length 0
		.amdhsa_user_sgpr_kernarg_preload_offset 0
		.amdhsa_user_sgpr_private_segment_size 0
		.amdhsa_uses_dynamic_stack 0
		.amdhsa_enable_private_segment 0
		.amdhsa_system_sgpr_workgroup_id_x 1
		.amdhsa_system_sgpr_workgroup_id_y 0
		.amdhsa_system_sgpr_workgroup_id_z 0
		.amdhsa_system_sgpr_workgroup_info 0
		.amdhsa_system_vgpr_workitem_id 0
		.amdhsa_next_free_vgpr 40
		.amdhsa_next_free_sgpr 62
		.amdhsa_accum_offset 40
		.amdhsa_reserve_vcc 1
		.amdhsa_float_round_mode_32 0
		.amdhsa_float_round_mode_16_64 0
		.amdhsa_float_denorm_mode_32 3
		.amdhsa_float_denorm_mode_16_64 3
		.amdhsa_dx10_clamp 1
		.amdhsa_ieee_mode 1
		.amdhsa_fp16_overflow 0
		.amdhsa_tg_split 0
		.amdhsa_exception_fp_ieee_invalid_op 0
		.amdhsa_exception_fp_denorm_src 0
		.amdhsa_exception_fp_ieee_div_zero 0
		.amdhsa_exception_fp_ieee_overflow 0
		.amdhsa_exception_fp_ieee_underflow 0
		.amdhsa_exception_fp_ieee_inexact 0
		.amdhsa_exception_int_div_zero 0
	.end_amdhsa_kernel
	.section	.text._ZN9rocsparseL41csrgemm_numeric_fill_block_per_row_kernelILj128ELj16ELj256ELj137ELj64Ell21rocsparse_complex_numIfEEEvT5_PKS3_S5_NS_24const_host_device_scalarIT6_EEPKT4_S5_PKS7_SB_S5_SD_S8_SB_S5_SD_SB_S5_PS7_21rocsparse_index_base_SF_SF_SF_bbb,"axG",@progbits,_ZN9rocsparseL41csrgemm_numeric_fill_block_per_row_kernelILj128ELj16ELj256ELj137ELj64Ell21rocsparse_complex_numIfEEEvT5_PKS3_S5_NS_24const_host_device_scalarIT6_EEPKT4_S5_PKS7_SB_S5_SD_S8_SB_S5_SD_SB_S5_PS7_21rocsparse_index_base_SF_SF_SF_bbb,comdat
.Lfunc_end123:
	.size	_ZN9rocsparseL41csrgemm_numeric_fill_block_per_row_kernelILj128ELj16ELj256ELj137ELj64Ell21rocsparse_complex_numIfEEEvT5_PKS3_S5_NS_24const_host_device_scalarIT6_EEPKT4_S5_PKS7_SB_S5_SD_S8_SB_S5_SD_SB_S5_PS7_21rocsparse_index_base_SF_SF_SF_bbb, .Lfunc_end123-_ZN9rocsparseL41csrgemm_numeric_fill_block_per_row_kernelILj128ELj16ELj256ELj137ELj64Ell21rocsparse_complex_numIfEEEvT5_PKS3_S5_NS_24const_host_device_scalarIT6_EEPKT4_S5_PKS7_SB_S5_SD_S8_SB_S5_SD_SB_S5_PS7_21rocsparse_index_base_SF_SF_SF_bbb
                                        ; -- End function
	.set _ZN9rocsparseL41csrgemm_numeric_fill_block_per_row_kernelILj128ELj16ELj256ELj137ELj64Ell21rocsparse_complex_numIfEEEvT5_PKS3_S5_NS_24const_host_device_scalarIT6_EEPKT4_S5_PKS7_SB_S5_SD_S8_SB_S5_SD_SB_S5_PS7_21rocsparse_index_base_SF_SF_SF_bbb.num_vgpr, 40
	.set _ZN9rocsparseL41csrgemm_numeric_fill_block_per_row_kernelILj128ELj16ELj256ELj137ELj64Ell21rocsparse_complex_numIfEEEvT5_PKS3_S5_NS_24const_host_device_scalarIT6_EEPKT4_S5_PKS7_SB_S5_SD_S8_SB_S5_SD_SB_S5_PS7_21rocsparse_index_base_SF_SF_SF_bbb.num_agpr, 0
	.set _ZN9rocsparseL41csrgemm_numeric_fill_block_per_row_kernelILj128ELj16ELj256ELj137ELj64Ell21rocsparse_complex_numIfEEEvT5_PKS3_S5_NS_24const_host_device_scalarIT6_EEPKT4_S5_PKS7_SB_S5_SD_S8_SB_S5_SD_SB_S5_PS7_21rocsparse_index_base_SF_SF_SF_bbb.numbered_sgpr, 62
	.set _ZN9rocsparseL41csrgemm_numeric_fill_block_per_row_kernelILj128ELj16ELj256ELj137ELj64Ell21rocsparse_complex_numIfEEEvT5_PKS3_S5_NS_24const_host_device_scalarIT6_EEPKT4_S5_PKS7_SB_S5_SD_S8_SB_S5_SD_SB_S5_PS7_21rocsparse_index_base_SF_SF_SF_bbb.num_named_barrier, 0
	.set _ZN9rocsparseL41csrgemm_numeric_fill_block_per_row_kernelILj128ELj16ELj256ELj137ELj64Ell21rocsparse_complex_numIfEEEvT5_PKS3_S5_NS_24const_host_device_scalarIT6_EEPKT4_S5_PKS7_SB_S5_SD_S8_SB_S5_SD_SB_S5_PS7_21rocsparse_index_base_SF_SF_SF_bbb.private_seg_size, 0
	.set _ZN9rocsparseL41csrgemm_numeric_fill_block_per_row_kernelILj128ELj16ELj256ELj137ELj64Ell21rocsparse_complex_numIfEEEvT5_PKS3_S5_NS_24const_host_device_scalarIT6_EEPKT4_S5_PKS7_SB_S5_SD_S8_SB_S5_SD_SB_S5_PS7_21rocsparse_index_base_SF_SF_SF_bbb.uses_vcc, 1
	.set _ZN9rocsparseL41csrgemm_numeric_fill_block_per_row_kernelILj128ELj16ELj256ELj137ELj64Ell21rocsparse_complex_numIfEEEvT5_PKS3_S5_NS_24const_host_device_scalarIT6_EEPKT4_S5_PKS7_SB_S5_SD_S8_SB_S5_SD_SB_S5_PS7_21rocsparse_index_base_SF_SF_SF_bbb.uses_flat_scratch, 0
	.set _ZN9rocsparseL41csrgemm_numeric_fill_block_per_row_kernelILj128ELj16ELj256ELj137ELj64Ell21rocsparse_complex_numIfEEEvT5_PKS3_S5_NS_24const_host_device_scalarIT6_EEPKT4_S5_PKS7_SB_S5_SD_S8_SB_S5_SD_SB_S5_PS7_21rocsparse_index_base_SF_SF_SF_bbb.has_dyn_sized_stack, 0
	.set _ZN9rocsparseL41csrgemm_numeric_fill_block_per_row_kernelILj128ELj16ELj256ELj137ELj64Ell21rocsparse_complex_numIfEEEvT5_PKS3_S5_NS_24const_host_device_scalarIT6_EEPKT4_S5_PKS7_SB_S5_SD_S8_SB_S5_SD_SB_S5_PS7_21rocsparse_index_base_SF_SF_SF_bbb.has_recursion, 0
	.set _ZN9rocsparseL41csrgemm_numeric_fill_block_per_row_kernelILj128ELj16ELj256ELj137ELj64Ell21rocsparse_complex_numIfEEEvT5_PKS3_S5_NS_24const_host_device_scalarIT6_EEPKT4_S5_PKS7_SB_S5_SD_S8_SB_S5_SD_SB_S5_PS7_21rocsparse_index_base_SF_SF_SF_bbb.has_indirect_call, 0
	.section	.AMDGPU.csdata,"",@progbits
; Kernel info:
; codeLenInByte = 2608
; TotalNumSgprs: 68
; NumVgprs: 40
; NumAgprs: 0
; TotalNumVgprs: 40
; ScratchSize: 0
; MemoryBound: 0
; FloatMode: 240
; IeeeMode: 1
; LDSByteSize: 0 bytes/workgroup (compile time only)
; SGPRBlocks: 8
; VGPRBlocks: 4
; NumSGPRsForWavesPerEU: 68
; NumVGPRsForWavesPerEU: 40
; AccumOffset: 40
; Occupancy: 8
; WaveLimiterHint : 1
; COMPUTE_PGM_RSRC2:SCRATCH_EN: 0
; COMPUTE_PGM_RSRC2:USER_SGPR: 2
; COMPUTE_PGM_RSRC2:TRAP_HANDLER: 0
; COMPUTE_PGM_RSRC2:TGID_X_EN: 1
; COMPUTE_PGM_RSRC2:TGID_Y_EN: 0
; COMPUTE_PGM_RSRC2:TGID_Z_EN: 0
; COMPUTE_PGM_RSRC2:TIDIG_COMP_CNT: 0
; COMPUTE_PGM_RSRC3_GFX90A:ACCUM_OFFSET: 9
; COMPUTE_PGM_RSRC3_GFX90A:TG_SPLIT: 0
	.section	.text._ZN9rocsparseL41csrgemm_numeric_fill_block_per_row_kernelILj256ELj32ELj512ELj137ELj32Ell21rocsparse_complex_numIfEEEvT5_PKS3_S5_NS_24const_host_device_scalarIT6_EEPKT4_S5_PKS7_SB_S5_SD_S8_SB_S5_SD_SB_S5_PS7_21rocsparse_index_base_SF_SF_SF_bbb,"axG",@progbits,_ZN9rocsparseL41csrgemm_numeric_fill_block_per_row_kernelILj256ELj32ELj512ELj137ELj32Ell21rocsparse_complex_numIfEEEvT5_PKS3_S5_NS_24const_host_device_scalarIT6_EEPKT4_S5_PKS7_SB_S5_SD_S8_SB_S5_SD_SB_S5_PS7_21rocsparse_index_base_SF_SF_SF_bbb,comdat
	.globl	_ZN9rocsparseL41csrgemm_numeric_fill_block_per_row_kernelILj256ELj32ELj512ELj137ELj32Ell21rocsparse_complex_numIfEEEvT5_PKS3_S5_NS_24const_host_device_scalarIT6_EEPKT4_S5_PKS7_SB_S5_SD_S8_SB_S5_SD_SB_S5_PS7_21rocsparse_index_base_SF_SF_SF_bbb ; -- Begin function _ZN9rocsparseL41csrgemm_numeric_fill_block_per_row_kernelILj256ELj32ELj512ELj137ELj32Ell21rocsparse_complex_numIfEEEvT5_PKS3_S5_NS_24const_host_device_scalarIT6_EEPKT4_S5_PKS7_SB_S5_SD_S8_SB_S5_SD_SB_S5_PS7_21rocsparse_index_base_SF_SF_SF_bbb
	.p2align	8
	.type	_ZN9rocsparseL41csrgemm_numeric_fill_block_per_row_kernelILj256ELj32ELj512ELj137ELj32Ell21rocsparse_complex_numIfEEEvT5_PKS3_S5_NS_24const_host_device_scalarIT6_EEPKT4_S5_PKS7_SB_S5_SD_S8_SB_S5_SD_SB_S5_PS7_21rocsparse_index_base_SF_SF_SF_bbb,@function
_ZN9rocsparseL41csrgemm_numeric_fill_block_per_row_kernelILj256ELj32ELj512ELj137ELj32Ell21rocsparse_complex_numIfEEEvT5_PKS3_S5_NS_24const_host_device_scalarIT6_EEPKT4_S5_PKS7_SB_S5_SD_S8_SB_S5_SD_SB_S5_PS7_21rocsparse_index_base_SF_SF_SF_bbb: ; @_ZN9rocsparseL41csrgemm_numeric_fill_block_per_row_kernelILj256ELj32ELj512ELj137ELj32Ell21rocsparse_complex_numIfEEEvT5_PKS3_S5_NS_24const_host_device_scalarIT6_EEPKT4_S5_PKS7_SB_S5_SD_S8_SB_S5_SD_SB_S5_PS7_21rocsparse_index_base_SF_SF_SF_bbb
; %bb.0:
	s_load_dwordx2 s[40:41], s[0:1], 0x70
	s_load_dwordx4 s[24:27], s[0:1], 0x50
	s_load_dword s3, s[0:1], 0x98
	s_load_dwordx4 s[36:39], s[0:1], 0x8
	s_load_dwordx8 s[8:15], s[0:1], 0x20
	s_load_dwordx2 s[34:35], s[0:1], 0x80
	s_load_dwordx4 s[16:19], s[0:1], 0x88
	s_waitcnt lgkmcnt(0)
	s_bitcmp1_b32 s3, 0
	s_cselect_b64 s[44:45], -1, 0
	s_bitcmp1_b32 s3, 16
	s_cselect_b64 s[4:5], -1, 0
	s_xor_b64 s[4:5], s[4:5], -1
	v_cndmask_b32_e64 v1, 0, 1, s[4:5]
	s_mov_b32 s7, 0
	s_bitcmp0_b32 s3, 0
	v_cmp_ne_u32_e64 s[4:5], 1, v1
	s_mov_b32 s61, 0
	s_cbranch_scc1 .LBB124_5
; %bb.1:
	s_load_dwordx2 s[6:7], s[0:1], 0x18
	s_and_b64 vcc, exec, s[4:5]
	s_waitcnt lgkmcnt(0)
	s_mov_b32 s61, s6
	s_cbranch_vccnz .LBB124_3
; %bb.2:
	s_load_dword s61, s[6:7], 0x0
.LBB124_3:
	s_and_b64 vcc, exec, s[4:5]
	s_cbranch_vccnz .LBB124_5
; %bb.4:
	s_load_dword s7, s[6:7], 0x4
.LBB124_5:
	s_nop 0
	s_load_dwordx4 s[20:23], s[0:1], 0x60
	s_load_dwordx4 s[28:31], s[0:1], 0x40
	s_bitcmp1_b32 s3, 8
	s_cselect_b64 s[42:43], -1, 0
	s_bfe_u32 s3, s3, 0x10008
	s_mov_b32 s33, 0
	s_cmp_eq_u32 s3, 0
	s_mov_b32 s60, 0
	s_cbranch_scc1 .LBB124_11
; %bb.6:
	s_and_b64 vcc, exec, s[4:5]
	s_mov_b32 s33, s24
	s_cbranch_vccnz .LBB124_8
; %bb.7:
	s_load_dword s33, s[24:25], 0x0
.LBB124_8:
	s_and_b64 vcc, exec, s[4:5]
	s_cbranch_vccnz .LBB124_10
; %bb.9:
	s_load_dword s25, s[24:25], 0x4
.LBB124_10:
	s_waitcnt lgkmcnt(0)
	s_mov_b32 s60, s25
.LBB124_11:
	s_load_dwordx2 s[24:25], s[0:1], 0x0
	s_movk_i32 s0, 0x200
	v_cmp_gt_u32_e64 s[0:1], s0, v0
	v_lshl_add_u32 v1, v0, 3, 0
	s_and_saveexec_b64 s[4:5], s[0:1]
	s_cbranch_execz .LBB124_14
; %bb.12:
	v_or_b32_e32 v2, 0xffffff00, v0
	v_lshl_add_u32 v3, v0, 3, 0
	s_mov_b64 s[46:47], 0
	s_waitcnt lgkmcnt(0)
	v_mov_b64_e32 v[6:7], s[24:25]
	v_mov_b32_e32 v4, 0
.LBB124_13:                             ; =>This Inner Loop Header: Depth=1
	v_add_co_u32_e32 v2, vcc, 0x100, v2
	s_xor_b64 s[48:49], vcc, -1
	s_and_b64 s[48:49], exec, s[48:49]
	ds_write_b64 v3, v[6:7]
	v_add_u32_e32 v5, 0x1000, v3
	v_add_u32_e32 v3, 0x800, v3
	s_or_b64 s[46:47], s[48:49], s[46:47]
	ds_write2_b32 v5, v4, v4 offset1:1
	s_andn2_b64 exec, exec, s[46:47]
	s_cbranch_execnz .LBB124_13
.LBB124_14:
	s_or_b64 exec, exec, s[4:5]
	s_waitcnt lgkmcnt(0)
	s_barrier
	s_load_dwordx2 s[4:5], s[36:37], 0x0
	s_mov_b32 s3, 0
	v_lshrrev_b32_e32 v20, 5, v0
	s_waitcnt lgkmcnt(0)
	s_lshl_b64 s[4:5], s[4:5], 3
	s_add_u32 s4, s38, s4
	s_addc_u32 s5, s39, s5
	s_lshl_b64 s[2:3], s[2:3], 3
	s_add_u32 s2, s4, s2
	s_addc_u32 s3, s5, s3
	s_load_dwordx2 s[36:37], s[2:3], 0x0
	s_and_b64 vcc, exec, s[44:45]
	s_cbranch_vccz .LBB124_34
; %bb.15:
	s_waitcnt lgkmcnt(0)
	s_lshl_b64 s[2:3], s[36:37], 3
	s_add_u32 s2, s8, s2
	s_addc_u32 s3, s9, s3
	s_load_dwordx4 s[44:47], s[2:3], 0x0
	v_subrev_co_u32_e32 v2, vcc, s16, v20
	s_nop 1
	v_subb_co_u32_e64 v3, s[2:3], 0, 0, vcc
	s_waitcnt lgkmcnt(0)
	s_sub_u32 s2, s46, s16
	s_subb_u32 s3, s47, 0
	v_lshl_add_u64 v[2:3], s[44:45], 0, v[2:3]
	v_cmp_gt_i64_e32 vcc, s[2:3], v[2:3]
	s_and_saveexec_b64 s[4:5], vcc
	s_cbranch_execz .LBB124_33
; %bb.16:
	v_and_b32_e32 v4, 31, v0
	v_subrev_co_u32_e32 v4, vcc, s17, v4
	s_mov_b32 s6, s17
	s_nop 0
	v_subb_co_u32_e64 v5, s[8:9], 0, 0, vcc
	s_mov_b64 s[8:9], 0
	s_movk_i32 s17, 0x89
	s_branch .LBB124_18
.LBB124_17:                             ;   in Loop: Header=BB124_18 Depth=1
	s_or_b64 exec, exec, s[38:39]
	v_lshl_add_u64 v[2:3], v[2:3], 0, 8
	v_cmp_le_i64_e32 vcc, s[2:3], v[2:3]
	s_or_b64 s[8:9], vcc, s[8:9]
	s_andn2_b64 exec, exec, s[8:9]
	s_cbranch_execz .LBB124_33
.LBB124_18:                             ; =>This Loop Header: Depth=1
                                        ;     Child Loop BB124_22 Depth 2
                                        ;       Child Loop BB124_25 Depth 3
	v_lshl_add_u64 v[6:7], v[2:3], 3, s[10:11]
	global_load_dwordx2 v[6:7], v[6:7], off
	s_waitcnt vmcnt(0)
	v_subrev_co_u32_e32 v6, vcc, s16, v6
	s_nop 1
	v_subbrev_co_u32_e32 v7, vcc, 0, v7, vcc
	v_lshl_add_u64 v[6:7], v[6:7], 3, s[14:15]
	global_load_dwordx4 v[8:11], v[6:7], off
	s_waitcnt vmcnt(0)
	v_subrev_co_u32_e32 v6, vcc, s6, v10
	s_nop 1
	v_subbrev_co_u32_e32 v7, vcc, 0, v11, vcc
	v_lshl_add_u64 v[8:9], v[8:9], 0, v[4:5]
	v_cmp_lt_i64_e32 vcc, v[8:9], v[6:7]
	s_and_saveexec_b64 s[38:39], vcc
	s_cbranch_execz .LBB124_17
; %bb.19:                               ;   in Loop: Header=BB124_18 Depth=1
	v_lshl_add_u64 v[10:11], v[2:3], 3, s[12:13]
	global_load_dwordx2 v[10:11], v[10:11], off
	s_mov_b64 s[44:45], 0
	s_waitcnt vmcnt(0)
	v_mul_f32_e64 v21, v11, -s7
	v_mul_f32_e32 v22, s61, v11
	v_fmac_f32_e32 v21, s61, v10
	v_fmac_f32_e32 v22, s7, v10
	s_branch .LBB124_22
.LBB124_20:                             ;   in Loop: Header=BB124_22 Depth=2
	s_or_b64 exec, exec, s[48:49]
.LBB124_21:                             ;   in Loop: Header=BB124_22 Depth=2
	s_or_b64 exec, exec, s[46:47]
	s_waitcnt vmcnt(0)
	v_mul_f32_e64 v13, v11, -v22
	v_mul_f32_e32 v11, v21, v11
	v_fmac_f32_e32 v13, v21, v10
	v_fmac_f32_e32 v11, v22, v10
	v_lshl_add_u32 v10, v12, 3, 0
	ds_add_f32 v10, v13 offset:4096
	ds_add_f32 v10, v11 offset:4100
	v_lshl_add_u64 v[8:9], v[8:9], 0, 32
	v_cmp_ge_i64_e32 vcc, v[8:9], v[6:7]
	s_or_b64 s[44:45], vcc, s[44:45]
	s_andn2_b64 exec, exec, s[44:45]
	s_cbranch_execz .LBB124_17
.LBB124_22:                             ;   Parent Loop BB124_18 Depth=1
                                        ; =>  This Loop Header: Depth=2
                                        ;       Child Loop BB124_25 Depth 3
	v_lshlrev_b64 v[10:11], 3, v[8:9]
	v_lshl_add_u64 v[12:13], s[28:29], 0, v[10:11]
	global_load_dwordx2 v[12:13], v[12:13], off
	v_lshl_add_u64 v[10:11], s[30:31], 0, v[10:11]
	global_load_dwordx2 v[10:11], v[10:11], off
	s_waitcnt vmcnt(1)
	v_subrev_co_u32_e32 v14, vcc, s6, v12
	v_mul_lo_u32 v12, v14, s17
	v_and_b32_e32 v12, 0x1ff, v12
	v_lshl_add_u32 v23, v12, 3, 0
	ds_read_b64 v[18:19], v23
	v_subbrev_co_u32_e32 v15, vcc, 0, v13, vcc
	s_waitcnt lgkmcnt(0)
	v_cmp_ne_u64_e32 vcc, v[18:19], v[14:15]
	s_and_saveexec_b64 s[46:47], vcc
	s_cbranch_execz .LBB124_21
; %bb.23:                               ;   in Loop: Header=BB124_22 Depth=2
	s_mov_b64 s[48:49], 0
                                        ; implicit-def: $sgpr50_sgpr51
                                        ; implicit-def: $sgpr52_sgpr53
	s_branch .LBB124_25
.LBB124_24:                             ;   in Loop: Header=BB124_25 Depth=3
	s_or_b64 exec, exec, s[58:59]
	s_and_b64 s[54:55], exec, s[56:57]
	s_or_b64 s[48:49], s[54:55], s[48:49]
	s_andn2_b64 s[50:51], s[50:51], exec
	s_and_b64 s[54:55], s[52:53], exec
	s_or_b64 s[50:51], s[50:51], s[54:55]
	s_andn2_b64 exec, exec, s[48:49]
	s_cbranch_execz .LBB124_31
.LBB124_25:                             ;   Parent Loop BB124_18 Depth=1
                                        ;     Parent Loop BB124_22 Depth=2
                                        ; =>    This Inner Loop Header: Depth=3
	v_mov_b64_e32 v[16:17], v[12:13]
	v_cmp_ne_u64_e32 vcc, s[24:25], v[18:19]
	s_mov_b64 s[54:55], 0
                                        ; implicit-def: $vgpr12_vgpr13
	s_and_saveexec_b64 s[56:57], vcc
	s_xor_b64 s[56:57], exec, s[56:57]
; %bb.26:                               ;   in Loop: Header=BB124_25 Depth=3
	v_add_u32_e32 v12, 1, v16
	s_mov_b64 s[54:55], exec
	v_and_b32_e32 v12, 0x1ff, v12
                                        ; implicit-def: $vgpr23
; %bb.27:                               ;   in Loop: Header=BB124_25 Depth=3
	s_andn2_saveexec_b64 s[56:57], s[56:57]
	s_cbranch_execz .LBB124_29
; %bb.28:                               ;   in Loop: Header=BB124_25 Depth=3
	v_mov_b64_e32 v[12:13], s[24:25]
	ds_cmpst_rtn_b64 v[12:13], v23, v[12:13], v[14:15]
	s_andn2_b64 s[54:55], s[54:55], exec
	s_waitcnt lgkmcnt(0)
	v_cmp_ne_u64_e32 vcc, s[24:25], v[12:13]
	s_and_b64 s[58:59], vcc, exec
	s_or_b64 s[54:55], s[54:55], s[58:59]
	v_mov_b64_e32 v[12:13], v[16:17]
.LBB124_29:                             ;   in Loop: Header=BB124_25 Depth=3
	s_or_b64 exec, exec, s[56:57]
	s_mov_b64 s[56:57], -1
	s_or_b64 s[52:53], s[52:53], exec
                                        ; implicit-def: $vgpr23
                                        ; implicit-def: $vgpr18_vgpr19
	s_and_saveexec_b64 s[58:59], s[54:55]
	s_cbranch_execz .LBB124_24
; %bb.30:                               ;   in Loop: Header=BB124_25 Depth=3
	v_lshl_add_u32 v23, v12, 3, 0
	ds_read_b64 v[18:19], v23
	s_andn2_b64 s[52:53], s[52:53], exec
	s_waitcnt lgkmcnt(0)
	v_cmp_eq_u64_e32 vcc, v[18:19], v[14:15]
	s_orn2_b64 s[56:57], vcc, exec
	s_branch .LBB124_24
.LBB124_31:                             ;   in Loop: Header=BB124_22 Depth=2
	s_or_b64 exec, exec, s[48:49]
	s_and_saveexec_b64 s[48:49], s[50:51]
	s_xor_b64 s[48:49], exec, s[48:49]
	s_cbranch_execz .LBB124_20
; %bb.32:                               ;   in Loop: Header=BB124_22 Depth=2
	v_mov_b32_e32 v12, v16
	s_branch .LBB124_20
.LBB124_33:
	s_or_b64 exec, exec, s[4:5]
.LBB124_34:
	s_andn2_b64 vcc, exec, s[42:43]
	s_cbranch_vccnz .LBB124_51
; %bb.35:
	s_waitcnt lgkmcnt(0)
	s_lshl_b64 s[2:3], s[36:37], 3
	s_add_u32 s2, s26, s2
	s_addc_u32 s3, s27, s3
	s_load_dwordx4 s[4:7], s[2:3], 0x0
	v_subrev_co_u32_e32 v2, vcc, s19, v0
	s_waitcnt lgkmcnt(0)
	s_sub_u32 s2, s6, s19
	s_subb_u32 s3, s7, 0
	v_subb_co_u32_e64 v3, s[6:7], 0, 0, vcc
	v_lshl_add_u64 v[2:3], s[4:5], 0, v[2:3]
	v_cmp_gt_i64_e32 vcc, s[2:3], v[2:3]
	s_and_saveexec_b64 s[4:5], vcc
	s_cbranch_execz .LBB124_50
; %bb.36:
	s_mov_b32 s38, s19
	s_mov_b64 s[6:7], 0
	s_movk_i32 s19, 0x89
	s_mov_b64 s[8:9], 0x100
	s_branch .LBB124_39
.LBB124_37:                             ;   in Loop: Header=BB124_39 Depth=1
	s_or_b64 exec, exec, s[12:13]
.LBB124_38:                             ;   in Loop: Header=BB124_39 Depth=1
	s_or_b64 exec, exec, s[10:11]
	s_waitcnt vmcnt(0)
	v_mul_f32_e64 v7, v5, -s60
	v_mul_f32_e32 v5, s33, v5
	v_fmac_f32_e32 v7, s33, v4
	v_fmac_f32_e32 v5, s60, v4
	v_lshl_add_u32 v4, v6, 3, 0
	ds_add_f32 v4, v7 offset:4096
	ds_add_f32 v4, v5 offset:4100
	v_lshl_add_u64 v[2:3], v[2:3], 0, s[8:9]
	v_cmp_le_i64_e32 vcc, s[2:3], v[2:3]
	s_or_b64 s[6:7], vcc, s[6:7]
	s_andn2_b64 exec, exec, s[6:7]
	s_cbranch_execz .LBB124_50
.LBB124_39:                             ; =>This Loop Header: Depth=1
                                        ;     Child Loop BB124_42 Depth 2
	v_lshlrev_b64 v[4:5], 3, v[2:3]
	v_lshl_add_u64 v[6:7], s[20:21], 0, v[4:5]
	global_load_dwordx2 v[6:7], v[6:7], off
	v_lshl_add_u64 v[4:5], s[22:23], 0, v[4:5]
	global_load_dwordx2 v[4:5], v[4:5], off
	s_waitcnt vmcnt(1)
	v_subrev_co_u32_e32 v8, vcc, s38, v6
	v_mul_lo_u32 v6, v8, s19
	v_and_b32_e32 v6, 0x1ff, v6
	v_lshl_add_u32 v14, v6, 3, 0
	ds_read_b64 v[12:13], v14
	v_subbrev_co_u32_e32 v9, vcc, 0, v7, vcc
	s_waitcnt lgkmcnt(0)
	v_cmp_ne_u64_e32 vcc, v[12:13], v[8:9]
	s_and_saveexec_b64 s[10:11], vcc
	s_cbranch_execz .LBB124_38
; %bb.40:                               ;   in Loop: Header=BB124_39 Depth=1
	s_mov_b64 s[12:13], 0
                                        ; implicit-def: $sgpr14_sgpr15
                                        ; implicit-def: $sgpr16_sgpr17
	s_branch .LBB124_42
.LBB124_41:                             ;   in Loop: Header=BB124_42 Depth=2
	s_or_b64 exec, exec, s[30:31]
	s_and_b64 s[26:27], exec, s[28:29]
	s_or_b64 s[12:13], s[26:27], s[12:13]
	s_andn2_b64 s[14:15], s[14:15], exec
	s_and_b64 s[26:27], s[16:17], exec
	s_or_b64 s[14:15], s[14:15], s[26:27]
	s_andn2_b64 exec, exec, s[12:13]
	s_cbranch_execz .LBB124_48
.LBB124_42:                             ;   Parent Loop BB124_39 Depth=1
                                        ; =>  This Inner Loop Header: Depth=2
	v_mov_b64_e32 v[10:11], v[6:7]
	v_cmp_ne_u64_e32 vcc, s[24:25], v[12:13]
	s_mov_b64 s[26:27], 0
                                        ; implicit-def: $vgpr6_vgpr7
	s_and_saveexec_b64 s[28:29], vcc
	s_xor_b64 s[28:29], exec, s[28:29]
; %bb.43:                               ;   in Loop: Header=BB124_42 Depth=2
	v_add_u32_e32 v6, 1, v10
	s_mov_b64 s[26:27], exec
	v_and_b32_e32 v6, 0x1ff, v6
                                        ; implicit-def: $vgpr14
; %bb.44:                               ;   in Loop: Header=BB124_42 Depth=2
	s_andn2_saveexec_b64 s[28:29], s[28:29]
	s_cbranch_execz .LBB124_46
; %bb.45:                               ;   in Loop: Header=BB124_42 Depth=2
	v_mov_b64_e32 v[6:7], s[24:25]
	ds_cmpst_rtn_b64 v[6:7], v14, v[6:7], v[8:9]
	s_andn2_b64 s[26:27], s[26:27], exec
	s_waitcnt lgkmcnt(0)
	v_cmp_ne_u64_e32 vcc, s[24:25], v[6:7]
	s_and_b64 s[30:31], vcc, exec
	s_or_b64 s[26:27], s[26:27], s[30:31]
	v_mov_b64_e32 v[6:7], v[10:11]
.LBB124_46:                             ;   in Loop: Header=BB124_42 Depth=2
	s_or_b64 exec, exec, s[28:29]
	s_mov_b64 s[28:29], -1
	s_or_b64 s[16:17], s[16:17], exec
                                        ; implicit-def: $vgpr14
                                        ; implicit-def: $vgpr12_vgpr13
	s_and_saveexec_b64 s[30:31], s[26:27]
	s_cbranch_execz .LBB124_41
; %bb.47:                               ;   in Loop: Header=BB124_42 Depth=2
	v_lshl_add_u32 v14, v6, 3, 0
	ds_read_b64 v[12:13], v14
	s_andn2_b64 s[16:17], s[16:17], exec
	s_waitcnt lgkmcnt(0)
	v_cmp_eq_u64_e32 vcc, v[12:13], v[8:9]
	s_orn2_b64 s[28:29], vcc, exec
	s_branch .LBB124_41
.LBB124_48:                             ;   in Loop: Header=BB124_39 Depth=1
	s_or_b64 exec, exec, s[12:13]
	s_and_saveexec_b64 s[12:13], s[14:15]
	s_xor_b64 s[12:13], exec, s[12:13]
	s_cbranch_execz .LBB124_37
; %bb.49:                               ;   in Loop: Header=BB124_39 Depth=1
	v_mov_b32_e32 v6, v10
	s_branch .LBB124_37
.LBB124_50:
	s_or_b64 exec, exec, s[4:5]
.LBB124_51:
	s_waitcnt lgkmcnt(0)
	s_barrier
	s_and_saveexec_b64 s[16:17], s[0:1]
	s_cbranch_execz .LBB124_72
; %bb.52:
	v_mbcnt_lo_u32_b32 v2, -1, 0
	v_mbcnt_hi_u32_b32 v2, -1, v2
	v_sub_u32_e32 v2, 63, v2
	s_movk_i32 s0, 0xff
	s_movk_i32 s6, 0x5f
	;; [unrolled: 1-line block ×6, first 2 shown]
	v_mov_b32_e32 v3, 0
	v_lshrrev_b64 v[4:5], v2, -1
	v_lshl_add_u32 v14, v20, 3, 0
	v_cmp_eq_u32_e64 s[0:1], s0, v0
	v_cmp_lt_u32_e64 s[2:3], 31, v0
	v_cmp_lt_u32_e64 s[4:5], 63, v0
	;; [unrolled: 1-line block ×7, first 2 shown]
	v_or_b32_e32 v15, 0xffffff00, v0
	s_mov_b64 s[20:21], 0
	v_mov_b64_e32 v[6:7], 0
	s_branch .LBB124_54
.LBB124_53:                             ;   in Loop: Header=BB124_54 Depth=1
	s_or_b64 exec, exec, s[22:23]
	s_waitcnt lgkmcnt(0)
	s_barrier
	ds_read_b64 v[8:9], v3 offset:8248
	v_add_co_u32_e32 v15, vcc, 0x100, v15
	s_xor_b64 s[22:23], vcc, -1
	s_and_b64 s[22:23], exec, s[22:23]
	s_waitcnt lgkmcnt(0)
	v_lshl_add_u64 v[6:7], v[8:9], 0, v[6:7]
	s_or_b64 s[20:21], s[22:23], s[20:21]
	v_add_u32_e32 v1, 0x800, v1
	s_andn2_b64 exec, exec, s[20:21]
	s_cbranch_execz .LBB124_72
.LBB124_54:                             ; =>This Inner Loop Header: Depth=1
	ds_read_b64 v[8:9], v1
	v_add_u32_e32 v2, 0x1000, v1
	ds_read2_b32 v[10:11], v2 offset1:1
	s_waitcnt lgkmcnt(0)
	s_barrier
	v_cmp_gt_i64_e32 vcc, s[24:25], v[8:9]
	s_bcnt1_i32_b64 s19, vcc
	v_mov_b32_e32 v2, s19
	v_and_b32_e32 v13, vcc_lo, v4
	v_and_b32_e32 v12, vcc_hi, v5
	v_bcnt_u32_b32 v13, v13, 0
	v_bcnt_u32_b32 v12, v12, v13
	ds_write_b64 v14, v[2:3] offset:8192
	s_waitcnt lgkmcnt(0)
	s_barrier
	s_and_saveexec_b64 s[22:23], s[2:3]
	s_cbranch_execnz .LBB124_63
; %bb.55:                               ;   in Loop: Header=BB124_54 Depth=1
	s_or_b64 exec, exec, s[22:23]
	s_and_saveexec_b64 s[22:23], s[4:5]
	s_cbranch_execnz .LBB124_64
.LBB124_56:                             ;   in Loop: Header=BB124_54 Depth=1
	s_or_b64 exec, exec, s[22:23]
	s_and_saveexec_b64 s[22:23], s[6:7]
	s_cbranch_execnz .LBB124_65
.LBB124_57:                             ;   in Loop: Header=BB124_54 Depth=1
	s_or_b64 exec, exec, s[22:23]
	s_and_saveexec_b64 s[22:23], s[8:9]
	s_cbranch_execnz .LBB124_66
.LBB124_58:                             ;   in Loop: Header=BB124_54 Depth=1
	s_or_b64 exec, exec, s[22:23]
	s_and_saveexec_b64 s[22:23], s[10:11]
	s_cbranch_execnz .LBB124_67
.LBB124_59:                             ;   in Loop: Header=BB124_54 Depth=1
	s_or_b64 exec, exec, s[22:23]
	s_and_saveexec_b64 s[22:23], s[12:13]
	s_cbranch_execnz .LBB124_68
.LBB124_60:                             ;   in Loop: Header=BB124_54 Depth=1
	s_or_b64 exec, exec, s[22:23]
	s_and_saveexec_b64 s[22:23], s[14:15]
	s_cbranch_execnz .LBB124_69
.LBB124_61:                             ;   in Loop: Header=BB124_54 Depth=1
	s_or_b64 exec, exec, s[22:23]
	v_ashrrev_i32_e32 v13, 31, v12
	s_and_saveexec_b64 s[22:23], vcc
	s_cbranch_execnz .LBB124_70
.LBB124_62:                             ;   in Loop: Header=BB124_54 Depth=1
	s_or_b64 exec, exec, s[22:23]
	s_and_saveexec_b64 s[22:23], s[0:1]
	s_cbranch_execz .LBB124_53
	s_branch .LBB124_71
.LBB124_63:                             ;   in Loop: Header=BB124_54 Depth=1
	ds_read_b32 v2, v3 offset:8192
	s_waitcnt lgkmcnt(0)
	v_add_u32_e32 v12, v2, v12
	s_or_b64 exec, exec, s[22:23]
	s_and_saveexec_b64 s[22:23], s[4:5]
	s_cbranch_execz .LBB124_56
.LBB124_64:                             ;   in Loop: Header=BB124_54 Depth=1
	ds_read_b32 v2, v3 offset:8200
	s_waitcnt lgkmcnt(0)
	v_add_u32_e32 v12, v12, v2
	s_or_b64 exec, exec, s[22:23]
	s_and_saveexec_b64 s[22:23], s[6:7]
	s_cbranch_execz .LBB124_57
.LBB124_65:                             ;   in Loop: Header=BB124_54 Depth=1
	ds_read_b32 v2, v3 offset:8208
	s_waitcnt lgkmcnt(0)
	v_add_u32_e32 v12, v12, v2
	s_or_b64 exec, exec, s[22:23]
	s_and_saveexec_b64 s[22:23], s[8:9]
	s_cbranch_execz .LBB124_58
.LBB124_66:                             ;   in Loop: Header=BB124_54 Depth=1
	ds_read_b32 v2, v3 offset:8216
	s_waitcnt lgkmcnt(0)
	v_add_u32_e32 v12, v12, v2
	s_or_b64 exec, exec, s[22:23]
	s_and_saveexec_b64 s[22:23], s[10:11]
	s_cbranch_execz .LBB124_59
.LBB124_67:                             ;   in Loop: Header=BB124_54 Depth=1
	ds_read_b32 v2, v3 offset:8224
	s_waitcnt lgkmcnt(0)
	v_add_u32_e32 v12, v12, v2
	s_or_b64 exec, exec, s[22:23]
	s_and_saveexec_b64 s[22:23], s[12:13]
	s_cbranch_execz .LBB124_60
.LBB124_68:                             ;   in Loop: Header=BB124_54 Depth=1
	ds_read_b32 v2, v3 offset:8232
	s_waitcnt lgkmcnt(0)
	v_add_u32_e32 v12, v12, v2
	s_or_b64 exec, exec, s[22:23]
	s_and_saveexec_b64 s[22:23], s[14:15]
	s_cbranch_execz .LBB124_61
.LBB124_69:                             ;   in Loop: Header=BB124_54 Depth=1
	ds_read_b32 v2, v3 offset:8240
	s_waitcnt lgkmcnt(0)
	v_add_u32_e32 v12, v12, v2
	s_or_b64 exec, exec, s[22:23]
	v_ashrrev_i32_e32 v13, 31, v12
	s_and_saveexec_b64 s[22:23], vcc
	s_cbranch_execz .LBB124_62
.LBB124_70:                             ;   in Loop: Header=BB124_54 Depth=1
	v_add3_u32 v2, v6, -1, v12
	v_add_u32_e32 v16, v6, v12
	v_lshl_add_u32 v2, v2, 3, 0
	v_lshl_add_u32 v16, v16, 3, 0
	v_add_u32_e32 v16, 0xff8, v16
	ds_write_b64 v2, v[8:9]
	ds_write2_b32 v16, v10, v11 offset1:1
	s_or_b64 exec, exec, s[22:23]
	s_and_saveexec_b64 s[22:23], s[0:1]
	s_cbranch_execz .LBB124_53
.LBB124_71:                             ;   in Loop: Header=BB124_54 Depth=1
	ds_write_b64 v3, v[12:13] offset:8248
	s_branch .LBB124_53
.LBB124_72:
	s_or_b64 exec, exec, s[16:17]
	s_lshl_b64 s[0:1], s[36:37], 3
	s_add_u32 s4, s40, s0
	s_addc_u32 s5, s41, s1
	s_load_dwordx4 s[0:3], s[4:5], 0x0
	v_mov_b32_e32 v1, 0
	s_waitcnt lgkmcnt(0)
	s_sub_u32 s4, s2, s0
	s_subb_u32 s5, s3, s1
	v_cmp_gt_i64_e32 vcc, s[4:5], v[0:1]
	s_and_saveexec_b64 s[6:7], vcc
	s_cbranch_execz .LBB124_82
; %bb.73:
	s_sub_u32 s8, s0, s18
	s_subb_u32 s9, s1, 0
	s_and_b32 s6, s4, 7
	s_sub_u32 s0, s0, s2
	s_mov_b32 s7, 0
	s_subb_u32 s1, s1, s3
	s_and_b32 s10, s4, -8
	s_cmp_lg_u64 s[6:7], 0
	v_cmp_lt_u64_e64 s[0:1], s[0:1], -7
	s_cselect_b64 s[2:3], -1, 0
	s_mov_b32 s11, s5
	v_cndmask_b32_e64 v2, 0, 1, s[0:1]
	v_cmp_ne_u32_e64 s[0:1], 1, v2
	v_cndmask_b32_e64 v2, 0, 1, s[2:3]
	s_mov_b64 s[12:13], 0
	v_cmp_ne_u32_e64 s[2:3], 1, v2
	s_mov_b64 s[14:15], 0x100
	s_branch .LBB124_75
.LBB124_74:                             ;   in Loop: Header=BB124_75 Depth=1
	v_lshl_add_u64 v[0:1], v[0:1], 0, s[14:15]
	v_cmp_le_i64_e32 vcc, s[4:5], v[0:1]
	s_waitcnt lgkmcnt(1)
	v_lshl_add_u64 v[4:5], v[6:7], 3, s[34:35]
	s_or_b64 s[12:13], vcc, s[12:13]
	s_waitcnt lgkmcnt(0)
	global_store_dwordx2 v[4:5], v[2:3], off
	s_andn2_b64 exec, exec, s[12:13]
	s_cbranch_execz .LBB124_82
.LBB124_75:                             ; =>This Loop Header: Depth=1
                                        ;     Child Loop BB124_77 Depth 2
                                        ;     Child Loop BB124_81 Depth 2
	v_lshl_add_u32 v2, v0, 3, 0
	v_add_u32_e32 v3, 0x1000, v2
	ds_read_b64 v[4:5], v2
	ds_read2_b32 v[2:3], v3 offset1:1
	s_and_b64 vcc, exec, s[0:1]
	v_mov_b64_e32 v[6:7], s[8:9]
	s_mov_b64 s[16:17], 0
	s_cbranch_vccnz .LBB124_79
; %bb.76:                               ;   in Loop: Header=BB124_75 Depth=1
	s_mov_b32 s18, 0
	v_mov_b64_e32 v[6:7], s[8:9]
.LBB124_77:                             ;   Parent Loop BB124_75 Depth=1
                                        ; =>  This Inner Loop Header: Depth=2
	v_mov_b32_e32 v20, s18
	ds_read2_b64 v[8:11], v20 offset1:1
	ds_read2_b64 v[12:15], v20 offset0:2 offset1:3
	ds_read2_b64 v[16:19], v20 offset0:4 offset1:5
	;; [unrolled: 1-line block ×3, first 2 shown]
	v_mov_b32_e32 v25, s7
	s_waitcnt lgkmcnt(3)
	v_cmp_gt_i64_e32 vcc, v[4:5], v[8:9]
	v_mov_b32_e32 v27, s7
	v_mov_b32_e32 v29, s7
	v_cndmask_b32_e64 v24, 0, 1, vcc
	v_cmp_gt_i64_e32 vcc, v[4:5], v[10:11]
	v_lshl_add_u64 v[6:7], v[6:7], 0, v[24:25]
	v_mov_b32_e32 v31, s7
	v_cndmask_b32_e64 v26, 0, 1, vcc
	s_waitcnt lgkmcnt(2)
	v_cmp_gt_i64_e32 vcc, v[4:5], v[12:13]
	v_lshl_add_u64 v[6:7], v[6:7], 0, v[26:27]
	v_mov_b32_e32 v33, s7
	v_cndmask_b32_e64 v28, 0, 1, vcc
	v_cmp_gt_i64_e32 vcc, v[4:5], v[14:15]
	v_lshl_add_u64 v[6:7], v[6:7], 0, v[28:29]
	v_mov_b32_e32 v35, s7
	v_cndmask_b32_e64 v30, 0, 1, vcc
	s_waitcnt lgkmcnt(1)
	v_cmp_gt_i64_e32 vcc, v[4:5], v[16:17]
	v_lshl_add_u64 v[6:7], v[6:7], 0, v[30:31]
	v_mov_b32_e32 v37, s7
	v_cndmask_b32_e64 v32, 0, 1, vcc
	v_cmp_gt_i64_e32 vcc, v[4:5], v[18:19]
	v_lshl_add_u64 v[6:7], v[6:7], 0, v[32:33]
	s_add_u32 s16, s16, 8
	v_cndmask_b32_e64 v34, 0, 1, vcc
	s_waitcnt lgkmcnt(0)
	v_cmp_gt_i64_e32 vcc, v[4:5], v[20:21]
	v_lshl_add_u64 v[6:7], v[6:7], 0, v[34:35]
	v_mov_b32_e32 v39, s7
	v_cndmask_b32_e64 v36, 0, 1, vcc
	v_cmp_gt_i64_e32 vcc, v[4:5], v[22:23]
	s_addc_u32 s17, s17, 0
	s_add_i32 s18, s18, 64
	v_cndmask_b32_e64 v38, 0, 1, vcc
	v_lshl_add_u64 v[6:7], v[6:7], 0, v[36:37]
	s_cmp_eq_u64 s[10:11], s[16:17]
	v_lshl_add_u64 v[6:7], v[6:7], 0, v[38:39]
	s_cbranch_scc0 .LBB124_77
; %bb.78:                               ;   in Loop: Header=BB124_75 Depth=1
	s_mov_b64 s[16:17], s[10:11]
.LBB124_79:                             ;   in Loop: Header=BB124_75 Depth=1
	s_and_b64 vcc, exec, s[2:3]
	s_cbranch_vccnz .LBB124_74
; %bb.80:                               ;   in Loop: Header=BB124_75 Depth=1
	s_lshl_b32 s16, s16, 3
	s_add_i32 s18, s16, 0
	s_mov_b64 s[16:17], s[6:7]
.LBB124_81:                             ;   Parent Loop BB124_75 Depth=1
                                        ; =>  This Inner Loop Header: Depth=2
	v_mov_b32_e32 v8, s18
	ds_read_b64 v[10:11], v8
	s_add_i32 s18, s18, 8
	s_add_u32 s16, s16, -1
	v_mov_b32_e32 v9, s7
	s_addc_u32 s17, s17, -1
	s_waitcnt lgkmcnt(0)
	v_cmp_gt_i64_e32 vcc, v[4:5], v[10:11]
	s_cmp_lg_u64 s[16:17], 0
	s_nop 0
	v_cndmask_b32_e64 v8, 0, 1, vcc
	v_lshl_add_u64 v[6:7], v[6:7], 0, v[8:9]
	s_cbranch_scc1 .LBB124_81
	s_branch .LBB124_74
.LBB124_82:
	s_endpgm
	.section	.rodata,"a",@progbits
	.p2align	6, 0x0
	.amdhsa_kernel _ZN9rocsparseL41csrgemm_numeric_fill_block_per_row_kernelILj256ELj32ELj512ELj137ELj32Ell21rocsparse_complex_numIfEEEvT5_PKS3_S5_NS_24const_host_device_scalarIT6_EEPKT4_S5_PKS7_SB_S5_SD_S8_SB_S5_SD_SB_S5_PS7_21rocsparse_index_base_SF_SF_SF_bbb
		.amdhsa_group_segment_fixed_size 0
		.amdhsa_private_segment_fixed_size 0
		.amdhsa_kernarg_size 156
		.amdhsa_user_sgpr_count 2
		.amdhsa_user_sgpr_dispatch_ptr 0
		.amdhsa_user_sgpr_queue_ptr 0
		.amdhsa_user_sgpr_kernarg_segment_ptr 1
		.amdhsa_user_sgpr_dispatch_id 0
		.amdhsa_user_sgpr_kernarg_preload_length 0
		.amdhsa_user_sgpr_kernarg_preload_offset 0
		.amdhsa_user_sgpr_private_segment_size 0
		.amdhsa_uses_dynamic_stack 0
		.amdhsa_enable_private_segment 0
		.amdhsa_system_sgpr_workgroup_id_x 1
		.amdhsa_system_sgpr_workgroup_id_y 0
		.amdhsa_system_sgpr_workgroup_id_z 0
		.amdhsa_system_sgpr_workgroup_info 0
		.amdhsa_system_vgpr_workitem_id 0
		.amdhsa_next_free_vgpr 40
		.amdhsa_next_free_sgpr 62
		.amdhsa_accum_offset 40
		.amdhsa_reserve_vcc 1
		.amdhsa_float_round_mode_32 0
		.amdhsa_float_round_mode_16_64 0
		.amdhsa_float_denorm_mode_32 3
		.amdhsa_float_denorm_mode_16_64 3
		.amdhsa_dx10_clamp 1
		.amdhsa_ieee_mode 1
		.amdhsa_fp16_overflow 0
		.amdhsa_tg_split 0
		.amdhsa_exception_fp_ieee_invalid_op 0
		.amdhsa_exception_fp_denorm_src 0
		.amdhsa_exception_fp_ieee_div_zero 0
		.amdhsa_exception_fp_ieee_overflow 0
		.amdhsa_exception_fp_ieee_underflow 0
		.amdhsa_exception_fp_ieee_inexact 0
		.amdhsa_exception_int_div_zero 0
	.end_amdhsa_kernel
	.section	.text._ZN9rocsparseL41csrgemm_numeric_fill_block_per_row_kernelILj256ELj32ELj512ELj137ELj32Ell21rocsparse_complex_numIfEEEvT5_PKS3_S5_NS_24const_host_device_scalarIT6_EEPKT4_S5_PKS7_SB_S5_SD_S8_SB_S5_SD_SB_S5_PS7_21rocsparse_index_base_SF_SF_SF_bbb,"axG",@progbits,_ZN9rocsparseL41csrgemm_numeric_fill_block_per_row_kernelILj256ELj32ELj512ELj137ELj32Ell21rocsparse_complex_numIfEEEvT5_PKS3_S5_NS_24const_host_device_scalarIT6_EEPKT4_S5_PKS7_SB_S5_SD_S8_SB_S5_SD_SB_S5_PS7_21rocsparse_index_base_SF_SF_SF_bbb,comdat
.Lfunc_end124:
	.size	_ZN9rocsparseL41csrgemm_numeric_fill_block_per_row_kernelILj256ELj32ELj512ELj137ELj32Ell21rocsparse_complex_numIfEEEvT5_PKS3_S5_NS_24const_host_device_scalarIT6_EEPKT4_S5_PKS7_SB_S5_SD_S8_SB_S5_SD_SB_S5_PS7_21rocsparse_index_base_SF_SF_SF_bbb, .Lfunc_end124-_ZN9rocsparseL41csrgemm_numeric_fill_block_per_row_kernelILj256ELj32ELj512ELj137ELj32Ell21rocsparse_complex_numIfEEEvT5_PKS3_S5_NS_24const_host_device_scalarIT6_EEPKT4_S5_PKS7_SB_S5_SD_S8_SB_S5_SD_SB_S5_PS7_21rocsparse_index_base_SF_SF_SF_bbb
                                        ; -- End function
	.set _ZN9rocsparseL41csrgemm_numeric_fill_block_per_row_kernelILj256ELj32ELj512ELj137ELj32Ell21rocsparse_complex_numIfEEEvT5_PKS3_S5_NS_24const_host_device_scalarIT6_EEPKT4_S5_PKS7_SB_S5_SD_S8_SB_S5_SD_SB_S5_PS7_21rocsparse_index_base_SF_SF_SF_bbb.num_vgpr, 40
	.set _ZN9rocsparseL41csrgemm_numeric_fill_block_per_row_kernelILj256ELj32ELj512ELj137ELj32Ell21rocsparse_complex_numIfEEEvT5_PKS3_S5_NS_24const_host_device_scalarIT6_EEPKT4_S5_PKS7_SB_S5_SD_S8_SB_S5_SD_SB_S5_PS7_21rocsparse_index_base_SF_SF_SF_bbb.num_agpr, 0
	.set _ZN9rocsparseL41csrgemm_numeric_fill_block_per_row_kernelILj256ELj32ELj512ELj137ELj32Ell21rocsparse_complex_numIfEEEvT5_PKS3_S5_NS_24const_host_device_scalarIT6_EEPKT4_S5_PKS7_SB_S5_SD_S8_SB_S5_SD_SB_S5_PS7_21rocsparse_index_base_SF_SF_SF_bbb.numbered_sgpr, 62
	.set _ZN9rocsparseL41csrgemm_numeric_fill_block_per_row_kernelILj256ELj32ELj512ELj137ELj32Ell21rocsparse_complex_numIfEEEvT5_PKS3_S5_NS_24const_host_device_scalarIT6_EEPKT4_S5_PKS7_SB_S5_SD_S8_SB_S5_SD_SB_S5_PS7_21rocsparse_index_base_SF_SF_SF_bbb.num_named_barrier, 0
	.set _ZN9rocsparseL41csrgemm_numeric_fill_block_per_row_kernelILj256ELj32ELj512ELj137ELj32Ell21rocsparse_complex_numIfEEEvT5_PKS3_S5_NS_24const_host_device_scalarIT6_EEPKT4_S5_PKS7_SB_S5_SD_S8_SB_S5_SD_SB_S5_PS7_21rocsparse_index_base_SF_SF_SF_bbb.private_seg_size, 0
	.set _ZN9rocsparseL41csrgemm_numeric_fill_block_per_row_kernelILj256ELj32ELj512ELj137ELj32Ell21rocsparse_complex_numIfEEEvT5_PKS3_S5_NS_24const_host_device_scalarIT6_EEPKT4_S5_PKS7_SB_S5_SD_S8_SB_S5_SD_SB_S5_PS7_21rocsparse_index_base_SF_SF_SF_bbb.uses_vcc, 1
	.set _ZN9rocsparseL41csrgemm_numeric_fill_block_per_row_kernelILj256ELj32ELj512ELj137ELj32Ell21rocsparse_complex_numIfEEEvT5_PKS3_S5_NS_24const_host_device_scalarIT6_EEPKT4_S5_PKS7_SB_S5_SD_S8_SB_S5_SD_SB_S5_PS7_21rocsparse_index_base_SF_SF_SF_bbb.uses_flat_scratch, 0
	.set _ZN9rocsparseL41csrgemm_numeric_fill_block_per_row_kernelILj256ELj32ELj512ELj137ELj32Ell21rocsparse_complex_numIfEEEvT5_PKS3_S5_NS_24const_host_device_scalarIT6_EEPKT4_S5_PKS7_SB_S5_SD_S8_SB_S5_SD_SB_S5_PS7_21rocsparse_index_base_SF_SF_SF_bbb.has_dyn_sized_stack, 0
	.set _ZN9rocsparseL41csrgemm_numeric_fill_block_per_row_kernelILj256ELj32ELj512ELj137ELj32Ell21rocsparse_complex_numIfEEEvT5_PKS3_S5_NS_24const_host_device_scalarIT6_EEPKT4_S5_PKS7_SB_S5_SD_S8_SB_S5_SD_SB_S5_PS7_21rocsparse_index_base_SF_SF_SF_bbb.has_recursion, 0
	.set _ZN9rocsparseL41csrgemm_numeric_fill_block_per_row_kernelILj256ELj32ELj512ELj137ELj32Ell21rocsparse_complex_numIfEEEvT5_PKS3_S5_NS_24const_host_device_scalarIT6_EEPKT4_S5_PKS7_SB_S5_SD_S8_SB_S5_SD_SB_S5_PS7_21rocsparse_index_base_SF_SF_SF_bbb.has_indirect_call, 0
	.section	.AMDGPU.csdata,"",@progbits
; Kernel info:
; codeLenInByte = 2908
; TotalNumSgprs: 68
; NumVgprs: 40
; NumAgprs: 0
; TotalNumVgprs: 40
; ScratchSize: 0
; MemoryBound: 0
; FloatMode: 240
; IeeeMode: 1
; LDSByteSize: 0 bytes/workgroup (compile time only)
; SGPRBlocks: 8
; VGPRBlocks: 4
; NumSGPRsForWavesPerEU: 68
; NumVGPRsForWavesPerEU: 40
; AccumOffset: 40
; Occupancy: 8
; WaveLimiterHint : 1
; COMPUTE_PGM_RSRC2:SCRATCH_EN: 0
; COMPUTE_PGM_RSRC2:USER_SGPR: 2
; COMPUTE_PGM_RSRC2:TRAP_HANDLER: 0
; COMPUTE_PGM_RSRC2:TGID_X_EN: 1
; COMPUTE_PGM_RSRC2:TGID_Y_EN: 0
; COMPUTE_PGM_RSRC2:TGID_Z_EN: 0
; COMPUTE_PGM_RSRC2:TIDIG_COMP_CNT: 0
; COMPUTE_PGM_RSRC3_GFX90A:ACCUM_OFFSET: 9
; COMPUTE_PGM_RSRC3_GFX90A:TG_SPLIT: 0
	.section	.text._ZN9rocsparseL41csrgemm_numeric_fill_block_per_row_kernelILj256ELj32ELj512ELj137ELj64Ell21rocsparse_complex_numIfEEEvT5_PKS3_S5_NS_24const_host_device_scalarIT6_EEPKT4_S5_PKS7_SB_S5_SD_S8_SB_S5_SD_SB_S5_PS7_21rocsparse_index_base_SF_SF_SF_bbb,"axG",@progbits,_ZN9rocsparseL41csrgemm_numeric_fill_block_per_row_kernelILj256ELj32ELj512ELj137ELj64Ell21rocsparse_complex_numIfEEEvT5_PKS3_S5_NS_24const_host_device_scalarIT6_EEPKT4_S5_PKS7_SB_S5_SD_S8_SB_S5_SD_SB_S5_PS7_21rocsparse_index_base_SF_SF_SF_bbb,comdat
	.globl	_ZN9rocsparseL41csrgemm_numeric_fill_block_per_row_kernelILj256ELj32ELj512ELj137ELj64Ell21rocsparse_complex_numIfEEEvT5_PKS3_S5_NS_24const_host_device_scalarIT6_EEPKT4_S5_PKS7_SB_S5_SD_S8_SB_S5_SD_SB_S5_PS7_21rocsparse_index_base_SF_SF_SF_bbb ; -- Begin function _ZN9rocsparseL41csrgemm_numeric_fill_block_per_row_kernelILj256ELj32ELj512ELj137ELj64Ell21rocsparse_complex_numIfEEEvT5_PKS3_S5_NS_24const_host_device_scalarIT6_EEPKT4_S5_PKS7_SB_S5_SD_S8_SB_S5_SD_SB_S5_PS7_21rocsparse_index_base_SF_SF_SF_bbb
	.p2align	8
	.type	_ZN9rocsparseL41csrgemm_numeric_fill_block_per_row_kernelILj256ELj32ELj512ELj137ELj64Ell21rocsparse_complex_numIfEEEvT5_PKS3_S5_NS_24const_host_device_scalarIT6_EEPKT4_S5_PKS7_SB_S5_SD_S8_SB_S5_SD_SB_S5_PS7_21rocsparse_index_base_SF_SF_SF_bbb,@function
_ZN9rocsparseL41csrgemm_numeric_fill_block_per_row_kernelILj256ELj32ELj512ELj137ELj64Ell21rocsparse_complex_numIfEEEvT5_PKS3_S5_NS_24const_host_device_scalarIT6_EEPKT4_S5_PKS7_SB_S5_SD_S8_SB_S5_SD_SB_S5_PS7_21rocsparse_index_base_SF_SF_SF_bbb: ; @_ZN9rocsparseL41csrgemm_numeric_fill_block_per_row_kernelILj256ELj32ELj512ELj137ELj64Ell21rocsparse_complex_numIfEEEvT5_PKS3_S5_NS_24const_host_device_scalarIT6_EEPKT4_S5_PKS7_SB_S5_SD_S8_SB_S5_SD_SB_S5_PS7_21rocsparse_index_base_SF_SF_SF_bbb
; %bb.0:
	s_load_dwordx2 s[40:41], s[0:1], 0x70
	s_load_dwordx4 s[24:27], s[0:1], 0x50
	s_load_dword s3, s[0:1], 0x98
	s_load_dwordx4 s[36:39], s[0:1], 0x8
	s_load_dwordx8 s[8:15], s[0:1], 0x20
	s_load_dwordx2 s[34:35], s[0:1], 0x80
	s_load_dwordx4 s[16:19], s[0:1], 0x88
	s_waitcnt lgkmcnt(0)
	s_bitcmp1_b32 s3, 0
	s_cselect_b64 s[44:45], -1, 0
	s_bitcmp1_b32 s3, 16
	s_cselect_b64 s[4:5], -1, 0
	s_xor_b64 s[4:5], s[4:5], -1
	v_cndmask_b32_e64 v1, 0, 1, s[4:5]
	s_mov_b32 s7, 0
	s_bitcmp0_b32 s3, 0
	v_cmp_ne_u32_e64 s[4:5], 1, v1
	s_mov_b32 s61, 0
	s_cbranch_scc1 .LBB125_5
; %bb.1:
	s_load_dwordx2 s[6:7], s[0:1], 0x18
	s_and_b64 vcc, exec, s[4:5]
	s_waitcnt lgkmcnt(0)
	s_mov_b32 s61, s6
	s_cbranch_vccnz .LBB125_3
; %bb.2:
	s_load_dword s61, s[6:7], 0x0
.LBB125_3:
	s_and_b64 vcc, exec, s[4:5]
	s_cbranch_vccnz .LBB125_5
; %bb.4:
	s_load_dword s7, s[6:7], 0x4
.LBB125_5:
	s_nop 0
	s_load_dwordx4 s[20:23], s[0:1], 0x60
	s_load_dwordx4 s[28:31], s[0:1], 0x40
	s_bitcmp1_b32 s3, 8
	s_cselect_b64 s[42:43], -1, 0
	s_bfe_u32 s3, s3, 0x10008
	s_mov_b32 s33, 0
	s_cmp_eq_u32 s3, 0
	s_mov_b32 s60, 0
	s_cbranch_scc1 .LBB125_11
; %bb.6:
	s_and_b64 vcc, exec, s[4:5]
	s_mov_b32 s33, s24
	s_cbranch_vccnz .LBB125_8
; %bb.7:
	s_load_dword s33, s[24:25], 0x0
.LBB125_8:
	s_and_b64 vcc, exec, s[4:5]
	s_cbranch_vccnz .LBB125_10
; %bb.9:
	s_load_dword s25, s[24:25], 0x4
.LBB125_10:
	s_waitcnt lgkmcnt(0)
	s_mov_b32 s60, s25
.LBB125_11:
	s_load_dwordx2 s[24:25], s[0:1], 0x0
	s_movk_i32 s0, 0x200
	v_cmp_gt_u32_e64 s[0:1], s0, v0
	v_lshl_add_u32 v1, v0, 3, 0
	s_and_saveexec_b64 s[4:5], s[0:1]
	s_cbranch_execz .LBB125_14
; %bb.12:
	v_or_b32_e32 v2, 0xffffff00, v0
	v_lshl_add_u32 v3, v0, 3, 0
	s_mov_b64 s[46:47], 0
	s_waitcnt lgkmcnt(0)
	v_mov_b64_e32 v[6:7], s[24:25]
	v_mov_b32_e32 v4, 0
.LBB125_13:                             ; =>This Inner Loop Header: Depth=1
	v_add_co_u32_e32 v2, vcc, 0x100, v2
	s_xor_b64 s[48:49], vcc, -1
	s_and_b64 s[48:49], exec, s[48:49]
	ds_write_b64 v3, v[6:7]
	v_add_u32_e32 v5, 0x1000, v3
	v_add_u32_e32 v3, 0x800, v3
	s_or_b64 s[46:47], s[48:49], s[46:47]
	ds_write2_b32 v5, v4, v4 offset1:1
	s_andn2_b64 exec, exec, s[46:47]
	s_cbranch_execnz .LBB125_13
.LBB125_14:
	s_or_b64 exec, exec, s[4:5]
	s_waitcnt lgkmcnt(0)
	s_barrier
	s_load_dwordx2 s[4:5], s[36:37], 0x0
	s_mov_b32 s3, 0
	s_waitcnt lgkmcnt(0)
	s_lshl_b64 s[4:5], s[4:5], 3
	s_add_u32 s4, s38, s4
	s_addc_u32 s5, s39, s5
	s_lshl_b64 s[2:3], s[2:3], 3
	s_add_u32 s2, s4, s2
	s_addc_u32 s3, s5, s3
	s_load_dwordx2 s[36:37], s[2:3], 0x0
	s_and_b64 vcc, exec, s[44:45]
	s_cbranch_vccz .LBB125_34
; %bb.15:
	s_waitcnt lgkmcnt(0)
	s_lshl_b64 s[2:3], s[36:37], 3
	s_add_u32 s2, s8, s2
	s_addc_u32 s3, s9, s3
	s_load_dwordx4 s[44:47], s[2:3], 0x0
	v_lshrrev_b32_e32 v2, 5, v0
	v_subrev_co_u32_e32 v2, vcc, s16, v2
	s_waitcnt lgkmcnt(0)
	s_sub_u32 s2, s46, s16
	v_subb_co_u32_e64 v3, s[4:5], 0, 0, vcc
	s_subb_u32 s3, s47, 0
	v_lshl_add_u64 v[2:3], s[44:45], 0, v[2:3]
	v_cmp_gt_i64_e32 vcc, s[2:3], v[2:3]
	s_and_saveexec_b64 s[4:5], vcc
	s_cbranch_execz .LBB125_33
; %bb.16:
	v_and_b32_e32 v4, 31, v0
	v_subrev_co_u32_e32 v4, vcc, s17, v4
	s_mov_b32 s6, s17
	s_nop 0
	v_subb_co_u32_e64 v5, s[8:9], 0, 0, vcc
	s_mov_b64 s[8:9], 0
	s_movk_i32 s17, 0x89
	s_branch .LBB125_18
.LBB125_17:                             ;   in Loop: Header=BB125_18 Depth=1
	s_or_b64 exec, exec, s[38:39]
	v_lshl_add_u64 v[2:3], v[2:3], 0, 8
	v_cmp_le_i64_e32 vcc, s[2:3], v[2:3]
	s_or_b64 s[8:9], vcc, s[8:9]
	s_andn2_b64 exec, exec, s[8:9]
	s_cbranch_execz .LBB125_33
.LBB125_18:                             ; =>This Loop Header: Depth=1
                                        ;     Child Loop BB125_22 Depth 2
                                        ;       Child Loop BB125_25 Depth 3
	v_lshl_add_u64 v[6:7], v[2:3], 3, s[10:11]
	global_load_dwordx2 v[6:7], v[6:7], off
	s_waitcnt vmcnt(0)
	v_subrev_co_u32_e32 v6, vcc, s16, v6
	s_nop 1
	v_subbrev_co_u32_e32 v7, vcc, 0, v7, vcc
	v_lshl_add_u64 v[6:7], v[6:7], 3, s[14:15]
	global_load_dwordx4 v[8:11], v[6:7], off
	s_waitcnt vmcnt(0)
	v_subrev_co_u32_e32 v6, vcc, s6, v10
	s_nop 1
	v_subbrev_co_u32_e32 v7, vcc, 0, v11, vcc
	v_lshl_add_u64 v[8:9], v[8:9], 0, v[4:5]
	v_cmp_lt_i64_e32 vcc, v[8:9], v[6:7]
	s_and_saveexec_b64 s[38:39], vcc
	s_cbranch_execz .LBB125_17
; %bb.19:                               ;   in Loop: Header=BB125_18 Depth=1
	v_lshl_add_u64 v[10:11], v[2:3], 3, s[12:13]
	global_load_dwordx2 v[10:11], v[10:11], off
	s_mov_b64 s[44:45], 0
	s_waitcnt vmcnt(0)
	v_mul_f32_e64 v20, v11, -s7
	v_mul_f32_e32 v21, s61, v11
	v_fmac_f32_e32 v20, s61, v10
	v_fmac_f32_e32 v21, s7, v10
	s_branch .LBB125_22
.LBB125_20:                             ;   in Loop: Header=BB125_22 Depth=2
	s_or_b64 exec, exec, s[48:49]
.LBB125_21:                             ;   in Loop: Header=BB125_22 Depth=2
	s_or_b64 exec, exec, s[46:47]
	s_waitcnt vmcnt(0)
	v_mul_f32_e64 v13, v11, -v21
	v_mul_f32_e32 v11, v20, v11
	v_fmac_f32_e32 v13, v20, v10
	v_fmac_f32_e32 v11, v21, v10
	v_lshl_add_u32 v10, v12, 3, 0
	ds_add_f32 v10, v13 offset:4096
	ds_add_f32 v10, v11 offset:4100
	v_lshl_add_u64 v[8:9], v[8:9], 0, 32
	v_cmp_ge_i64_e32 vcc, v[8:9], v[6:7]
	s_or_b64 s[44:45], vcc, s[44:45]
	s_andn2_b64 exec, exec, s[44:45]
	s_cbranch_execz .LBB125_17
.LBB125_22:                             ;   Parent Loop BB125_18 Depth=1
                                        ; =>  This Loop Header: Depth=2
                                        ;       Child Loop BB125_25 Depth 3
	v_lshlrev_b64 v[10:11], 3, v[8:9]
	v_lshl_add_u64 v[12:13], s[28:29], 0, v[10:11]
	global_load_dwordx2 v[12:13], v[12:13], off
	v_lshl_add_u64 v[10:11], s[30:31], 0, v[10:11]
	global_load_dwordx2 v[10:11], v[10:11], off
	s_waitcnt vmcnt(1)
	v_subrev_co_u32_e32 v14, vcc, s6, v12
	v_mul_lo_u32 v12, v14, s17
	v_and_b32_e32 v12, 0x1ff, v12
	v_lshl_add_u32 v22, v12, 3, 0
	ds_read_b64 v[18:19], v22
	v_subbrev_co_u32_e32 v15, vcc, 0, v13, vcc
	s_waitcnt lgkmcnt(0)
	v_cmp_ne_u64_e32 vcc, v[18:19], v[14:15]
	s_and_saveexec_b64 s[46:47], vcc
	s_cbranch_execz .LBB125_21
; %bb.23:                               ;   in Loop: Header=BB125_22 Depth=2
	s_mov_b64 s[48:49], 0
                                        ; implicit-def: $sgpr50_sgpr51
                                        ; implicit-def: $sgpr52_sgpr53
	s_branch .LBB125_25
.LBB125_24:                             ;   in Loop: Header=BB125_25 Depth=3
	s_or_b64 exec, exec, s[58:59]
	s_and_b64 s[54:55], exec, s[56:57]
	s_or_b64 s[48:49], s[54:55], s[48:49]
	s_andn2_b64 s[50:51], s[50:51], exec
	s_and_b64 s[54:55], s[52:53], exec
	s_or_b64 s[50:51], s[50:51], s[54:55]
	s_andn2_b64 exec, exec, s[48:49]
	s_cbranch_execz .LBB125_31
.LBB125_25:                             ;   Parent Loop BB125_18 Depth=1
                                        ;     Parent Loop BB125_22 Depth=2
                                        ; =>    This Inner Loop Header: Depth=3
	v_mov_b64_e32 v[16:17], v[12:13]
	v_cmp_ne_u64_e32 vcc, s[24:25], v[18:19]
	s_mov_b64 s[54:55], 0
                                        ; implicit-def: $vgpr12_vgpr13
	s_and_saveexec_b64 s[56:57], vcc
	s_xor_b64 s[56:57], exec, s[56:57]
; %bb.26:                               ;   in Loop: Header=BB125_25 Depth=3
	v_add_u32_e32 v12, 1, v16
	s_mov_b64 s[54:55], exec
	v_and_b32_e32 v12, 0x1ff, v12
                                        ; implicit-def: $vgpr22
; %bb.27:                               ;   in Loop: Header=BB125_25 Depth=3
	s_andn2_saveexec_b64 s[56:57], s[56:57]
	s_cbranch_execz .LBB125_29
; %bb.28:                               ;   in Loop: Header=BB125_25 Depth=3
	v_mov_b64_e32 v[12:13], s[24:25]
	ds_cmpst_rtn_b64 v[12:13], v22, v[12:13], v[14:15]
	s_andn2_b64 s[54:55], s[54:55], exec
	s_waitcnt lgkmcnt(0)
	v_cmp_ne_u64_e32 vcc, s[24:25], v[12:13]
	s_and_b64 s[58:59], vcc, exec
	s_or_b64 s[54:55], s[54:55], s[58:59]
	v_mov_b64_e32 v[12:13], v[16:17]
.LBB125_29:                             ;   in Loop: Header=BB125_25 Depth=3
	s_or_b64 exec, exec, s[56:57]
	s_mov_b64 s[56:57], -1
	s_or_b64 s[52:53], s[52:53], exec
                                        ; implicit-def: $vgpr22
                                        ; implicit-def: $vgpr18_vgpr19
	s_and_saveexec_b64 s[58:59], s[54:55]
	s_cbranch_execz .LBB125_24
; %bb.30:                               ;   in Loop: Header=BB125_25 Depth=3
	v_lshl_add_u32 v22, v12, 3, 0
	ds_read_b64 v[18:19], v22
	s_andn2_b64 s[52:53], s[52:53], exec
	s_waitcnt lgkmcnt(0)
	v_cmp_eq_u64_e32 vcc, v[18:19], v[14:15]
	s_orn2_b64 s[56:57], vcc, exec
	s_branch .LBB125_24
.LBB125_31:                             ;   in Loop: Header=BB125_22 Depth=2
	s_or_b64 exec, exec, s[48:49]
	s_and_saveexec_b64 s[48:49], s[50:51]
	s_xor_b64 s[48:49], exec, s[48:49]
	s_cbranch_execz .LBB125_20
; %bb.32:                               ;   in Loop: Header=BB125_22 Depth=2
	v_mov_b32_e32 v12, v16
	s_branch .LBB125_20
.LBB125_33:
	s_or_b64 exec, exec, s[4:5]
.LBB125_34:
	s_andn2_b64 vcc, exec, s[42:43]
	s_cbranch_vccnz .LBB125_51
; %bb.35:
	s_waitcnt lgkmcnt(0)
	s_lshl_b64 s[2:3], s[36:37], 3
	s_add_u32 s2, s26, s2
	s_addc_u32 s3, s27, s3
	s_load_dwordx4 s[4:7], s[2:3], 0x0
	v_subrev_co_u32_e32 v2, vcc, s19, v0
	s_waitcnt lgkmcnt(0)
	s_sub_u32 s2, s6, s19
	s_subb_u32 s3, s7, 0
	v_subb_co_u32_e64 v3, s[6:7], 0, 0, vcc
	v_lshl_add_u64 v[2:3], s[4:5], 0, v[2:3]
	v_cmp_gt_i64_e32 vcc, s[2:3], v[2:3]
	s_and_saveexec_b64 s[4:5], vcc
	s_cbranch_execz .LBB125_50
; %bb.36:
	s_mov_b32 s38, s19
	s_mov_b64 s[6:7], 0
	s_movk_i32 s19, 0x89
	s_mov_b64 s[8:9], 0x100
	s_branch .LBB125_39
.LBB125_37:                             ;   in Loop: Header=BB125_39 Depth=1
	s_or_b64 exec, exec, s[12:13]
.LBB125_38:                             ;   in Loop: Header=BB125_39 Depth=1
	s_or_b64 exec, exec, s[10:11]
	s_waitcnt vmcnt(0)
	v_mul_f32_e64 v7, v5, -s60
	v_mul_f32_e32 v5, s33, v5
	v_fmac_f32_e32 v7, s33, v4
	v_fmac_f32_e32 v5, s60, v4
	v_lshl_add_u32 v4, v6, 3, 0
	ds_add_f32 v4, v7 offset:4096
	ds_add_f32 v4, v5 offset:4100
	v_lshl_add_u64 v[2:3], v[2:3], 0, s[8:9]
	v_cmp_le_i64_e32 vcc, s[2:3], v[2:3]
	s_or_b64 s[6:7], vcc, s[6:7]
	s_andn2_b64 exec, exec, s[6:7]
	s_cbranch_execz .LBB125_50
.LBB125_39:                             ; =>This Loop Header: Depth=1
                                        ;     Child Loop BB125_42 Depth 2
	v_lshlrev_b64 v[4:5], 3, v[2:3]
	v_lshl_add_u64 v[6:7], s[20:21], 0, v[4:5]
	global_load_dwordx2 v[6:7], v[6:7], off
	v_lshl_add_u64 v[4:5], s[22:23], 0, v[4:5]
	global_load_dwordx2 v[4:5], v[4:5], off
	s_waitcnt vmcnt(1)
	v_subrev_co_u32_e32 v8, vcc, s38, v6
	v_mul_lo_u32 v6, v8, s19
	v_and_b32_e32 v6, 0x1ff, v6
	v_lshl_add_u32 v14, v6, 3, 0
	ds_read_b64 v[12:13], v14
	v_subbrev_co_u32_e32 v9, vcc, 0, v7, vcc
	s_waitcnt lgkmcnt(0)
	v_cmp_ne_u64_e32 vcc, v[12:13], v[8:9]
	s_and_saveexec_b64 s[10:11], vcc
	s_cbranch_execz .LBB125_38
; %bb.40:                               ;   in Loop: Header=BB125_39 Depth=1
	s_mov_b64 s[12:13], 0
                                        ; implicit-def: $sgpr14_sgpr15
                                        ; implicit-def: $sgpr16_sgpr17
	s_branch .LBB125_42
.LBB125_41:                             ;   in Loop: Header=BB125_42 Depth=2
	s_or_b64 exec, exec, s[30:31]
	s_and_b64 s[26:27], exec, s[28:29]
	s_or_b64 s[12:13], s[26:27], s[12:13]
	s_andn2_b64 s[14:15], s[14:15], exec
	s_and_b64 s[26:27], s[16:17], exec
	s_or_b64 s[14:15], s[14:15], s[26:27]
	s_andn2_b64 exec, exec, s[12:13]
	s_cbranch_execz .LBB125_48
.LBB125_42:                             ;   Parent Loop BB125_39 Depth=1
                                        ; =>  This Inner Loop Header: Depth=2
	v_mov_b64_e32 v[10:11], v[6:7]
	v_cmp_ne_u64_e32 vcc, s[24:25], v[12:13]
	s_mov_b64 s[26:27], 0
                                        ; implicit-def: $vgpr6_vgpr7
	s_and_saveexec_b64 s[28:29], vcc
	s_xor_b64 s[28:29], exec, s[28:29]
; %bb.43:                               ;   in Loop: Header=BB125_42 Depth=2
	v_add_u32_e32 v6, 1, v10
	s_mov_b64 s[26:27], exec
	v_and_b32_e32 v6, 0x1ff, v6
                                        ; implicit-def: $vgpr14
; %bb.44:                               ;   in Loop: Header=BB125_42 Depth=2
	s_andn2_saveexec_b64 s[28:29], s[28:29]
	s_cbranch_execz .LBB125_46
; %bb.45:                               ;   in Loop: Header=BB125_42 Depth=2
	v_mov_b64_e32 v[6:7], s[24:25]
	ds_cmpst_rtn_b64 v[6:7], v14, v[6:7], v[8:9]
	s_andn2_b64 s[26:27], s[26:27], exec
	s_waitcnt lgkmcnt(0)
	v_cmp_ne_u64_e32 vcc, s[24:25], v[6:7]
	s_and_b64 s[30:31], vcc, exec
	s_or_b64 s[26:27], s[26:27], s[30:31]
	v_mov_b64_e32 v[6:7], v[10:11]
.LBB125_46:                             ;   in Loop: Header=BB125_42 Depth=2
	s_or_b64 exec, exec, s[28:29]
	s_mov_b64 s[28:29], -1
	s_or_b64 s[16:17], s[16:17], exec
                                        ; implicit-def: $vgpr14
                                        ; implicit-def: $vgpr12_vgpr13
	s_and_saveexec_b64 s[30:31], s[26:27]
	s_cbranch_execz .LBB125_41
; %bb.47:                               ;   in Loop: Header=BB125_42 Depth=2
	v_lshl_add_u32 v14, v6, 3, 0
	ds_read_b64 v[12:13], v14
	s_andn2_b64 s[16:17], s[16:17], exec
	s_waitcnt lgkmcnt(0)
	v_cmp_eq_u64_e32 vcc, v[12:13], v[8:9]
	s_orn2_b64 s[28:29], vcc, exec
	s_branch .LBB125_41
.LBB125_48:                             ;   in Loop: Header=BB125_39 Depth=1
	s_or_b64 exec, exec, s[12:13]
	s_and_saveexec_b64 s[12:13], s[14:15]
	s_xor_b64 s[12:13], exec, s[12:13]
	s_cbranch_execz .LBB125_37
; %bb.49:                               ;   in Loop: Header=BB125_39 Depth=1
	v_mov_b32_e32 v6, v10
	s_branch .LBB125_37
.LBB125_50:
	s_or_b64 exec, exec, s[4:5]
.LBB125_51:
	s_waitcnt lgkmcnt(0)
	s_barrier
	s_and_saveexec_b64 s[8:9], s[0:1]
	s_cbranch_execz .LBB125_64
; %bb.52:
	v_mbcnt_lo_u32_b32 v2, -1, 0
	v_mbcnt_hi_u32_b32 v2, -1, v2
	v_sub_u32_e32 v2, 63, v2
	v_lshrrev_b64 v[4:5], v2, -1
	v_lshrrev_b32_e32 v2, 3, v0
	v_and_b32_e32 v2, 24, v2
	s_movk_i32 s0, 0xff
	s_movk_i32 s4, 0x7f
	;; [unrolled: 1-line block ×3, first 2 shown]
	v_mov_b32_e32 v3, 0
	v_add_u32_e32 v14, 0, v2
	v_cmp_eq_u32_e64 s[0:1], s0, v0
	v_cmp_lt_u32_e64 s[2:3], 63, v0
	v_cmp_lt_u32_e64 s[4:5], s4, v0
	;; [unrolled: 1-line block ×3, first 2 shown]
	v_or_b32_e32 v15, 0xffffff00, v0
	s_mov_b64 s[10:11], 0
	v_mov_b64_e32 v[6:7], 0
	s_branch .LBB125_54
.LBB125_53:                             ;   in Loop: Header=BB125_54 Depth=1
	s_or_b64 exec, exec, s[12:13]
	s_waitcnt lgkmcnt(0)
	s_barrier
	ds_read_b64 v[8:9], v3 offset:8216
	v_add_co_u32_e32 v15, vcc, 0x100, v15
	s_xor_b64 s[12:13], vcc, -1
	s_and_b64 s[12:13], exec, s[12:13]
	s_waitcnt lgkmcnt(0)
	v_lshl_add_u64 v[6:7], v[8:9], 0, v[6:7]
	s_or_b64 s[10:11], s[12:13], s[10:11]
	v_add_u32_e32 v1, 0x800, v1
	s_andn2_b64 exec, exec, s[10:11]
	s_cbranch_execz .LBB125_64
.LBB125_54:                             ; =>This Inner Loop Header: Depth=1
	ds_read_b64 v[8:9], v1
	v_add_u32_e32 v2, 0x1000, v1
	ds_read2_b32 v[10:11], v2 offset1:1
	s_waitcnt lgkmcnt(0)
	s_barrier
	v_cmp_gt_i64_e32 vcc, s[24:25], v[8:9]
	s_bcnt1_i32_b64 s12, vcc
	v_mov_b32_e32 v2, s12
	v_and_b32_e32 v13, vcc_lo, v4
	v_and_b32_e32 v12, vcc_hi, v5
	v_bcnt_u32_b32 v13, v13, 0
	v_bcnt_u32_b32 v12, v12, v13
	ds_write_b64 v14, v[2:3] offset:8192
	s_waitcnt lgkmcnt(0)
	s_barrier
	s_and_saveexec_b64 s[12:13], s[2:3]
	s_cbranch_execnz .LBB125_59
; %bb.55:                               ;   in Loop: Header=BB125_54 Depth=1
	s_or_b64 exec, exec, s[12:13]
	s_and_saveexec_b64 s[12:13], s[4:5]
	s_cbranch_execnz .LBB125_60
.LBB125_56:                             ;   in Loop: Header=BB125_54 Depth=1
	s_or_b64 exec, exec, s[12:13]
	s_and_saveexec_b64 s[12:13], s[6:7]
	s_cbranch_execnz .LBB125_61
.LBB125_57:                             ;   in Loop: Header=BB125_54 Depth=1
	s_or_b64 exec, exec, s[12:13]
	v_ashrrev_i32_e32 v13, 31, v12
	s_and_saveexec_b64 s[12:13], vcc
	s_cbranch_execnz .LBB125_62
.LBB125_58:                             ;   in Loop: Header=BB125_54 Depth=1
	s_or_b64 exec, exec, s[12:13]
	s_and_saveexec_b64 s[12:13], s[0:1]
	s_cbranch_execz .LBB125_53
	s_branch .LBB125_63
.LBB125_59:                             ;   in Loop: Header=BB125_54 Depth=1
	ds_read_b32 v2, v3 offset:8192
	s_waitcnt lgkmcnt(0)
	v_add_u32_e32 v12, v2, v12
	s_or_b64 exec, exec, s[12:13]
	s_and_saveexec_b64 s[12:13], s[4:5]
	s_cbranch_execz .LBB125_56
.LBB125_60:                             ;   in Loop: Header=BB125_54 Depth=1
	ds_read_b32 v2, v3 offset:8200
	s_waitcnt lgkmcnt(0)
	v_add_u32_e32 v12, v12, v2
	s_or_b64 exec, exec, s[12:13]
	s_and_saveexec_b64 s[12:13], s[6:7]
	s_cbranch_execz .LBB125_57
.LBB125_61:                             ;   in Loop: Header=BB125_54 Depth=1
	ds_read_b32 v2, v3 offset:8208
	s_waitcnt lgkmcnt(0)
	v_add_u32_e32 v12, v12, v2
	s_or_b64 exec, exec, s[12:13]
	v_ashrrev_i32_e32 v13, 31, v12
	s_and_saveexec_b64 s[12:13], vcc
	s_cbranch_execz .LBB125_58
.LBB125_62:                             ;   in Loop: Header=BB125_54 Depth=1
	v_add3_u32 v2, v6, -1, v12
	v_add_u32_e32 v16, v6, v12
	v_lshl_add_u32 v2, v2, 3, 0
	v_lshl_add_u32 v16, v16, 3, 0
	v_add_u32_e32 v16, 0xff8, v16
	ds_write_b64 v2, v[8:9]
	ds_write2_b32 v16, v10, v11 offset1:1
	s_or_b64 exec, exec, s[12:13]
	s_and_saveexec_b64 s[12:13], s[0:1]
	s_cbranch_execz .LBB125_53
.LBB125_63:                             ;   in Loop: Header=BB125_54 Depth=1
	ds_write_b64 v3, v[12:13] offset:8216
	s_branch .LBB125_53
.LBB125_64:
	s_or_b64 exec, exec, s[8:9]
	s_lshl_b64 s[0:1], s[36:37], 3
	s_add_u32 s4, s40, s0
	s_addc_u32 s5, s41, s1
	s_load_dwordx4 s[0:3], s[4:5], 0x0
	v_mov_b32_e32 v1, 0
	s_waitcnt lgkmcnt(0)
	s_sub_u32 s4, s2, s0
	s_subb_u32 s5, s3, s1
	v_cmp_gt_i64_e32 vcc, s[4:5], v[0:1]
	s_and_saveexec_b64 s[6:7], vcc
	s_cbranch_execz .LBB125_74
; %bb.65:
	s_sub_u32 s8, s0, s18
	s_subb_u32 s9, s1, 0
	s_and_b32 s6, s4, 7
	s_sub_u32 s0, s0, s2
	s_mov_b32 s7, 0
	s_subb_u32 s1, s1, s3
	s_and_b32 s10, s4, -8
	s_cmp_lg_u64 s[6:7], 0
	v_cmp_lt_u64_e64 s[0:1], s[0:1], -7
	s_cselect_b64 s[2:3], -1, 0
	s_mov_b32 s11, s5
	v_cndmask_b32_e64 v2, 0, 1, s[0:1]
	v_cmp_ne_u32_e64 s[0:1], 1, v2
	v_cndmask_b32_e64 v2, 0, 1, s[2:3]
	s_mov_b64 s[12:13], 0
	v_cmp_ne_u32_e64 s[2:3], 1, v2
	s_mov_b64 s[14:15], 0x100
	s_branch .LBB125_67
.LBB125_66:                             ;   in Loop: Header=BB125_67 Depth=1
	v_lshl_add_u64 v[0:1], v[0:1], 0, s[14:15]
	v_cmp_le_i64_e32 vcc, s[4:5], v[0:1]
	s_waitcnt lgkmcnt(1)
	v_lshl_add_u64 v[4:5], v[6:7], 3, s[34:35]
	s_or_b64 s[12:13], vcc, s[12:13]
	s_waitcnt lgkmcnt(0)
	global_store_dwordx2 v[4:5], v[2:3], off
	s_andn2_b64 exec, exec, s[12:13]
	s_cbranch_execz .LBB125_74
.LBB125_67:                             ; =>This Loop Header: Depth=1
                                        ;     Child Loop BB125_69 Depth 2
                                        ;     Child Loop BB125_73 Depth 2
	v_lshl_add_u32 v2, v0, 3, 0
	v_add_u32_e32 v3, 0x1000, v2
	ds_read_b64 v[4:5], v2
	ds_read2_b32 v[2:3], v3 offset1:1
	s_and_b64 vcc, exec, s[0:1]
	v_mov_b64_e32 v[6:7], s[8:9]
	s_mov_b64 s[16:17], 0
	s_cbranch_vccnz .LBB125_71
; %bb.68:                               ;   in Loop: Header=BB125_67 Depth=1
	s_mov_b32 s18, 0
	v_mov_b64_e32 v[6:7], s[8:9]
.LBB125_69:                             ;   Parent Loop BB125_67 Depth=1
                                        ; =>  This Inner Loop Header: Depth=2
	v_mov_b32_e32 v20, s18
	ds_read2_b64 v[8:11], v20 offset1:1
	ds_read2_b64 v[12:15], v20 offset0:2 offset1:3
	ds_read2_b64 v[16:19], v20 offset0:4 offset1:5
	;; [unrolled: 1-line block ×3, first 2 shown]
	v_mov_b32_e32 v25, s7
	s_waitcnt lgkmcnt(3)
	v_cmp_gt_i64_e32 vcc, v[4:5], v[8:9]
	v_mov_b32_e32 v27, s7
	v_mov_b32_e32 v29, s7
	v_cndmask_b32_e64 v24, 0, 1, vcc
	v_cmp_gt_i64_e32 vcc, v[4:5], v[10:11]
	v_lshl_add_u64 v[6:7], v[6:7], 0, v[24:25]
	v_mov_b32_e32 v31, s7
	v_cndmask_b32_e64 v26, 0, 1, vcc
	s_waitcnt lgkmcnt(2)
	v_cmp_gt_i64_e32 vcc, v[4:5], v[12:13]
	v_lshl_add_u64 v[6:7], v[6:7], 0, v[26:27]
	v_mov_b32_e32 v33, s7
	v_cndmask_b32_e64 v28, 0, 1, vcc
	v_cmp_gt_i64_e32 vcc, v[4:5], v[14:15]
	v_lshl_add_u64 v[6:7], v[6:7], 0, v[28:29]
	v_mov_b32_e32 v35, s7
	v_cndmask_b32_e64 v30, 0, 1, vcc
	s_waitcnt lgkmcnt(1)
	v_cmp_gt_i64_e32 vcc, v[4:5], v[16:17]
	v_lshl_add_u64 v[6:7], v[6:7], 0, v[30:31]
	v_mov_b32_e32 v37, s7
	v_cndmask_b32_e64 v32, 0, 1, vcc
	v_cmp_gt_i64_e32 vcc, v[4:5], v[18:19]
	v_lshl_add_u64 v[6:7], v[6:7], 0, v[32:33]
	s_add_u32 s16, s16, 8
	v_cndmask_b32_e64 v34, 0, 1, vcc
	s_waitcnt lgkmcnt(0)
	v_cmp_gt_i64_e32 vcc, v[4:5], v[20:21]
	v_lshl_add_u64 v[6:7], v[6:7], 0, v[34:35]
	v_mov_b32_e32 v39, s7
	v_cndmask_b32_e64 v36, 0, 1, vcc
	v_cmp_gt_i64_e32 vcc, v[4:5], v[22:23]
	s_addc_u32 s17, s17, 0
	s_add_i32 s18, s18, 64
	v_cndmask_b32_e64 v38, 0, 1, vcc
	v_lshl_add_u64 v[6:7], v[6:7], 0, v[36:37]
	s_cmp_eq_u64 s[10:11], s[16:17]
	v_lshl_add_u64 v[6:7], v[6:7], 0, v[38:39]
	s_cbranch_scc0 .LBB125_69
; %bb.70:                               ;   in Loop: Header=BB125_67 Depth=1
	s_mov_b64 s[16:17], s[10:11]
.LBB125_71:                             ;   in Loop: Header=BB125_67 Depth=1
	s_and_b64 vcc, exec, s[2:3]
	s_cbranch_vccnz .LBB125_66
; %bb.72:                               ;   in Loop: Header=BB125_67 Depth=1
	s_lshl_b32 s16, s16, 3
	s_add_i32 s18, s16, 0
	s_mov_b64 s[16:17], s[6:7]
.LBB125_73:                             ;   Parent Loop BB125_67 Depth=1
                                        ; =>  This Inner Loop Header: Depth=2
	v_mov_b32_e32 v8, s18
	ds_read_b64 v[10:11], v8
	s_add_i32 s18, s18, 8
	s_add_u32 s16, s16, -1
	v_mov_b32_e32 v9, s7
	s_addc_u32 s17, s17, -1
	s_waitcnt lgkmcnt(0)
	v_cmp_gt_i64_e32 vcc, v[4:5], v[10:11]
	s_cmp_lg_u64 s[16:17], 0
	s_nop 0
	v_cndmask_b32_e64 v8, 0, 1, vcc
	v_lshl_add_u64 v[6:7], v[6:7], 0, v[8:9]
	s_cbranch_scc1 .LBB125_73
	s_branch .LBB125_66
.LBB125_74:
	s_endpgm
	.section	.rodata,"a",@progbits
	.p2align	6, 0x0
	.amdhsa_kernel _ZN9rocsparseL41csrgemm_numeric_fill_block_per_row_kernelILj256ELj32ELj512ELj137ELj64Ell21rocsparse_complex_numIfEEEvT5_PKS3_S5_NS_24const_host_device_scalarIT6_EEPKT4_S5_PKS7_SB_S5_SD_S8_SB_S5_SD_SB_S5_PS7_21rocsparse_index_base_SF_SF_SF_bbb
		.amdhsa_group_segment_fixed_size 0
		.amdhsa_private_segment_fixed_size 0
		.amdhsa_kernarg_size 156
		.amdhsa_user_sgpr_count 2
		.amdhsa_user_sgpr_dispatch_ptr 0
		.amdhsa_user_sgpr_queue_ptr 0
		.amdhsa_user_sgpr_kernarg_segment_ptr 1
		.amdhsa_user_sgpr_dispatch_id 0
		.amdhsa_user_sgpr_kernarg_preload_length 0
		.amdhsa_user_sgpr_kernarg_preload_offset 0
		.amdhsa_user_sgpr_private_segment_size 0
		.amdhsa_uses_dynamic_stack 0
		.amdhsa_enable_private_segment 0
		.amdhsa_system_sgpr_workgroup_id_x 1
		.amdhsa_system_sgpr_workgroup_id_y 0
		.amdhsa_system_sgpr_workgroup_id_z 0
		.amdhsa_system_sgpr_workgroup_info 0
		.amdhsa_system_vgpr_workitem_id 0
		.amdhsa_next_free_vgpr 40
		.amdhsa_next_free_sgpr 62
		.amdhsa_accum_offset 40
		.amdhsa_reserve_vcc 1
		.amdhsa_float_round_mode_32 0
		.amdhsa_float_round_mode_16_64 0
		.amdhsa_float_denorm_mode_32 3
		.amdhsa_float_denorm_mode_16_64 3
		.amdhsa_dx10_clamp 1
		.amdhsa_ieee_mode 1
		.amdhsa_fp16_overflow 0
		.amdhsa_tg_split 0
		.amdhsa_exception_fp_ieee_invalid_op 0
		.amdhsa_exception_fp_denorm_src 0
		.amdhsa_exception_fp_ieee_div_zero 0
		.amdhsa_exception_fp_ieee_overflow 0
		.amdhsa_exception_fp_ieee_underflow 0
		.amdhsa_exception_fp_ieee_inexact 0
		.amdhsa_exception_int_div_zero 0
	.end_amdhsa_kernel
	.section	.text._ZN9rocsparseL41csrgemm_numeric_fill_block_per_row_kernelILj256ELj32ELj512ELj137ELj64Ell21rocsparse_complex_numIfEEEvT5_PKS3_S5_NS_24const_host_device_scalarIT6_EEPKT4_S5_PKS7_SB_S5_SD_S8_SB_S5_SD_SB_S5_PS7_21rocsparse_index_base_SF_SF_SF_bbb,"axG",@progbits,_ZN9rocsparseL41csrgemm_numeric_fill_block_per_row_kernelILj256ELj32ELj512ELj137ELj64Ell21rocsparse_complex_numIfEEEvT5_PKS3_S5_NS_24const_host_device_scalarIT6_EEPKT4_S5_PKS7_SB_S5_SD_S8_SB_S5_SD_SB_S5_PS7_21rocsparse_index_base_SF_SF_SF_bbb,comdat
.Lfunc_end125:
	.size	_ZN9rocsparseL41csrgemm_numeric_fill_block_per_row_kernelILj256ELj32ELj512ELj137ELj64Ell21rocsparse_complex_numIfEEEvT5_PKS3_S5_NS_24const_host_device_scalarIT6_EEPKT4_S5_PKS7_SB_S5_SD_S8_SB_S5_SD_SB_S5_PS7_21rocsparse_index_base_SF_SF_SF_bbb, .Lfunc_end125-_ZN9rocsparseL41csrgemm_numeric_fill_block_per_row_kernelILj256ELj32ELj512ELj137ELj64Ell21rocsparse_complex_numIfEEEvT5_PKS3_S5_NS_24const_host_device_scalarIT6_EEPKT4_S5_PKS7_SB_S5_SD_S8_SB_S5_SD_SB_S5_PS7_21rocsparse_index_base_SF_SF_SF_bbb
                                        ; -- End function
	.set _ZN9rocsparseL41csrgemm_numeric_fill_block_per_row_kernelILj256ELj32ELj512ELj137ELj64Ell21rocsparse_complex_numIfEEEvT5_PKS3_S5_NS_24const_host_device_scalarIT6_EEPKT4_S5_PKS7_SB_S5_SD_S8_SB_S5_SD_SB_S5_PS7_21rocsparse_index_base_SF_SF_SF_bbb.num_vgpr, 40
	.set _ZN9rocsparseL41csrgemm_numeric_fill_block_per_row_kernelILj256ELj32ELj512ELj137ELj64Ell21rocsparse_complex_numIfEEEvT5_PKS3_S5_NS_24const_host_device_scalarIT6_EEPKT4_S5_PKS7_SB_S5_SD_S8_SB_S5_SD_SB_S5_PS7_21rocsparse_index_base_SF_SF_SF_bbb.num_agpr, 0
	.set _ZN9rocsparseL41csrgemm_numeric_fill_block_per_row_kernelILj256ELj32ELj512ELj137ELj64Ell21rocsparse_complex_numIfEEEvT5_PKS3_S5_NS_24const_host_device_scalarIT6_EEPKT4_S5_PKS7_SB_S5_SD_S8_SB_S5_SD_SB_S5_PS7_21rocsparse_index_base_SF_SF_SF_bbb.numbered_sgpr, 62
	.set _ZN9rocsparseL41csrgemm_numeric_fill_block_per_row_kernelILj256ELj32ELj512ELj137ELj64Ell21rocsparse_complex_numIfEEEvT5_PKS3_S5_NS_24const_host_device_scalarIT6_EEPKT4_S5_PKS7_SB_S5_SD_S8_SB_S5_SD_SB_S5_PS7_21rocsparse_index_base_SF_SF_SF_bbb.num_named_barrier, 0
	.set _ZN9rocsparseL41csrgemm_numeric_fill_block_per_row_kernelILj256ELj32ELj512ELj137ELj64Ell21rocsparse_complex_numIfEEEvT5_PKS3_S5_NS_24const_host_device_scalarIT6_EEPKT4_S5_PKS7_SB_S5_SD_S8_SB_S5_SD_SB_S5_PS7_21rocsparse_index_base_SF_SF_SF_bbb.private_seg_size, 0
	.set _ZN9rocsparseL41csrgemm_numeric_fill_block_per_row_kernelILj256ELj32ELj512ELj137ELj64Ell21rocsparse_complex_numIfEEEvT5_PKS3_S5_NS_24const_host_device_scalarIT6_EEPKT4_S5_PKS7_SB_S5_SD_S8_SB_S5_SD_SB_S5_PS7_21rocsparse_index_base_SF_SF_SF_bbb.uses_vcc, 1
	.set _ZN9rocsparseL41csrgemm_numeric_fill_block_per_row_kernelILj256ELj32ELj512ELj137ELj64Ell21rocsparse_complex_numIfEEEvT5_PKS3_S5_NS_24const_host_device_scalarIT6_EEPKT4_S5_PKS7_SB_S5_SD_S8_SB_S5_SD_SB_S5_PS7_21rocsparse_index_base_SF_SF_SF_bbb.uses_flat_scratch, 0
	.set _ZN9rocsparseL41csrgemm_numeric_fill_block_per_row_kernelILj256ELj32ELj512ELj137ELj64Ell21rocsparse_complex_numIfEEEvT5_PKS3_S5_NS_24const_host_device_scalarIT6_EEPKT4_S5_PKS7_SB_S5_SD_S8_SB_S5_SD_SB_S5_PS7_21rocsparse_index_base_SF_SF_SF_bbb.has_dyn_sized_stack, 0
	.set _ZN9rocsparseL41csrgemm_numeric_fill_block_per_row_kernelILj256ELj32ELj512ELj137ELj64Ell21rocsparse_complex_numIfEEEvT5_PKS3_S5_NS_24const_host_device_scalarIT6_EEPKT4_S5_PKS7_SB_S5_SD_S8_SB_S5_SD_SB_S5_PS7_21rocsparse_index_base_SF_SF_SF_bbb.has_recursion, 0
	.set _ZN9rocsparseL41csrgemm_numeric_fill_block_per_row_kernelILj256ELj32ELj512ELj137ELj64Ell21rocsparse_complex_numIfEEEvT5_PKS3_S5_NS_24const_host_device_scalarIT6_EEPKT4_S5_PKS7_SB_S5_SD_S8_SB_S5_SD_SB_S5_PS7_21rocsparse_index_base_SF_SF_SF_bbb.has_indirect_call, 0
	.section	.AMDGPU.csdata,"",@progbits
; Kernel info:
; codeLenInByte = 2704
; TotalNumSgprs: 68
; NumVgprs: 40
; NumAgprs: 0
; TotalNumVgprs: 40
; ScratchSize: 0
; MemoryBound: 0
; FloatMode: 240
; IeeeMode: 1
; LDSByteSize: 0 bytes/workgroup (compile time only)
; SGPRBlocks: 8
; VGPRBlocks: 4
; NumSGPRsForWavesPerEU: 68
; NumVGPRsForWavesPerEU: 40
; AccumOffset: 40
; Occupancy: 8
; WaveLimiterHint : 1
; COMPUTE_PGM_RSRC2:SCRATCH_EN: 0
; COMPUTE_PGM_RSRC2:USER_SGPR: 2
; COMPUTE_PGM_RSRC2:TRAP_HANDLER: 0
; COMPUTE_PGM_RSRC2:TGID_X_EN: 1
; COMPUTE_PGM_RSRC2:TGID_Y_EN: 0
; COMPUTE_PGM_RSRC2:TGID_Z_EN: 0
; COMPUTE_PGM_RSRC2:TIDIG_COMP_CNT: 0
; COMPUTE_PGM_RSRC3_GFX90A:ACCUM_OFFSET: 9
; COMPUTE_PGM_RSRC3_GFX90A:TG_SPLIT: 0
	.section	.text._ZN9rocsparseL41csrgemm_numeric_fill_block_per_row_kernelILj512ELj32ELj1024ELj137ELj32Ell21rocsparse_complex_numIfEEEvT5_PKS3_S5_NS_24const_host_device_scalarIT6_EEPKT4_S5_PKS7_SB_S5_SD_S8_SB_S5_SD_SB_S5_PS7_21rocsparse_index_base_SF_SF_SF_bbb,"axG",@progbits,_ZN9rocsparseL41csrgemm_numeric_fill_block_per_row_kernelILj512ELj32ELj1024ELj137ELj32Ell21rocsparse_complex_numIfEEEvT5_PKS3_S5_NS_24const_host_device_scalarIT6_EEPKT4_S5_PKS7_SB_S5_SD_S8_SB_S5_SD_SB_S5_PS7_21rocsparse_index_base_SF_SF_SF_bbb,comdat
	.globl	_ZN9rocsparseL41csrgemm_numeric_fill_block_per_row_kernelILj512ELj32ELj1024ELj137ELj32Ell21rocsparse_complex_numIfEEEvT5_PKS3_S5_NS_24const_host_device_scalarIT6_EEPKT4_S5_PKS7_SB_S5_SD_S8_SB_S5_SD_SB_S5_PS7_21rocsparse_index_base_SF_SF_SF_bbb ; -- Begin function _ZN9rocsparseL41csrgemm_numeric_fill_block_per_row_kernelILj512ELj32ELj1024ELj137ELj32Ell21rocsparse_complex_numIfEEEvT5_PKS3_S5_NS_24const_host_device_scalarIT6_EEPKT4_S5_PKS7_SB_S5_SD_S8_SB_S5_SD_SB_S5_PS7_21rocsparse_index_base_SF_SF_SF_bbb
	.p2align	8
	.type	_ZN9rocsparseL41csrgemm_numeric_fill_block_per_row_kernelILj512ELj32ELj1024ELj137ELj32Ell21rocsparse_complex_numIfEEEvT5_PKS3_S5_NS_24const_host_device_scalarIT6_EEPKT4_S5_PKS7_SB_S5_SD_S8_SB_S5_SD_SB_S5_PS7_21rocsparse_index_base_SF_SF_SF_bbb,@function
_ZN9rocsparseL41csrgemm_numeric_fill_block_per_row_kernelILj512ELj32ELj1024ELj137ELj32Ell21rocsparse_complex_numIfEEEvT5_PKS3_S5_NS_24const_host_device_scalarIT6_EEPKT4_S5_PKS7_SB_S5_SD_S8_SB_S5_SD_SB_S5_PS7_21rocsparse_index_base_SF_SF_SF_bbb: ; @_ZN9rocsparseL41csrgemm_numeric_fill_block_per_row_kernelILj512ELj32ELj1024ELj137ELj32Ell21rocsparse_complex_numIfEEEvT5_PKS3_S5_NS_24const_host_device_scalarIT6_EEPKT4_S5_PKS7_SB_S5_SD_S8_SB_S5_SD_SB_S5_PS7_21rocsparse_index_base_SF_SF_SF_bbb
; %bb.0:
	s_load_dwordx2 s[40:41], s[0:1], 0x70
	s_load_dwordx4 s[20:23], s[0:1], 0x50
	s_load_dword s3, s[0:1], 0x98
	s_load_dwordx4 s[28:31], s[0:1], 0x8
	s_load_dwordx8 s[8:15], s[0:1], 0x20
	s_load_dwordx2 s[34:35], s[0:1], 0x80
	s_load_dwordx4 s[36:39], s[0:1], 0x88
	s_waitcnt lgkmcnt(0)
	s_bitcmp1_b32 s3, 0
	s_cselect_b64 s[48:49], -1, 0
	s_bitcmp1_b32 s3, 16
	s_cselect_b64 s[4:5], -1, 0
	s_xor_b64 s[4:5], s[4:5], -1
	v_cndmask_b32_e64 v1, 0, 1, s[4:5]
	s_mov_b32 s7, 0
	s_bitcmp0_b32 s3, 0
	v_cmp_ne_u32_e64 s[4:5], 1, v1
	s_mov_b32 s59, 0
	s_cbranch_scc1 .LBB126_5
; %bb.1:
	s_load_dwordx2 s[6:7], s[0:1], 0x18
	s_and_b64 vcc, exec, s[4:5]
	s_waitcnt lgkmcnt(0)
	s_mov_b32 s59, s6
	s_cbranch_vccnz .LBB126_3
; %bb.2:
	s_load_dword s59, s[6:7], 0x0
.LBB126_3:
	s_and_b64 vcc, exec, s[4:5]
	s_cbranch_vccnz .LBB126_5
; %bb.4:
	s_load_dword s7, s[6:7], 0x4
.LBB126_5:
	s_nop 0
	s_load_dwordx4 s[16:19], s[0:1], 0x60
	s_load_dwordx4 s[24:27], s[0:1], 0x40
	s_bitcmp1_b32 s3, 8
	s_cselect_b64 s[46:47], -1, 0
	s_bfe_u32 s3, s3, 0x10008
	s_mov_b32 s33, 0
	s_cmp_eq_u32 s3, 0
	s_mov_b32 s58, 0
	s_cbranch_scc1 .LBB126_11
; %bb.6:
	s_and_b64 vcc, exec, s[4:5]
	s_mov_b32 s33, s20
	s_cbranch_vccnz .LBB126_8
; %bb.7:
	s_load_dword s33, s[20:21], 0x0
.LBB126_8:
	s_and_b64 vcc, exec, s[4:5]
	s_cbranch_vccnz .LBB126_10
; %bb.9:
	s_load_dword s21, s[20:21], 0x4
.LBB126_10:
	s_waitcnt lgkmcnt(0)
	s_mov_b32 s58, s21
.LBB126_11:
	s_load_dwordx2 s[42:43], s[0:1], 0x0
	v_or_b32_e32 v1, 0xfffffe00, v0
	v_lshl_add_u32 v20, v0, 3, 0
	s_mov_b64 s[0:1], 0
	v_mov_b32_e32 v2, 0
	s_waitcnt lgkmcnt(0)
	v_mov_b64_e32 v[6:7], s[42:43]
	v_mov_b32_e32 v3, v20
	v_mov_b32_e32 v4, v1
.LBB126_12:                             ; =>This Inner Loop Header: Depth=1
	v_add_co_u32_e32 v4, vcc, 0x200, v4
	s_xor_b64 s[4:5], vcc, -1
	s_and_b64 s[4:5], exec, s[4:5]
	ds_write_b64 v3, v[6:7]
	v_add_u32_e32 v5, 0x2000, v3
	v_add_u32_e32 v3, 0x1000, v3
	s_or_b64 s[0:1], s[4:5], s[0:1]
	ds_write2_b32 v5, v2, v2 offset1:1
	s_andn2_b64 exec, exec, s[0:1]
	s_cbranch_execnz .LBB126_12
; %bb.13:
	s_or_b64 exec, exec, s[0:1]
	s_waitcnt lgkmcnt(0)
	s_barrier
	s_load_dwordx2 s[0:1], s[28:29], 0x0
	s_mov_b32 s3, 0
	v_lshrrev_b32_e32 v21, 5, v0
	s_waitcnt lgkmcnt(0)
	s_lshl_b64 s[0:1], s[0:1], 3
	s_add_u32 s4, s30, s0
	s_addc_u32 s5, s31, s1
	s_lshl_b64 s[0:1], s[2:3], 3
	s_add_u32 s0, s4, s0
	s_addc_u32 s1, s5, s1
	s_load_dwordx2 s[44:45], s[0:1], 0x0
	s_and_b64 vcc, exec, s[48:49]
	s_cbranch_vccz .LBB126_33
; %bb.14:
	s_waitcnt lgkmcnt(0)
	s_lshl_b64 s[0:1], s[44:45], 3
	s_add_u32 s0, s8, s0
	s_addc_u32 s1, s9, s1
	s_load_dwordx4 s[28:31], s[0:1], 0x0
	v_subrev_co_u32_e32 v2, vcc, s36, v21
	s_nop 1
	v_subb_co_u32_e64 v3, s[0:1], 0, 0, vcc
	s_waitcnt lgkmcnt(0)
	s_sub_u32 s0, s30, s36
	s_subb_u32 s1, s31, 0
	v_lshl_add_u64 v[2:3], s[28:29], 0, v[2:3]
	v_cmp_gt_i64_e32 vcc, s[0:1], v[2:3]
	s_and_saveexec_b64 s[2:3], vcc
	s_cbranch_execz .LBB126_32
; %bb.15:
	v_and_b32_e32 v4, 31, v0
	v_subrev_co_u32_e32 v4, vcc, s37, v4
	s_mov_b32 s6, s37
	s_nop 0
	v_subb_co_u32_e64 v5, s[4:5], 0, 0, vcc
	s_mov_b64 s[4:5], 0
	s_movk_i32 s37, 0x89
	s_branch .LBB126_17
.LBB126_16:                             ;   in Loop: Header=BB126_17 Depth=1
	s_or_b64 exec, exec, s[8:9]
	v_lshl_add_u64 v[2:3], v[2:3], 0, 16
	v_cmp_le_i64_e32 vcc, s[0:1], v[2:3]
	s_or_b64 s[4:5], vcc, s[4:5]
	s_andn2_b64 exec, exec, s[4:5]
	s_cbranch_execz .LBB126_32
.LBB126_17:                             ; =>This Loop Header: Depth=1
                                        ;     Child Loop BB126_21 Depth 2
                                        ;       Child Loop BB126_24 Depth 3
	v_lshl_add_u64 v[6:7], v[2:3], 3, s[10:11]
	global_load_dwordx2 v[6:7], v[6:7], off
	s_waitcnt vmcnt(0)
	v_subrev_co_u32_e32 v6, vcc, s36, v6
	s_nop 1
	v_subbrev_co_u32_e32 v7, vcc, 0, v7, vcc
	v_lshl_add_u64 v[6:7], v[6:7], 3, s[14:15]
	global_load_dwordx4 v[8:11], v[6:7], off
	s_waitcnt vmcnt(0)
	v_subrev_co_u32_e32 v6, vcc, s6, v10
	s_nop 1
	v_subbrev_co_u32_e32 v7, vcc, 0, v11, vcc
	v_lshl_add_u64 v[8:9], v[8:9], 0, v[4:5]
	v_cmp_lt_i64_e32 vcc, v[8:9], v[6:7]
	s_and_saveexec_b64 s[8:9], vcc
	s_cbranch_execz .LBB126_16
; %bb.18:                               ;   in Loop: Header=BB126_17 Depth=1
	v_lshl_add_u64 v[10:11], v[2:3], 3, s[12:13]
	global_load_dwordx2 v[10:11], v[10:11], off
	s_mov_b64 s[20:21], 0
	s_waitcnt vmcnt(0)
	v_mul_f32_e64 v22, v11, -s7
	v_mul_f32_e32 v23, s59, v11
	v_fmac_f32_e32 v22, s59, v10
	v_fmac_f32_e32 v23, s7, v10
	s_branch .LBB126_21
.LBB126_19:                             ;   in Loop: Header=BB126_21 Depth=2
	s_or_b64 exec, exec, s[30:31]
.LBB126_20:                             ;   in Loop: Header=BB126_21 Depth=2
	s_or_b64 exec, exec, s[28:29]
	s_waitcnt vmcnt(0)
	v_mul_f32_e64 v13, v11, -v23
	v_mul_f32_e32 v11, v22, v11
	v_fmac_f32_e32 v13, v22, v10
	v_fmac_f32_e32 v11, v23, v10
	v_lshl_add_u32 v10, v12, 3, 0
	ds_add_f32 v10, v13 offset:8192
	ds_add_f32 v10, v11 offset:8196
	v_lshl_add_u64 v[8:9], v[8:9], 0, 32
	v_cmp_ge_i64_e32 vcc, v[8:9], v[6:7]
	s_or_b64 s[20:21], vcc, s[20:21]
	s_andn2_b64 exec, exec, s[20:21]
	s_cbranch_execz .LBB126_16
.LBB126_21:                             ;   Parent Loop BB126_17 Depth=1
                                        ; =>  This Loop Header: Depth=2
                                        ;       Child Loop BB126_24 Depth 3
	v_lshlrev_b64 v[10:11], 3, v[8:9]
	v_lshl_add_u64 v[12:13], s[24:25], 0, v[10:11]
	global_load_dwordx2 v[12:13], v[12:13], off
	v_lshl_add_u64 v[10:11], s[26:27], 0, v[10:11]
	global_load_dwordx2 v[10:11], v[10:11], off
	s_waitcnt vmcnt(1)
	v_subrev_co_u32_e32 v14, vcc, s6, v12
	v_mul_lo_u32 v12, v14, s37
	v_and_b32_e32 v12, 0x3ff, v12
	v_lshl_add_u32 v24, v12, 3, 0
	ds_read_b64 v[18:19], v24
	v_subbrev_co_u32_e32 v15, vcc, 0, v13, vcc
	s_waitcnt lgkmcnt(0)
	v_cmp_ne_u64_e32 vcc, v[18:19], v[14:15]
	s_and_saveexec_b64 s[28:29], vcc
	s_cbranch_execz .LBB126_20
; %bb.22:                               ;   in Loop: Header=BB126_21 Depth=2
	s_mov_b64 s[30:31], 0
                                        ; implicit-def: $sgpr48_sgpr49
                                        ; implicit-def: $sgpr50_sgpr51
	s_branch .LBB126_24
.LBB126_23:                             ;   in Loop: Header=BB126_24 Depth=3
	s_or_b64 exec, exec, s[56:57]
	s_and_b64 s[52:53], exec, s[54:55]
	s_or_b64 s[30:31], s[52:53], s[30:31]
	s_andn2_b64 s[48:49], s[48:49], exec
	s_and_b64 s[52:53], s[50:51], exec
	s_or_b64 s[48:49], s[48:49], s[52:53]
	s_andn2_b64 exec, exec, s[30:31]
	s_cbranch_execz .LBB126_30
.LBB126_24:                             ;   Parent Loop BB126_17 Depth=1
                                        ;     Parent Loop BB126_21 Depth=2
                                        ; =>    This Inner Loop Header: Depth=3
	v_mov_b64_e32 v[16:17], v[12:13]
	v_cmp_ne_u64_e32 vcc, s[42:43], v[18:19]
	s_mov_b64 s[52:53], 0
                                        ; implicit-def: $vgpr12_vgpr13
	s_and_saveexec_b64 s[54:55], vcc
	s_xor_b64 s[54:55], exec, s[54:55]
; %bb.25:                               ;   in Loop: Header=BB126_24 Depth=3
	v_add_u32_e32 v12, 1, v16
	s_mov_b64 s[52:53], exec
	v_and_b32_e32 v12, 0x3ff, v12
                                        ; implicit-def: $vgpr24
; %bb.26:                               ;   in Loop: Header=BB126_24 Depth=3
	s_andn2_saveexec_b64 s[54:55], s[54:55]
	s_cbranch_execz .LBB126_28
; %bb.27:                               ;   in Loop: Header=BB126_24 Depth=3
	v_mov_b64_e32 v[12:13], s[42:43]
	ds_cmpst_rtn_b64 v[12:13], v24, v[12:13], v[14:15]
	s_andn2_b64 s[52:53], s[52:53], exec
	s_waitcnt lgkmcnt(0)
	v_cmp_ne_u64_e32 vcc, s[42:43], v[12:13]
	s_and_b64 s[56:57], vcc, exec
	s_or_b64 s[52:53], s[52:53], s[56:57]
	v_mov_b64_e32 v[12:13], v[16:17]
.LBB126_28:                             ;   in Loop: Header=BB126_24 Depth=3
	s_or_b64 exec, exec, s[54:55]
	s_mov_b64 s[54:55], -1
	s_or_b64 s[50:51], s[50:51], exec
                                        ; implicit-def: $vgpr24
                                        ; implicit-def: $vgpr18_vgpr19
	s_and_saveexec_b64 s[56:57], s[52:53]
	s_cbranch_execz .LBB126_23
; %bb.29:                               ;   in Loop: Header=BB126_24 Depth=3
	v_lshl_add_u32 v24, v12, 3, 0
	ds_read_b64 v[18:19], v24
	s_andn2_b64 s[50:51], s[50:51], exec
	s_waitcnt lgkmcnt(0)
	v_cmp_eq_u64_e32 vcc, v[18:19], v[14:15]
	s_orn2_b64 s[54:55], vcc, exec
	s_branch .LBB126_23
.LBB126_30:                             ;   in Loop: Header=BB126_21 Depth=2
	s_or_b64 exec, exec, s[30:31]
	s_and_saveexec_b64 s[30:31], s[48:49]
	s_xor_b64 s[30:31], exec, s[30:31]
	s_cbranch_execz .LBB126_19
; %bb.31:                               ;   in Loop: Header=BB126_21 Depth=2
	v_mov_b32_e32 v12, v16
	s_branch .LBB126_19
.LBB126_32:
	s_or_b64 exec, exec, s[2:3]
.LBB126_33:
	s_andn2_b64 vcc, exec, s[46:47]
	s_cbranch_vccnz .LBB126_50
; %bb.34:
	s_waitcnt lgkmcnt(0)
	s_lshl_b64 s[0:1], s[44:45], 3
	s_add_u32 s0, s22, s0
	s_addc_u32 s1, s23, s1
	s_load_dwordx4 s[4:7], s[0:1], 0x0
	v_subrev_co_u32_e32 v2, vcc, s39, v0
	s_waitcnt lgkmcnt(0)
	s_sub_u32 s0, s6, s39
	v_subb_co_u32_e64 v3, s[2:3], 0, 0, vcc
	s_subb_u32 s1, s7, 0
	v_lshl_add_u64 v[2:3], s[4:5], 0, v[2:3]
	v_cmp_gt_i64_e32 vcc, s[0:1], v[2:3]
	s_and_saveexec_b64 s[2:3], vcc
	s_cbranch_execz .LBB126_49
; %bb.35:
	s_mov_b32 s26, s39
	s_mov_b64 s[4:5], 0
	s_movk_i32 s27, 0x89
	s_mov_b64 s[6:7], 0x200
	s_branch .LBB126_38
.LBB126_36:                             ;   in Loop: Header=BB126_38 Depth=1
	s_or_b64 exec, exec, s[10:11]
.LBB126_37:                             ;   in Loop: Header=BB126_38 Depth=1
	s_or_b64 exec, exec, s[8:9]
	s_waitcnt vmcnt(0)
	v_mul_f32_e64 v7, v5, -s58
	v_mul_f32_e32 v5, s33, v5
	v_fmac_f32_e32 v7, s33, v4
	v_fmac_f32_e32 v5, s58, v4
	v_lshl_add_u32 v4, v6, 3, 0
	ds_add_f32 v4, v7 offset:8192
	ds_add_f32 v4, v5 offset:8196
	v_lshl_add_u64 v[2:3], v[2:3], 0, s[6:7]
	v_cmp_le_i64_e32 vcc, s[0:1], v[2:3]
	s_or_b64 s[4:5], vcc, s[4:5]
	s_andn2_b64 exec, exec, s[4:5]
	s_cbranch_execz .LBB126_49
.LBB126_38:                             ; =>This Loop Header: Depth=1
                                        ;     Child Loop BB126_41 Depth 2
	v_lshlrev_b64 v[4:5], 3, v[2:3]
	v_lshl_add_u64 v[6:7], s[16:17], 0, v[4:5]
	global_load_dwordx2 v[6:7], v[6:7], off
	v_lshl_add_u64 v[4:5], s[18:19], 0, v[4:5]
	global_load_dwordx2 v[4:5], v[4:5], off
	s_waitcnt vmcnt(1)
	v_subrev_co_u32_e32 v8, vcc, s26, v6
	v_mul_lo_u32 v6, v8, s27
	v_and_b32_e32 v6, 0x3ff, v6
	v_lshl_add_u32 v14, v6, 3, 0
	ds_read_b64 v[12:13], v14
	v_subbrev_co_u32_e32 v9, vcc, 0, v7, vcc
	s_waitcnt lgkmcnt(0)
	v_cmp_ne_u64_e32 vcc, v[12:13], v[8:9]
	s_and_saveexec_b64 s[8:9], vcc
	s_cbranch_execz .LBB126_37
; %bb.39:                               ;   in Loop: Header=BB126_38 Depth=1
	s_mov_b64 s[10:11], 0
                                        ; implicit-def: $sgpr12_sgpr13
                                        ; implicit-def: $sgpr14_sgpr15
	s_branch .LBB126_41
.LBB126_40:                             ;   in Loop: Header=BB126_41 Depth=2
	s_or_b64 exec, exec, s[24:25]
	s_and_b64 s[20:21], exec, s[22:23]
	s_or_b64 s[10:11], s[20:21], s[10:11]
	s_andn2_b64 s[12:13], s[12:13], exec
	s_and_b64 s[20:21], s[14:15], exec
	s_or_b64 s[12:13], s[12:13], s[20:21]
	s_andn2_b64 exec, exec, s[10:11]
	s_cbranch_execz .LBB126_47
.LBB126_41:                             ;   Parent Loop BB126_38 Depth=1
                                        ; =>  This Inner Loop Header: Depth=2
	v_mov_b64_e32 v[10:11], v[6:7]
	v_cmp_ne_u64_e32 vcc, s[42:43], v[12:13]
	s_mov_b64 s[20:21], 0
                                        ; implicit-def: $vgpr6_vgpr7
	s_and_saveexec_b64 s[22:23], vcc
	s_xor_b64 s[22:23], exec, s[22:23]
; %bb.42:                               ;   in Loop: Header=BB126_41 Depth=2
	v_add_u32_e32 v6, 1, v10
	s_mov_b64 s[20:21], exec
	v_and_b32_e32 v6, 0x3ff, v6
                                        ; implicit-def: $vgpr14
; %bb.43:                               ;   in Loop: Header=BB126_41 Depth=2
	s_andn2_saveexec_b64 s[22:23], s[22:23]
	s_cbranch_execz .LBB126_45
; %bb.44:                               ;   in Loop: Header=BB126_41 Depth=2
	v_mov_b64_e32 v[6:7], s[42:43]
	ds_cmpst_rtn_b64 v[6:7], v14, v[6:7], v[8:9]
	s_andn2_b64 s[20:21], s[20:21], exec
	s_waitcnt lgkmcnt(0)
	v_cmp_ne_u64_e32 vcc, s[42:43], v[6:7]
	s_and_b64 s[24:25], vcc, exec
	s_or_b64 s[20:21], s[20:21], s[24:25]
	v_mov_b64_e32 v[6:7], v[10:11]
.LBB126_45:                             ;   in Loop: Header=BB126_41 Depth=2
	s_or_b64 exec, exec, s[22:23]
	s_mov_b64 s[22:23], -1
	s_or_b64 s[14:15], s[14:15], exec
                                        ; implicit-def: $vgpr14
                                        ; implicit-def: $vgpr12_vgpr13
	s_and_saveexec_b64 s[24:25], s[20:21]
	s_cbranch_execz .LBB126_40
; %bb.46:                               ;   in Loop: Header=BB126_41 Depth=2
	v_lshl_add_u32 v14, v6, 3, 0
	ds_read_b64 v[12:13], v14
	s_andn2_b64 s[14:15], s[14:15], exec
	s_waitcnt lgkmcnt(0)
	v_cmp_eq_u64_e32 vcc, v[12:13], v[8:9]
	s_orn2_b64 s[22:23], vcc, exec
	s_branch .LBB126_40
.LBB126_47:                             ;   in Loop: Header=BB126_38 Depth=1
	s_or_b64 exec, exec, s[10:11]
	s_and_saveexec_b64 s[10:11], s[12:13]
	s_xor_b64 s[10:11], exec, s[10:11]
	s_cbranch_execz .LBB126_36
; %bb.48:                               ;   in Loop: Header=BB126_38 Depth=1
	v_mov_b32_e32 v6, v10
	s_branch .LBB126_36
.LBB126_49:
	s_or_b64 exec, exec, s[2:3]
.LBB126_50:
	v_mbcnt_lo_u32_b32 v2, -1, 0
	v_mbcnt_hi_u32_b32 v2, -1, v2
	v_sub_u32_e32 v2, 63, v2
	s_movk_i32 s0, 0x1ff
	s_movk_i32 s6, 0x5f
	;; [unrolled: 1-line block ×14, first 2 shown]
	v_mov_b32_e32 v3, 0
	v_lshrrev_b64 v[4:5], v2, -1
	v_lshl_add_u32 v14, v21, 3, 0
	v_cmp_eq_u32_e64 s[0:1], s0, v0
	v_cmp_lt_u32_e64 s[2:3], 31, v0
	v_cmp_lt_u32_e64 s[4:5], 63, v0
	;; [unrolled: 1-line block ×15, first 2 shown]
	s_mov_b64 s[36:37], 0
	v_mov_b64_e32 v[6:7], 0
	s_waitcnt lgkmcnt(0)
	s_barrier
	s_branch .LBB126_52
.LBB126_51:                             ;   in Loop: Header=BB126_52 Depth=1
	s_or_b64 exec, exec, s[46:47]
	s_waitcnt lgkmcnt(0)
	s_barrier
	ds_read_b64 v[8:9], v3 offset:16504
	v_add_co_u32_e32 v1, vcc, 0x200, v1
	s_xor_b64 s[46:47], vcc, -1
	s_and_b64 s[46:47], exec, s[46:47]
	s_waitcnt lgkmcnt(0)
	v_lshl_add_u64 v[6:7], v[8:9], 0, v[6:7]
	s_or_b64 s[36:37], s[46:47], s[36:37]
	v_add_u32_e32 v20, 0x1000, v20
	s_andn2_b64 exec, exec, s[36:37]
	s_cbranch_execz .LBB126_86
.LBB126_52:                             ; =>This Inner Loop Header: Depth=1
	ds_read_b64 v[8:9], v20
	v_add_u32_e32 v2, 0x2000, v20
	ds_read2_b32 v[10:11], v2 offset1:1
	s_waitcnt lgkmcnt(0)
	s_barrier
	v_cmp_gt_i64_e32 vcc, s[42:43], v[8:9]
	s_bcnt1_i32_b64 s33, vcc
	v_mov_b32_e32 v2, s33
	v_and_b32_e32 v13, vcc_lo, v4
	v_and_b32_e32 v12, vcc_hi, v5
	v_bcnt_u32_b32 v13, v13, 0
	v_bcnt_u32_b32 v12, v12, v13
	ds_write_b64 v14, v[2:3] offset:16384
	s_waitcnt lgkmcnt(0)
	s_barrier
	s_and_saveexec_b64 s[46:47], s[2:3]
	s_cbranch_execnz .LBB126_69
; %bb.53:                               ;   in Loop: Header=BB126_52 Depth=1
	s_or_b64 exec, exec, s[46:47]
	s_and_saveexec_b64 s[46:47], s[4:5]
	s_cbranch_execnz .LBB126_70
.LBB126_54:                             ;   in Loop: Header=BB126_52 Depth=1
	s_or_b64 exec, exec, s[46:47]
	s_and_saveexec_b64 s[46:47], s[6:7]
	s_cbranch_execnz .LBB126_71
.LBB126_55:                             ;   in Loop: Header=BB126_52 Depth=1
	s_or_b64 exec, exec, s[46:47]
	s_and_saveexec_b64 s[46:47], s[8:9]
	s_cbranch_execnz .LBB126_72
.LBB126_56:                             ;   in Loop: Header=BB126_52 Depth=1
	s_or_b64 exec, exec, s[46:47]
	s_and_saveexec_b64 s[46:47], s[10:11]
	s_cbranch_execnz .LBB126_73
.LBB126_57:                             ;   in Loop: Header=BB126_52 Depth=1
	s_or_b64 exec, exec, s[46:47]
	s_and_saveexec_b64 s[46:47], s[12:13]
	s_cbranch_execnz .LBB126_74
.LBB126_58:                             ;   in Loop: Header=BB126_52 Depth=1
	s_or_b64 exec, exec, s[46:47]
	s_and_saveexec_b64 s[46:47], s[14:15]
	s_cbranch_execnz .LBB126_75
.LBB126_59:                             ;   in Loop: Header=BB126_52 Depth=1
	s_or_b64 exec, exec, s[46:47]
	s_and_saveexec_b64 s[46:47], s[16:17]
	s_cbranch_execnz .LBB126_76
.LBB126_60:                             ;   in Loop: Header=BB126_52 Depth=1
	s_or_b64 exec, exec, s[46:47]
	s_and_saveexec_b64 s[46:47], s[18:19]
	s_cbranch_execnz .LBB126_77
.LBB126_61:                             ;   in Loop: Header=BB126_52 Depth=1
	s_or_b64 exec, exec, s[46:47]
	s_and_saveexec_b64 s[46:47], s[20:21]
	s_cbranch_execnz .LBB126_78
.LBB126_62:                             ;   in Loop: Header=BB126_52 Depth=1
	s_or_b64 exec, exec, s[46:47]
	s_and_saveexec_b64 s[46:47], s[22:23]
	s_cbranch_execnz .LBB126_79
.LBB126_63:                             ;   in Loop: Header=BB126_52 Depth=1
	s_or_b64 exec, exec, s[46:47]
	s_and_saveexec_b64 s[46:47], s[24:25]
	s_cbranch_execnz .LBB126_80
.LBB126_64:                             ;   in Loop: Header=BB126_52 Depth=1
	s_or_b64 exec, exec, s[46:47]
	s_and_saveexec_b64 s[46:47], s[26:27]
	s_cbranch_execnz .LBB126_81
.LBB126_65:                             ;   in Loop: Header=BB126_52 Depth=1
	s_or_b64 exec, exec, s[46:47]
	s_and_saveexec_b64 s[46:47], s[28:29]
	s_cbranch_execnz .LBB126_82
.LBB126_66:                             ;   in Loop: Header=BB126_52 Depth=1
	s_or_b64 exec, exec, s[46:47]
	s_and_saveexec_b64 s[46:47], s[30:31]
	s_cbranch_execnz .LBB126_83
.LBB126_67:                             ;   in Loop: Header=BB126_52 Depth=1
	s_or_b64 exec, exec, s[46:47]
	v_ashrrev_i32_e32 v13, 31, v12
	s_and_saveexec_b64 s[46:47], vcc
	s_cbranch_execnz .LBB126_84
.LBB126_68:                             ;   in Loop: Header=BB126_52 Depth=1
	s_or_b64 exec, exec, s[46:47]
	s_and_saveexec_b64 s[46:47], s[0:1]
	s_cbranch_execz .LBB126_51
	s_branch .LBB126_85
.LBB126_69:                             ;   in Loop: Header=BB126_52 Depth=1
	ds_read_b32 v2, v3 offset:16384
	s_waitcnt lgkmcnt(0)
	v_add_u32_e32 v12, v2, v12
	s_or_b64 exec, exec, s[46:47]
	s_and_saveexec_b64 s[46:47], s[4:5]
	s_cbranch_execz .LBB126_54
.LBB126_70:                             ;   in Loop: Header=BB126_52 Depth=1
	ds_read_b32 v2, v3 offset:16392
	s_waitcnt lgkmcnt(0)
	v_add_u32_e32 v12, v12, v2
	s_or_b64 exec, exec, s[46:47]
	s_and_saveexec_b64 s[46:47], s[6:7]
	s_cbranch_execz .LBB126_55
.LBB126_71:                             ;   in Loop: Header=BB126_52 Depth=1
	ds_read_b32 v2, v3 offset:16400
	s_waitcnt lgkmcnt(0)
	v_add_u32_e32 v12, v12, v2
	s_or_b64 exec, exec, s[46:47]
	s_and_saveexec_b64 s[46:47], s[8:9]
	s_cbranch_execz .LBB126_56
.LBB126_72:                             ;   in Loop: Header=BB126_52 Depth=1
	ds_read_b32 v2, v3 offset:16408
	s_waitcnt lgkmcnt(0)
	v_add_u32_e32 v12, v12, v2
	s_or_b64 exec, exec, s[46:47]
	s_and_saveexec_b64 s[46:47], s[10:11]
	s_cbranch_execz .LBB126_57
.LBB126_73:                             ;   in Loop: Header=BB126_52 Depth=1
	ds_read_b32 v2, v3 offset:16416
	s_waitcnt lgkmcnt(0)
	v_add_u32_e32 v12, v12, v2
	s_or_b64 exec, exec, s[46:47]
	s_and_saveexec_b64 s[46:47], s[12:13]
	s_cbranch_execz .LBB126_58
.LBB126_74:                             ;   in Loop: Header=BB126_52 Depth=1
	ds_read_b32 v2, v3 offset:16424
	s_waitcnt lgkmcnt(0)
	v_add_u32_e32 v12, v12, v2
	s_or_b64 exec, exec, s[46:47]
	s_and_saveexec_b64 s[46:47], s[14:15]
	s_cbranch_execz .LBB126_59
.LBB126_75:                             ;   in Loop: Header=BB126_52 Depth=1
	ds_read_b32 v2, v3 offset:16432
	s_waitcnt lgkmcnt(0)
	v_add_u32_e32 v12, v12, v2
	s_or_b64 exec, exec, s[46:47]
	s_and_saveexec_b64 s[46:47], s[16:17]
	s_cbranch_execz .LBB126_60
.LBB126_76:                             ;   in Loop: Header=BB126_52 Depth=1
	ds_read_b32 v2, v3 offset:16440
	s_waitcnt lgkmcnt(0)
	v_add_u32_e32 v12, v12, v2
	s_or_b64 exec, exec, s[46:47]
	s_and_saveexec_b64 s[46:47], s[18:19]
	s_cbranch_execz .LBB126_61
.LBB126_77:                             ;   in Loop: Header=BB126_52 Depth=1
	ds_read_b32 v2, v3 offset:16448
	s_waitcnt lgkmcnt(0)
	v_add_u32_e32 v12, v12, v2
	s_or_b64 exec, exec, s[46:47]
	s_and_saveexec_b64 s[46:47], s[20:21]
	s_cbranch_execz .LBB126_62
.LBB126_78:                             ;   in Loop: Header=BB126_52 Depth=1
	ds_read_b32 v2, v3 offset:16456
	s_waitcnt lgkmcnt(0)
	v_add_u32_e32 v12, v12, v2
	s_or_b64 exec, exec, s[46:47]
	s_and_saveexec_b64 s[46:47], s[22:23]
	s_cbranch_execz .LBB126_63
.LBB126_79:                             ;   in Loop: Header=BB126_52 Depth=1
	ds_read_b32 v2, v3 offset:16464
	s_waitcnt lgkmcnt(0)
	v_add_u32_e32 v12, v12, v2
	s_or_b64 exec, exec, s[46:47]
	s_and_saveexec_b64 s[46:47], s[24:25]
	s_cbranch_execz .LBB126_64
.LBB126_80:                             ;   in Loop: Header=BB126_52 Depth=1
	ds_read_b32 v2, v3 offset:16472
	s_waitcnt lgkmcnt(0)
	v_add_u32_e32 v12, v12, v2
	s_or_b64 exec, exec, s[46:47]
	s_and_saveexec_b64 s[46:47], s[26:27]
	s_cbranch_execz .LBB126_65
.LBB126_81:                             ;   in Loop: Header=BB126_52 Depth=1
	ds_read_b32 v2, v3 offset:16480
	s_waitcnt lgkmcnt(0)
	v_add_u32_e32 v12, v12, v2
	s_or_b64 exec, exec, s[46:47]
	s_and_saveexec_b64 s[46:47], s[28:29]
	s_cbranch_execz .LBB126_66
.LBB126_82:                             ;   in Loop: Header=BB126_52 Depth=1
	ds_read_b32 v2, v3 offset:16488
	s_waitcnt lgkmcnt(0)
	v_add_u32_e32 v12, v12, v2
	s_or_b64 exec, exec, s[46:47]
	s_and_saveexec_b64 s[46:47], s[30:31]
	s_cbranch_execz .LBB126_67
.LBB126_83:                             ;   in Loop: Header=BB126_52 Depth=1
	ds_read_b32 v2, v3 offset:16496
	s_waitcnt lgkmcnt(0)
	v_add_u32_e32 v12, v12, v2
	s_or_b64 exec, exec, s[46:47]
	v_ashrrev_i32_e32 v13, 31, v12
	s_and_saveexec_b64 s[46:47], vcc
	s_cbranch_execz .LBB126_68
.LBB126_84:                             ;   in Loop: Header=BB126_52 Depth=1
	v_add3_u32 v2, v6, -1, v12
	v_add_u32_e32 v15, v6, v12
	v_lshl_add_u32 v2, v2, 3, 0
	v_lshl_add_u32 v15, v15, 3, 0
	v_add_u32_e32 v15, 0x1ff8, v15
	ds_write_b64 v2, v[8:9]
	ds_write2_b32 v15, v10, v11 offset1:1
	s_or_b64 exec, exec, s[46:47]
	s_and_saveexec_b64 s[46:47], s[0:1]
	s_cbranch_execz .LBB126_51
.LBB126_85:                             ;   in Loop: Header=BB126_52 Depth=1
	ds_write_b64 v3, v[12:13] offset:16504
	s_branch .LBB126_51
.LBB126_86:
	s_or_b64 exec, exec, s[36:37]
	s_lshl_b64 s[0:1], s[44:45], 3
	s_add_u32 s4, s40, s0
	s_addc_u32 s5, s41, s1
	s_load_dwordx4 s[0:3], s[4:5], 0x0
	v_mov_b32_e32 v1, 0
	s_waitcnt lgkmcnt(0)
	s_sub_u32 s4, s2, s0
	s_subb_u32 s5, s3, s1
	v_cmp_gt_i64_e32 vcc, s[4:5], v[0:1]
	s_and_saveexec_b64 s[6:7], vcc
	s_cbranch_execz .LBB126_96
; %bb.87:
	s_sub_u32 s8, s0, s38
	s_subb_u32 s9, s1, 0
	s_and_b32 s6, s4, 7
	s_sub_u32 s0, s0, s2
	s_mov_b32 s7, 0
	s_subb_u32 s1, s1, s3
	s_and_b32 s10, s4, -8
	s_cmp_lg_u64 s[6:7], 0
	v_cmp_lt_u64_e64 s[0:1], s[0:1], -7
	s_cselect_b64 s[2:3], -1, 0
	s_mov_b32 s11, s5
	v_cndmask_b32_e64 v2, 0, 1, s[0:1]
	v_cmp_ne_u32_e64 s[0:1], 1, v2
	v_cndmask_b32_e64 v2, 0, 1, s[2:3]
	s_mov_b64 s[12:13], 0
	v_cmp_ne_u32_e64 s[2:3], 1, v2
	s_mov_b64 s[14:15], 0x200
	s_branch .LBB126_89
.LBB126_88:                             ;   in Loop: Header=BB126_89 Depth=1
	v_lshl_add_u64 v[0:1], v[0:1], 0, s[14:15]
	v_cmp_le_i64_e32 vcc, s[4:5], v[0:1]
	s_waitcnt lgkmcnt(1)
	v_lshl_add_u64 v[4:5], v[6:7], 3, s[34:35]
	s_or_b64 s[12:13], vcc, s[12:13]
	s_waitcnt lgkmcnt(0)
	global_store_dwordx2 v[4:5], v[2:3], off
	s_andn2_b64 exec, exec, s[12:13]
	s_cbranch_execz .LBB126_96
.LBB126_89:                             ; =>This Loop Header: Depth=1
                                        ;     Child Loop BB126_91 Depth 2
                                        ;     Child Loop BB126_95 Depth 2
	v_lshl_add_u32 v2, v0, 3, 0
	v_add_u32_e32 v3, 0x2000, v2
	ds_read_b64 v[4:5], v2
	ds_read2_b32 v[2:3], v3 offset1:1
	s_and_b64 vcc, exec, s[0:1]
	v_mov_b64_e32 v[6:7], s[8:9]
	s_mov_b64 s[16:17], 0
	s_cbranch_vccnz .LBB126_93
; %bb.90:                               ;   in Loop: Header=BB126_89 Depth=1
	s_mov_b32 s18, 0
	v_mov_b64_e32 v[6:7], s[8:9]
.LBB126_91:                             ;   Parent Loop BB126_89 Depth=1
                                        ; =>  This Inner Loop Header: Depth=2
	v_mov_b32_e32 v20, s18
	ds_read2_b64 v[8:11], v20 offset1:1
	ds_read2_b64 v[12:15], v20 offset0:2 offset1:3
	ds_read2_b64 v[16:19], v20 offset0:4 offset1:5
	;; [unrolled: 1-line block ×3, first 2 shown]
	v_mov_b32_e32 v25, s7
	s_waitcnt lgkmcnt(3)
	v_cmp_gt_i64_e32 vcc, v[4:5], v[8:9]
	v_mov_b32_e32 v27, s7
	v_mov_b32_e32 v29, s7
	v_cndmask_b32_e64 v24, 0, 1, vcc
	v_cmp_gt_i64_e32 vcc, v[4:5], v[10:11]
	v_lshl_add_u64 v[6:7], v[6:7], 0, v[24:25]
	v_mov_b32_e32 v31, s7
	v_cndmask_b32_e64 v26, 0, 1, vcc
	s_waitcnt lgkmcnt(2)
	v_cmp_gt_i64_e32 vcc, v[4:5], v[12:13]
	v_lshl_add_u64 v[6:7], v[6:7], 0, v[26:27]
	v_mov_b32_e32 v33, s7
	v_cndmask_b32_e64 v28, 0, 1, vcc
	v_cmp_gt_i64_e32 vcc, v[4:5], v[14:15]
	v_lshl_add_u64 v[6:7], v[6:7], 0, v[28:29]
	v_mov_b32_e32 v35, s7
	v_cndmask_b32_e64 v30, 0, 1, vcc
	s_waitcnt lgkmcnt(1)
	v_cmp_gt_i64_e32 vcc, v[4:5], v[16:17]
	v_lshl_add_u64 v[6:7], v[6:7], 0, v[30:31]
	v_mov_b32_e32 v37, s7
	v_cndmask_b32_e64 v32, 0, 1, vcc
	v_cmp_gt_i64_e32 vcc, v[4:5], v[18:19]
	v_lshl_add_u64 v[6:7], v[6:7], 0, v[32:33]
	s_add_u32 s16, s16, 8
	v_cndmask_b32_e64 v34, 0, 1, vcc
	s_waitcnt lgkmcnt(0)
	v_cmp_gt_i64_e32 vcc, v[4:5], v[20:21]
	v_lshl_add_u64 v[6:7], v[6:7], 0, v[34:35]
	v_mov_b32_e32 v39, s7
	v_cndmask_b32_e64 v36, 0, 1, vcc
	v_cmp_gt_i64_e32 vcc, v[4:5], v[22:23]
	s_addc_u32 s17, s17, 0
	s_add_i32 s18, s18, 64
	v_cndmask_b32_e64 v38, 0, 1, vcc
	v_lshl_add_u64 v[6:7], v[6:7], 0, v[36:37]
	s_cmp_eq_u64 s[10:11], s[16:17]
	v_lshl_add_u64 v[6:7], v[6:7], 0, v[38:39]
	s_cbranch_scc0 .LBB126_91
; %bb.92:                               ;   in Loop: Header=BB126_89 Depth=1
	s_mov_b64 s[16:17], s[10:11]
.LBB126_93:                             ;   in Loop: Header=BB126_89 Depth=1
	s_and_b64 vcc, exec, s[2:3]
	s_cbranch_vccnz .LBB126_88
; %bb.94:                               ;   in Loop: Header=BB126_89 Depth=1
	s_lshl_b32 s16, s16, 3
	s_add_i32 s18, s16, 0
	s_mov_b64 s[16:17], s[6:7]
.LBB126_95:                             ;   Parent Loop BB126_89 Depth=1
                                        ; =>  This Inner Loop Header: Depth=2
	v_mov_b32_e32 v8, s18
	ds_read_b64 v[10:11], v8
	s_add_i32 s18, s18, 8
	s_add_u32 s16, s16, -1
	v_mov_b32_e32 v9, s7
	s_addc_u32 s17, s17, -1
	s_waitcnt lgkmcnt(0)
	v_cmp_gt_i64_e32 vcc, v[4:5], v[10:11]
	s_cmp_lg_u64 s[16:17], 0
	s_nop 0
	v_cndmask_b32_e64 v8, 0, 1, vcc
	v_lshl_add_u64 v[6:7], v[6:7], 0, v[8:9]
	s_cbranch_scc1 .LBB126_95
	s_branch .LBB126_88
.LBB126_96:
	s_endpgm
	.section	.rodata,"a",@progbits
	.p2align	6, 0x0
	.amdhsa_kernel _ZN9rocsparseL41csrgemm_numeric_fill_block_per_row_kernelILj512ELj32ELj1024ELj137ELj32Ell21rocsparse_complex_numIfEEEvT5_PKS3_S5_NS_24const_host_device_scalarIT6_EEPKT4_S5_PKS7_SB_S5_SD_S8_SB_S5_SD_SB_S5_PS7_21rocsparse_index_base_SF_SF_SF_bbb
		.amdhsa_group_segment_fixed_size 0
		.amdhsa_private_segment_fixed_size 0
		.amdhsa_kernarg_size 156
		.amdhsa_user_sgpr_count 2
		.amdhsa_user_sgpr_dispatch_ptr 0
		.amdhsa_user_sgpr_queue_ptr 0
		.amdhsa_user_sgpr_kernarg_segment_ptr 1
		.amdhsa_user_sgpr_dispatch_id 0
		.amdhsa_user_sgpr_kernarg_preload_length 0
		.amdhsa_user_sgpr_kernarg_preload_offset 0
		.amdhsa_user_sgpr_private_segment_size 0
		.amdhsa_uses_dynamic_stack 0
		.amdhsa_enable_private_segment 0
		.amdhsa_system_sgpr_workgroup_id_x 1
		.amdhsa_system_sgpr_workgroup_id_y 0
		.amdhsa_system_sgpr_workgroup_id_z 0
		.amdhsa_system_sgpr_workgroup_info 0
		.amdhsa_system_vgpr_workitem_id 0
		.amdhsa_next_free_vgpr 40
		.amdhsa_next_free_sgpr 60
		.amdhsa_accum_offset 40
		.amdhsa_reserve_vcc 1
		.amdhsa_float_round_mode_32 0
		.amdhsa_float_round_mode_16_64 0
		.amdhsa_float_denorm_mode_32 3
		.amdhsa_float_denorm_mode_16_64 3
		.amdhsa_dx10_clamp 1
		.amdhsa_ieee_mode 1
		.amdhsa_fp16_overflow 0
		.amdhsa_tg_split 0
		.amdhsa_exception_fp_ieee_invalid_op 0
		.amdhsa_exception_fp_denorm_src 0
		.amdhsa_exception_fp_ieee_div_zero 0
		.amdhsa_exception_fp_ieee_overflow 0
		.amdhsa_exception_fp_ieee_underflow 0
		.amdhsa_exception_fp_ieee_inexact 0
		.amdhsa_exception_int_div_zero 0
	.end_amdhsa_kernel
	.section	.text._ZN9rocsparseL41csrgemm_numeric_fill_block_per_row_kernelILj512ELj32ELj1024ELj137ELj32Ell21rocsparse_complex_numIfEEEvT5_PKS3_S5_NS_24const_host_device_scalarIT6_EEPKT4_S5_PKS7_SB_S5_SD_S8_SB_S5_SD_SB_S5_PS7_21rocsparse_index_base_SF_SF_SF_bbb,"axG",@progbits,_ZN9rocsparseL41csrgemm_numeric_fill_block_per_row_kernelILj512ELj32ELj1024ELj137ELj32Ell21rocsparse_complex_numIfEEEvT5_PKS3_S5_NS_24const_host_device_scalarIT6_EEPKT4_S5_PKS7_SB_S5_SD_S8_SB_S5_SD_SB_S5_PS7_21rocsparse_index_base_SF_SF_SF_bbb,comdat
.Lfunc_end126:
	.size	_ZN9rocsparseL41csrgemm_numeric_fill_block_per_row_kernelILj512ELj32ELj1024ELj137ELj32Ell21rocsparse_complex_numIfEEEvT5_PKS3_S5_NS_24const_host_device_scalarIT6_EEPKT4_S5_PKS7_SB_S5_SD_S8_SB_S5_SD_SB_S5_PS7_21rocsparse_index_base_SF_SF_SF_bbb, .Lfunc_end126-_ZN9rocsparseL41csrgemm_numeric_fill_block_per_row_kernelILj512ELj32ELj1024ELj137ELj32Ell21rocsparse_complex_numIfEEEvT5_PKS3_S5_NS_24const_host_device_scalarIT6_EEPKT4_S5_PKS7_SB_S5_SD_S8_SB_S5_SD_SB_S5_PS7_21rocsparse_index_base_SF_SF_SF_bbb
                                        ; -- End function
	.set _ZN9rocsparseL41csrgemm_numeric_fill_block_per_row_kernelILj512ELj32ELj1024ELj137ELj32Ell21rocsparse_complex_numIfEEEvT5_PKS3_S5_NS_24const_host_device_scalarIT6_EEPKT4_S5_PKS7_SB_S5_SD_S8_SB_S5_SD_SB_S5_PS7_21rocsparse_index_base_SF_SF_SF_bbb.num_vgpr, 40
	.set _ZN9rocsparseL41csrgemm_numeric_fill_block_per_row_kernelILj512ELj32ELj1024ELj137ELj32Ell21rocsparse_complex_numIfEEEvT5_PKS3_S5_NS_24const_host_device_scalarIT6_EEPKT4_S5_PKS7_SB_S5_SD_S8_SB_S5_SD_SB_S5_PS7_21rocsparse_index_base_SF_SF_SF_bbb.num_agpr, 0
	.set _ZN9rocsparseL41csrgemm_numeric_fill_block_per_row_kernelILj512ELj32ELj1024ELj137ELj32Ell21rocsparse_complex_numIfEEEvT5_PKS3_S5_NS_24const_host_device_scalarIT6_EEPKT4_S5_PKS7_SB_S5_SD_S8_SB_S5_SD_SB_S5_PS7_21rocsparse_index_base_SF_SF_SF_bbb.numbered_sgpr, 60
	.set _ZN9rocsparseL41csrgemm_numeric_fill_block_per_row_kernelILj512ELj32ELj1024ELj137ELj32Ell21rocsparse_complex_numIfEEEvT5_PKS3_S5_NS_24const_host_device_scalarIT6_EEPKT4_S5_PKS7_SB_S5_SD_S8_SB_S5_SD_SB_S5_PS7_21rocsparse_index_base_SF_SF_SF_bbb.num_named_barrier, 0
	.set _ZN9rocsparseL41csrgemm_numeric_fill_block_per_row_kernelILj512ELj32ELj1024ELj137ELj32Ell21rocsparse_complex_numIfEEEvT5_PKS3_S5_NS_24const_host_device_scalarIT6_EEPKT4_S5_PKS7_SB_S5_SD_S8_SB_S5_SD_SB_S5_PS7_21rocsparse_index_base_SF_SF_SF_bbb.private_seg_size, 0
	.set _ZN9rocsparseL41csrgemm_numeric_fill_block_per_row_kernelILj512ELj32ELj1024ELj137ELj32Ell21rocsparse_complex_numIfEEEvT5_PKS3_S5_NS_24const_host_device_scalarIT6_EEPKT4_S5_PKS7_SB_S5_SD_S8_SB_S5_SD_SB_S5_PS7_21rocsparse_index_base_SF_SF_SF_bbb.uses_vcc, 1
	.set _ZN9rocsparseL41csrgemm_numeric_fill_block_per_row_kernelILj512ELj32ELj1024ELj137ELj32Ell21rocsparse_complex_numIfEEEvT5_PKS3_S5_NS_24const_host_device_scalarIT6_EEPKT4_S5_PKS7_SB_S5_SD_S8_SB_S5_SD_SB_S5_PS7_21rocsparse_index_base_SF_SF_SF_bbb.uses_flat_scratch, 0
	.set _ZN9rocsparseL41csrgemm_numeric_fill_block_per_row_kernelILj512ELj32ELj1024ELj137ELj32Ell21rocsparse_complex_numIfEEEvT5_PKS3_S5_NS_24const_host_device_scalarIT6_EEPKT4_S5_PKS7_SB_S5_SD_S8_SB_S5_SD_SB_S5_PS7_21rocsparse_index_base_SF_SF_SF_bbb.has_dyn_sized_stack, 0
	.set _ZN9rocsparseL41csrgemm_numeric_fill_block_per_row_kernelILj512ELj32ELj1024ELj137ELj32Ell21rocsparse_complex_numIfEEEvT5_PKS3_S5_NS_24const_host_device_scalarIT6_EEPKT4_S5_PKS7_SB_S5_SD_S8_SB_S5_SD_SB_S5_PS7_21rocsparse_index_base_SF_SF_SF_bbb.has_recursion, 0
	.set _ZN9rocsparseL41csrgemm_numeric_fill_block_per_row_kernelILj512ELj32ELj1024ELj137ELj32Ell21rocsparse_complex_numIfEEEvT5_PKS3_S5_NS_24const_host_device_scalarIT6_EEPKT4_S5_PKS7_SB_S5_SD_S8_SB_S5_SD_SB_S5_PS7_21rocsparse_index_base_SF_SF_SF_bbb.has_indirect_call, 0
	.section	.AMDGPU.csdata,"",@progbits
; Kernel info:
; codeLenInByte = 3288
; TotalNumSgprs: 66
; NumVgprs: 40
; NumAgprs: 0
; TotalNumVgprs: 40
; ScratchSize: 0
; MemoryBound: 0
; FloatMode: 240
; IeeeMode: 1
; LDSByteSize: 0 bytes/workgroup (compile time only)
; SGPRBlocks: 8
; VGPRBlocks: 4
; NumSGPRsForWavesPerEU: 66
; NumVGPRsForWavesPerEU: 40
; AccumOffset: 40
; Occupancy: 8
; WaveLimiterHint : 1
; COMPUTE_PGM_RSRC2:SCRATCH_EN: 0
; COMPUTE_PGM_RSRC2:USER_SGPR: 2
; COMPUTE_PGM_RSRC2:TRAP_HANDLER: 0
; COMPUTE_PGM_RSRC2:TGID_X_EN: 1
; COMPUTE_PGM_RSRC2:TGID_Y_EN: 0
; COMPUTE_PGM_RSRC2:TGID_Z_EN: 0
; COMPUTE_PGM_RSRC2:TIDIG_COMP_CNT: 0
; COMPUTE_PGM_RSRC3_GFX90A:ACCUM_OFFSET: 9
; COMPUTE_PGM_RSRC3_GFX90A:TG_SPLIT: 0
	.section	.text._ZN9rocsparseL41csrgemm_numeric_fill_block_per_row_kernelILj512ELj32ELj1024ELj137ELj64Ell21rocsparse_complex_numIfEEEvT5_PKS3_S5_NS_24const_host_device_scalarIT6_EEPKT4_S5_PKS7_SB_S5_SD_S8_SB_S5_SD_SB_S5_PS7_21rocsparse_index_base_SF_SF_SF_bbb,"axG",@progbits,_ZN9rocsparseL41csrgemm_numeric_fill_block_per_row_kernelILj512ELj32ELj1024ELj137ELj64Ell21rocsparse_complex_numIfEEEvT5_PKS3_S5_NS_24const_host_device_scalarIT6_EEPKT4_S5_PKS7_SB_S5_SD_S8_SB_S5_SD_SB_S5_PS7_21rocsparse_index_base_SF_SF_SF_bbb,comdat
	.globl	_ZN9rocsparseL41csrgemm_numeric_fill_block_per_row_kernelILj512ELj32ELj1024ELj137ELj64Ell21rocsparse_complex_numIfEEEvT5_PKS3_S5_NS_24const_host_device_scalarIT6_EEPKT4_S5_PKS7_SB_S5_SD_S8_SB_S5_SD_SB_S5_PS7_21rocsparse_index_base_SF_SF_SF_bbb ; -- Begin function _ZN9rocsparseL41csrgemm_numeric_fill_block_per_row_kernelILj512ELj32ELj1024ELj137ELj64Ell21rocsparse_complex_numIfEEEvT5_PKS3_S5_NS_24const_host_device_scalarIT6_EEPKT4_S5_PKS7_SB_S5_SD_S8_SB_S5_SD_SB_S5_PS7_21rocsparse_index_base_SF_SF_SF_bbb
	.p2align	8
	.type	_ZN9rocsparseL41csrgemm_numeric_fill_block_per_row_kernelILj512ELj32ELj1024ELj137ELj64Ell21rocsparse_complex_numIfEEEvT5_PKS3_S5_NS_24const_host_device_scalarIT6_EEPKT4_S5_PKS7_SB_S5_SD_S8_SB_S5_SD_SB_S5_PS7_21rocsparse_index_base_SF_SF_SF_bbb,@function
_ZN9rocsparseL41csrgemm_numeric_fill_block_per_row_kernelILj512ELj32ELj1024ELj137ELj64Ell21rocsparse_complex_numIfEEEvT5_PKS3_S5_NS_24const_host_device_scalarIT6_EEPKT4_S5_PKS7_SB_S5_SD_S8_SB_S5_SD_SB_S5_PS7_21rocsparse_index_base_SF_SF_SF_bbb: ; @_ZN9rocsparseL41csrgemm_numeric_fill_block_per_row_kernelILj512ELj32ELj1024ELj137ELj64Ell21rocsparse_complex_numIfEEEvT5_PKS3_S5_NS_24const_host_device_scalarIT6_EEPKT4_S5_PKS7_SB_S5_SD_S8_SB_S5_SD_SB_S5_PS7_21rocsparse_index_base_SF_SF_SF_bbb
; %bb.0:
	s_load_dwordx2 s[40:41], s[0:1], 0x70
	s_load_dwordx4 s[24:27], s[0:1], 0x50
	s_load_dword s3, s[0:1], 0x98
	s_load_dwordx4 s[36:39], s[0:1], 0x8
	s_load_dwordx8 s[8:15], s[0:1], 0x20
	s_load_dwordx2 s[34:35], s[0:1], 0x80
	s_load_dwordx4 s[16:19], s[0:1], 0x88
	s_waitcnt lgkmcnt(0)
	s_bitcmp1_b32 s3, 0
	s_cselect_b64 s[44:45], -1, 0
	s_bitcmp1_b32 s3, 16
	s_cselect_b64 s[4:5], -1, 0
	s_xor_b64 s[4:5], s[4:5], -1
	v_cndmask_b32_e64 v1, 0, 1, s[4:5]
	s_mov_b32 s7, 0
	s_bitcmp0_b32 s3, 0
	v_cmp_ne_u32_e64 s[4:5], 1, v1
	s_mov_b32 s59, 0
	s_cbranch_scc1 .LBB127_5
; %bb.1:
	s_load_dwordx2 s[6:7], s[0:1], 0x18
	s_and_b64 vcc, exec, s[4:5]
	s_waitcnt lgkmcnt(0)
	s_mov_b32 s59, s6
	s_cbranch_vccnz .LBB127_3
; %bb.2:
	s_load_dword s59, s[6:7], 0x0
.LBB127_3:
	s_and_b64 vcc, exec, s[4:5]
	s_cbranch_vccnz .LBB127_5
; %bb.4:
	s_load_dword s7, s[6:7], 0x4
.LBB127_5:
	s_nop 0
	s_load_dwordx4 s[20:23], s[0:1], 0x60
	s_load_dwordx4 s[28:31], s[0:1], 0x40
	s_bitcmp1_b32 s3, 8
	s_cselect_b64 s[42:43], -1, 0
	s_bfe_u32 s3, s3, 0x10008
	s_mov_b32 s33, 0
	s_cmp_eq_u32 s3, 0
	s_mov_b32 s58, 0
	s_cbranch_scc1 .LBB127_11
; %bb.6:
	s_and_b64 vcc, exec, s[4:5]
	s_mov_b32 s33, s24
	s_cbranch_vccnz .LBB127_8
; %bb.7:
	s_load_dword s33, s[24:25], 0x0
.LBB127_8:
	s_and_b64 vcc, exec, s[4:5]
	s_cbranch_vccnz .LBB127_10
; %bb.9:
	s_load_dword s25, s[24:25], 0x4
.LBB127_10:
	s_waitcnt lgkmcnt(0)
	s_mov_b32 s58, s25
.LBB127_11:
	s_load_dwordx2 s[24:25], s[0:1], 0x0
	v_or_b32_e32 v1, 0xfffffe00, v0
	v_lshl_add_u32 v20, v0, 3, 0
	s_mov_b64 s[0:1], 0
	v_mov_b32_e32 v2, 0
	s_waitcnt lgkmcnt(0)
	v_mov_b64_e32 v[6:7], s[24:25]
	v_mov_b32_e32 v3, v20
	v_mov_b32_e32 v4, v1
.LBB127_12:                             ; =>This Inner Loop Header: Depth=1
	v_add_co_u32_e32 v4, vcc, 0x200, v4
	s_xor_b64 s[4:5], vcc, -1
	s_and_b64 s[4:5], exec, s[4:5]
	ds_write_b64 v3, v[6:7]
	v_add_u32_e32 v5, 0x2000, v3
	v_add_u32_e32 v3, 0x1000, v3
	s_or_b64 s[0:1], s[4:5], s[0:1]
	ds_write2_b32 v5, v2, v2 offset1:1
	s_andn2_b64 exec, exec, s[0:1]
	s_cbranch_execnz .LBB127_12
; %bb.13:
	s_or_b64 exec, exec, s[0:1]
	s_waitcnt lgkmcnt(0)
	s_barrier
	s_load_dwordx2 s[0:1], s[36:37], 0x0
	s_mov_b32 s3, 0
	s_waitcnt lgkmcnt(0)
	s_lshl_b64 s[0:1], s[0:1], 3
	s_add_u32 s4, s38, s0
	s_addc_u32 s5, s39, s1
	s_lshl_b64 s[0:1], s[2:3], 3
	s_add_u32 s0, s4, s0
	s_addc_u32 s1, s5, s1
	s_load_dwordx2 s[36:37], s[0:1], 0x0
	s_and_b64 vcc, exec, s[44:45]
	s_cbranch_vccz .LBB127_33
; %bb.14:
	s_waitcnt lgkmcnt(0)
	s_lshl_b64 s[0:1], s[36:37], 3
	s_add_u32 s0, s8, s0
	s_addc_u32 s1, s9, s1
	s_load_dwordx4 s[44:47], s[0:1], 0x0
	v_lshrrev_b32_e32 v2, 5, v0
	v_subrev_co_u32_e32 v2, vcc, s16, v2
	s_waitcnt lgkmcnt(0)
	s_sub_u32 s0, s46, s16
	v_subb_co_u32_e64 v3, s[2:3], 0, 0, vcc
	s_subb_u32 s1, s47, 0
	v_lshl_add_u64 v[2:3], s[44:45], 0, v[2:3]
	v_cmp_gt_i64_e32 vcc, s[0:1], v[2:3]
	s_and_saveexec_b64 s[2:3], vcc
	s_cbranch_execz .LBB127_32
; %bb.15:
	v_and_b32_e32 v4, 31, v0
	v_subrev_co_u32_e32 v4, vcc, s17, v4
	s_mov_b32 s6, s17
	s_nop 0
	v_subb_co_u32_e64 v5, s[4:5], 0, 0, vcc
	s_mov_b64 s[4:5], 0
	s_movk_i32 s17, 0x89
	s_branch .LBB127_17
.LBB127_16:                             ;   in Loop: Header=BB127_17 Depth=1
	s_or_b64 exec, exec, s[8:9]
	v_lshl_add_u64 v[2:3], v[2:3], 0, 16
	v_cmp_le_i64_e32 vcc, s[0:1], v[2:3]
	s_or_b64 s[4:5], vcc, s[4:5]
	s_andn2_b64 exec, exec, s[4:5]
	s_cbranch_execz .LBB127_32
.LBB127_17:                             ; =>This Loop Header: Depth=1
                                        ;     Child Loop BB127_21 Depth 2
                                        ;       Child Loop BB127_24 Depth 3
	v_lshl_add_u64 v[6:7], v[2:3], 3, s[10:11]
	global_load_dwordx2 v[6:7], v[6:7], off
	s_waitcnt vmcnt(0)
	v_subrev_co_u32_e32 v6, vcc, s16, v6
	s_nop 1
	v_subbrev_co_u32_e32 v7, vcc, 0, v7, vcc
	v_lshl_add_u64 v[6:7], v[6:7], 3, s[14:15]
	global_load_dwordx4 v[8:11], v[6:7], off
	s_waitcnt vmcnt(0)
	v_subrev_co_u32_e32 v6, vcc, s6, v10
	s_nop 1
	v_subbrev_co_u32_e32 v7, vcc, 0, v11, vcc
	v_lshl_add_u64 v[8:9], v[8:9], 0, v[4:5]
	v_cmp_lt_i64_e32 vcc, v[8:9], v[6:7]
	s_and_saveexec_b64 s[8:9], vcc
	s_cbranch_execz .LBB127_16
; %bb.18:                               ;   in Loop: Header=BB127_17 Depth=1
	v_lshl_add_u64 v[10:11], v[2:3], 3, s[12:13]
	global_load_dwordx2 v[10:11], v[10:11], off
	s_mov_b64 s[38:39], 0
	s_waitcnt vmcnt(0)
	v_mul_f32_e64 v21, v11, -s7
	v_mul_f32_e32 v22, s59, v11
	v_fmac_f32_e32 v21, s59, v10
	v_fmac_f32_e32 v22, s7, v10
	s_branch .LBB127_21
.LBB127_19:                             ;   in Loop: Header=BB127_21 Depth=2
	s_or_b64 exec, exec, s[46:47]
.LBB127_20:                             ;   in Loop: Header=BB127_21 Depth=2
	s_or_b64 exec, exec, s[44:45]
	s_waitcnt vmcnt(0)
	v_mul_f32_e64 v13, v11, -v22
	v_mul_f32_e32 v11, v21, v11
	v_fmac_f32_e32 v13, v21, v10
	v_fmac_f32_e32 v11, v22, v10
	v_lshl_add_u32 v10, v12, 3, 0
	ds_add_f32 v10, v13 offset:8192
	ds_add_f32 v10, v11 offset:8196
	v_lshl_add_u64 v[8:9], v[8:9], 0, 32
	v_cmp_ge_i64_e32 vcc, v[8:9], v[6:7]
	s_or_b64 s[38:39], vcc, s[38:39]
	s_andn2_b64 exec, exec, s[38:39]
	s_cbranch_execz .LBB127_16
.LBB127_21:                             ;   Parent Loop BB127_17 Depth=1
                                        ; =>  This Loop Header: Depth=2
                                        ;       Child Loop BB127_24 Depth 3
	v_lshlrev_b64 v[10:11], 3, v[8:9]
	v_lshl_add_u64 v[12:13], s[28:29], 0, v[10:11]
	global_load_dwordx2 v[12:13], v[12:13], off
	v_lshl_add_u64 v[10:11], s[30:31], 0, v[10:11]
	global_load_dwordx2 v[10:11], v[10:11], off
	s_waitcnt vmcnt(1)
	v_subrev_co_u32_e32 v14, vcc, s6, v12
	v_mul_lo_u32 v12, v14, s17
	v_and_b32_e32 v12, 0x3ff, v12
	v_lshl_add_u32 v23, v12, 3, 0
	ds_read_b64 v[18:19], v23
	v_subbrev_co_u32_e32 v15, vcc, 0, v13, vcc
	s_waitcnt lgkmcnt(0)
	v_cmp_ne_u64_e32 vcc, v[18:19], v[14:15]
	s_and_saveexec_b64 s[44:45], vcc
	s_cbranch_execz .LBB127_20
; %bb.22:                               ;   in Loop: Header=BB127_21 Depth=2
	s_mov_b64 s[46:47], 0
                                        ; implicit-def: $sgpr48_sgpr49
                                        ; implicit-def: $sgpr50_sgpr51
	s_branch .LBB127_24
.LBB127_23:                             ;   in Loop: Header=BB127_24 Depth=3
	s_or_b64 exec, exec, s[56:57]
	s_and_b64 s[52:53], exec, s[54:55]
	s_or_b64 s[46:47], s[52:53], s[46:47]
	s_andn2_b64 s[48:49], s[48:49], exec
	s_and_b64 s[52:53], s[50:51], exec
	s_or_b64 s[48:49], s[48:49], s[52:53]
	s_andn2_b64 exec, exec, s[46:47]
	s_cbranch_execz .LBB127_30
.LBB127_24:                             ;   Parent Loop BB127_17 Depth=1
                                        ;     Parent Loop BB127_21 Depth=2
                                        ; =>    This Inner Loop Header: Depth=3
	v_mov_b64_e32 v[16:17], v[12:13]
	v_cmp_ne_u64_e32 vcc, s[24:25], v[18:19]
	s_mov_b64 s[52:53], 0
                                        ; implicit-def: $vgpr12_vgpr13
	s_and_saveexec_b64 s[54:55], vcc
	s_xor_b64 s[54:55], exec, s[54:55]
; %bb.25:                               ;   in Loop: Header=BB127_24 Depth=3
	v_add_u32_e32 v12, 1, v16
	s_mov_b64 s[52:53], exec
	v_and_b32_e32 v12, 0x3ff, v12
                                        ; implicit-def: $vgpr23
; %bb.26:                               ;   in Loop: Header=BB127_24 Depth=3
	s_andn2_saveexec_b64 s[54:55], s[54:55]
	s_cbranch_execz .LBB127_28
; %bb.27:                               ;   in Loop: Header=BB127_24 Depth=3
	v_mov_b64_e32 v[12:13], s[24:25]
	ds_cmpst_rtn_b64 v[12:13], v23, v[12:13], v[14:15]
	s_andn2_b64 s[52:53], s[52:53], exec
	s_waitcnt lgkmcnt(0)
	v_cmp_ne_u64_e32 vcc, s[24:25], v[12:13]
	s_and_b64 s[56:57], vcc, exec
	s_or_b64 s[52:53], s[52:53], s[56:57]
	v_mov_b64_e32 v[12:13], v[16:17]
.LBB127_28:                             ;   in Loop: Header=BB127_24 Depth=3
	s_or_b64 exec, exec, s[54:55]
	s_mov_b64 s[54:55], -1
	s_or_b64 s[50:51], s[50:51], exec
                                        ; implicit-def: $vgpr23
                                        ; implicit-def: $vgpr18_vgpr19
	s_and_saveexec_b64 s[56:57], s[52:53]
	s_cbranch_execz .LBB127_23
; %bb.29:                               ;   in Loop: Header=BB127_24 Depth=3
	v_lshl_add_u32 v23, v12, 3, 0
	ds_read_b64 v[18:19], v23
	s_andn2_b64 s[50:51], s[50:51], exec
	s_waitcnt lgkmcnt(0)
	v_cmp_eq_u64_e32 vcc, v[18:19], v[14:15]
	s_orn2_b64 s[54:55], vcc, exec
	s_branch .LBB127_23
.LBB127_30:                             ;   in Loop: Header=BB127_21 Depth=2
	s_or_b64 exec, exec, s[46:47]
	s_and_saveexec_b64 s[46:47], s[48:49]
	s_xor_b64 s[46:47], exec, s[46:47]
	s_cbranch_execz .LBB127_19
; %bb.31:                               ;   in Loop: Header=BB127_21 Depth=2
	v_mov_b32_e32 v12, v16
	s_branch .LBB127_19
.LBB127_32:
	s_or_b64 exec, exec, s[2:3]
.LBB127_33:
	s_andn2_b64 vcc, exec, s[42:43]
	s_cbranch_vccnz .LBB127_50
; %bb.34:
	s_waitcnt lgkmcnt(0)
	s_lshl_b64 s[0:1], s[36:37], 3
	s_add_u32 s0, s26, s0
	s_addc_u32 s1, s27, s1
	s_load_dwordx4 s[4:7], s[0:1], 0x0
	v_subrev_co_u32_e32 v2, vcc, s19, v0
	s_waitcnt lgkmcnt(0)
	s_sub_u32 s0, s6, s19
	v_subb_co_u32_e64 v3, s[2:3], 0, 0, vcc
	s_subb_u32 s1, s7, 0
	v_lshl_add_u64 v[2:3], s[4:5], 0, v[2:3]
	v_cmp_gt_i64_e32 vcc, s[0:1], v[2:3]
	s_and_saveexec_b64 s[2:3], vcc
	s_cbranch_execz .LBB127_49
; %bb.35:
	s_mov_b32 s30, s19
	s_mov_b64 s[4:5], 0
	s_movk_i32 s19, 0x89
	s_mov_b64 s[6:7], 0x200
	s_branch .LBB127_38
.LBB127_36:                             ;   in Loop: Header=BB127_38 Depth=1
	s_or_b64 exec, exec, s[10:11]
.LBB127_37:                             ;   in Loop: Header=BB127_38 Depth=1
	s_or_b64 exec, exec, s[8:9]
	s_waitcnt vmcnt(0)
	v_mul_f32_e64 v7, v5, -s58
	v_mul_f32_e32 v5, s33, v5
	v_fmac_f32_e32 v7, s33, v4
	v_fmac_f32_e32 v5, s58, v4
	v_lshl_add_u32 v4, v6, 3, 0
	ds_add_f32 v4, v7 offset:8192
	ds_add_f32 v4, v5 offset:8196
	v_lshl_add_u64 v[2:3], v[2:3], 0, s[6:7]
	v_cmp_le_i64_e32 vcc, s[0:1], v[2:3]
	s_or_b64 s[4:5], vcc, s[4:5]
	s_andn2_b64 exec, exec, s[4:5]
	s_cbranch_execz .LBB127_49
.LBB127_38:                             ; =>This Loop Header: Depth=1
                                        ;     Child Loop BB127_41 Depth 2
	v_lshlrev_b64 v[4:5], 3, v[2:3]
	v_lshl_add_u64 v[6:7], s[20:21], 0, v[4:5]
	global_load_dwordx2 v[6:7], v[6:7], off
	v_lshl_add_u64 v[4:5], s[22:23], 0, v[4:5]
	global_load_dwordx2 v[4:5], v[4:5], off
	s_waitcnt vmcnt(1)
	v_subrev_co_u32_e32 v8, vcc, s30, v6
	v_mul_lo_u32 v6, v8, s19
	v_and_b32_e32 v6, 0x3ff, v6
	v_lshl_add_u32 v14, v6, 3, 0
	ds_read_b64 v[12:13], v14
	v_subbrev_co_u32_e32 v9, vcc, 0, v7, vcc
	s_waitcnt lgkmcnt(0)
	v_cmp_ne_u64_e32 vcc, v[12:13], v[8:9]
	s_and_saveexec_b64 s[8:9], vcc
	s_cbranch_execz .LBB127_37
; %bb.39:                               ;   in Loop: Header=BB127_38 Depth=1
	s_mov_b64 s[10:11], 0
                                        ; implicit-def: $sgpr12_sgpr13
                                        ; implicit-def: $sgpr14_sgpr15
	s_branch .LBB127_41
.LBB127_40:                             ;   in Loop: Header=BB127_41 Depth=2
	s_or_b64 exec, exec, s[28:29]
	s_and_b64 s[16:17], exec, s[26:27]
	s_or_b64 s[10:11], s[16:17], s[10:11]
	s_andn2_b64 s[12:13], s[12:13], exec
	s_and_b64 s[16:17], s[14:15], exec
	s_or_b64 s[12:13], s[12:13], s[16:17]
	s_andn2_b64 exec, exec, s[10:11]
	s_cbranch_execz .LBB127_47
.LBB127_41:                             ;   Parent Loop BB127_38 Depth=1
                                        ; =>  This Inner Loop Header: Depth=2
	v_mov_b64_e32 v[10:11], v[6:7]
	v_cmp_ne_u64_e32 vcc, s[24:25], v[12:13]
	s_mov_b64 s[16:17], 0
                                        ; implicit-def: $vgpr6_vgpr7
	s_and_saveexec_b64 s[26:27], vcc
	s_xor_b64 s[26:27], exec, s[26:27]
; %bb.42:                               ;   in Loop: Header=BB127_41 Depth=2
	v_add_u32_e32 v6, 1, v10
	s_mov_b64 s[16:17], exec
	v_and_b32_e32 v6, 0x3ff, v6
                                        ; implicit-def: $vgpr14
; %bb.43:                               ;   in Loop: Header=BB127_41 Depth=2
	s_andn2_saveexec_b64 s[26:27], s[26:27]
	s_cbranch_execz .LBB127_45
; %bb.44:                               ;   in Loop: Header=BB127_41 Depth=2
	v_mov_b64_e32 v[6:7], s[24:25]
	ds_cmpst_rtn_b64 v[6:7], v14, v[6:7], v[8:9]
	s_andn2_b64 s[16:17], s[16:17], exec
	s_waitcnt lgkmcnt(0)
	v_cmp_ne_u64_e32 vcc, s[24:25], v[6:7]
	s_and_b64 s[28:29], vcc, exec
	s_or_b64 s[16:17], s[16:17], s[28:29]
	v_mov_b64_e32 v[6:7], v[10:11]
.LBB127_45:                             ;   in Loop: Header=BB127_41 Depth=2
	s_or_b64 exec, exec, s[26:27]
	s_mov_b64 s[26:27], -1
	s_or_b64 s[14:15], s[14:15], exec
                                        ; implicit-def: $vgpr14
                                        ; implicit-def: $vgpr12_vgpr13
	s_and_saveexec_b64 s[28:29], s[16:17]
	s_cbranch_execz .LBB127_40
; %bb.46:                               ;   in Loop: Header=BB127_41 Depth=2
	v_lshl_add_u32 v14, v6, 3, 0
	ds_read_b64 v[12:13], v14
	s_andn2_b64 s[14:15], s[14:15], exec
	s_waitcnt lgkmcnt(0)
	v_cmp_eq_u64_e32 vcc, v[12:13], v[8:9]
	s_orn2_b64 s[26:27], vcc, exec
	s_branch .LBB127_40
.LBB127_47:                             ;   in Loop: Header=BB127_38 Depth=1
	s_or_b64 exec, exec, s[10:11]
	s_and_saveexec_b64 s[10:11], s[12:13]
	s_xor_b64 s[10:11], exec, s[10:11]
	s_cbranch_execz .LBB127_36
; %bb.48:                               ;   in Loop: Header=BB127_38 Depth=1
	v_mov_b32_e32 v6, v10
	s_branch .LBB127_36
.LBB127_49:
	s_or_b64 exec, exec, s[2:3]
.LBB127_50:
	v_mbcnt_lo_u32_b32 v2, -1, 0
	v_mbcnt_hi_u32_b32 v2, -1, v2
	v_sub_u32_e32 v2, 63, v2
	v_lshrrev_b64 v[4:5], v2, -1
	v_lshrrev_b32_e32 v2, 3, v0
	v_and_b32_e32 v2, 56, v2
	s_movk_i32 s0, 0x1ff
	s_movk_i32 s4, 0x7f
	;; [unrolled: 1-line block ×7, first 2 shown]
	v_mov_b32_e32 v3, 0
	v_add_u32_e32 v14, 0, v2
	v_cmp_eq_u32_e64 s[0:1], s0, v0
	v_cmp_lt_u32_e64 s[2:3], 63, v0
	v_cmp_lt_u32_e64 s[4:5], s4, v0
	;; [unrolled: 1-line block ×7, first 2 shown]
	s_mov_b64 s[16:17], 0
	v_mov_b64_e32 v[6:7], 0
	s_waitcnt lgkmcnt(0)
	s_barrier
	s_branch .LBB127_52
.LBB127_51:                             ;   in Loop: Header=BB127_52 Depth=1
	s_or_b64 exec, exec, s[20:21]
	s_waitcnt lgkmcnt(0)
	s_barrier
	ds_read_b64 v[8:9], v3 offset:16440
	v_add_co_u32_e32 v1, vcc, 0x200, v1
	s_xor_b64 s[20:21], vcc, -1
	s_and_b64 s[20:21], exec, s[20:21]
	s_waitcnt lgkmcnt(0)
	v_lshl_add_u64 v[6:7], v[8:9], 0, v[6:7]
	s_or_b64 s[16:17], s[20:21], s[16:17]
	v_add_u32_e32 v20, 0x1000, v20
	s_andn2_b64 exec, exec, s[16:17]
	s_cbranch_execz .LBB127_70
.LBB127_52:                             ; =>This Inner Loop Header: Depth=1
	ds_read_b64 v[8:9], v20
	v_add_u32_e32 v2, 0x2000, v20
	ds_read2_b32 v[10:11], v2 offset1:1
	s_waitcnt lgkmcnt(0)
	s_barrier
	v_cmp_gt_i64_e32 vcc, s[24:25], v[8:9]
	s_bcnt1_i32_b64 s19, vcc
	v_mov_b32_e32 v2, s19
	v_and_b32_e32 v13, vcc_lo, v4
	v_and_b32_e32 v12, vcc_hi, v5
	v_bcnt_u32_b32 v13, v13, 0
	v_bcnt_u32_b32 v12, v12, v13
	ds_write_b64 v14, v[2:3] offset:16384
	s_waitcnt lgkmcnt(0)
	s_barrier
	s_and_saveexec_b64 s[20:21], s[2:3]
	s_cbranch_execnz .LBB127_61
; %bb.53:                               ;   in Loop: Header=BB127_52 Depth=1
	s_or_b64 exec, exec, s[20:21]
	s_and_saveexec_b64 s[20:21], s[4:5]
	s_cbranch_execnz .LBB127_62
.LBB127_54:                             ;   in Loop: Header=BB127_52 Depth=1
	s_or_b64 exec, exec, s[20:21]
	s_and_saveexec_b64 s[20:21], s[6:7]
	s_cbranch_execnz .LBB127_63
.LBB127_55:                             ;   in Loop: Header=BB127_52 Depth=1
	s_or_b64 exec, exec, s[20:21]
	s_and_saveexec_b64 s[20:21], s[8:9]
	s_cbranch_execnz .LBB127_64
.LBB127_56:                             ;   in Loop: Header=BB127_52 Depth=1
	s_or_b64 exec, exec, s[20:21]
	s_and_saveexec_b64 s[20:21], s[10:11]
	s_cbranch_execnz .LBB127_65
.LBB127_57:                             ;   in Loop: Header=BB127_52 Depth=1
	s_or_b64 exec, exec, s[20:21]
	s_and_saveexec_b64 s[20:21], s[12:13]
	s_cbranch_execnz .LBB127_66
.LBB127_58:                             ;   in Loop: Header=BB127_52 Depth=1
	s_or_b64 exec, exec, s[20:21]
	s_and_saveexec_b64 s[20:21], s[14:15]
	s_cbranch_execnz .LBB127_67
.LBB127_59:                             ;   in Loop: Header=BB127_52 Depth=1
	s_or_b64 exec, exec, s[20:21]
	v_ashrrev_i32_e32 v13, 31, v12
	s_and_saveexec_b64 s[20:21], vcc
	s_cbranch_execnz .LBB127_68
.LBB127_60:                             ;   in Loop: Header=BB127_52 Depth=1
	s_or_b64 exec, exec, s[20:21]
	s_and_saveexec_b64 s[20:21], s[0:1]
	s_cbranch_execz .LBB127_51
	s_branch .LBB127_69
.LBB127_61:                             ;   in Loop: Header=BB127_52 Depth=1
	ds_read_b32 v2, v3 offset:16384
	s_waitcnt lgkmcnt(0)
	v_add_u32_e32 v12, v2, v12
	s_or_b64 exec, exec, s[20:21]
	s_and_saveexec_b64 s[20:21], s[4:5]
	s_cbranch_execz .LBB127_54
.LBB127_62:                             ;   in Loop: Header=BB127_52 Depth=1
	ds_read_b32 v2, v3 offset:16392
	s_waitcnt lgkmcnt(0)
	v_add_u32_e32 v12, v12, v2
	s_or_b64 exec, exec, s[20:21]
	s_and_saveexec_b64 s[20:21], s[6:7]
	s_cbranch_execz .LBB127_55
.LBB127_63:                             ;   in Loop: Header=BB127_52 Depth=1
	ds_read_b32 v2, v3 offset:16400
	s_waitcnt lgkmcnt(0)
	v_add_u32_e32 v12, v12, v2
	s_or_b64 exec, exec, s[20:21]
	s_and_saveexec_b64 s[20:21], s[8:9]
	s_cbranch_execz .LBB127_56
.LBB127_64:                             ;   in Loop: Header=BB127_52 Depth=1
	ds_read_b32 v2, v3 offset:16408
	s_waitcnt lgkmcnt(0)
	v_add_u32_e32 v12, v12, v2
	s_or_b64 exec, exec, s[20:21]
	s_and_saveexec_b64 s[20:21], s[10:11]
	s_cbranch_execz .LBB127_57
.LBB127_65:                             ;   in Loop: Header=BB127_52 Depth=1
	ds_read_b32 v2, v3 offset:16416
	s_waitcnt lgkmcnt(0)
	v_add_u32_e32 v12, v12, v2
	s_or_b64 exec, exec, s[20:21]
	s_and_saveexec_b64 s[20:21], s[12:13]
	s_cbranch_execz .LBB127_58
.LBB127_66:                             ;   in Loop: Header=BB127_52 Depth=1
	ds_read_b32 v2, v3 offset:16424
	s_waitcnt lgkmcnt(0)
	v_add_u32_e32 v12, v12, v2
	s_or_b64 exec, exec, s[20:21]
	s_and_saveexec_b64 s[20:21], s[14:15]
	s_cbranch_execz .LBB127_59
.LBB127_67:                             ;   in Loop: Header=BB127_52 Depth=1
	ds_read_b32 v2, v3 offset:16432
	s_waitcnt lgkmcnt(0)
	v_add_u32_e32 v12, v12, v2
	s_or_b64 exec, exec, s[20:21]
	v_ashrrev_i32_e32 v13, 31, v12
	s_and_saveexec_b64 s[20:21], vcc
	s_cbranch_execz .LBB127_60
.LBB127_68:                             ;   in Loop: Header=BB127_52 Depth=1
	v_add3_u32 v2, v6, -1, v12
	v_add_u32_e32 v15, v6, v12
	v_lshl_add_u32 v2, v2, 3, 0
	v_lshl_add_u32 v15, v15, 3, 0
	v_add_u32_e32 v15, 0x1ff8, v15
	ds_write_b64 v2, v[8:9]
	ds_write2_b32 v15, v10, v11 offset1:1
	s_or_b64 exec, exec, s[20:21]
	s_and_saveexec_b64 s[20:21], s[0:1]
	s_cbranch_execz .LBB127_51
.LBB127_69:                             ;   in Loop: Header=BB127_52 Depth=1
	ds_write_b64 v3, v[12:13] offset:16440
	s_branch .LBB127_51
.LBB127_70:
	s_or_b64 exec, exec, s[16:17]
	s_lshl_b64 s[0:1], s[36:37], 3
	s_add_u32 s4, s40, s0
	s_addc_u32 s5, s41, s1
	s_load_dwordx4 s[0:3], s[4:5], 0x0
	v_mov_b32_e32 v1, 0
	s_waitcnt lgkmcnt(0)
	s_sub_u32 s4, s2, s0
	s_subb_u32 s5, s3, s1
	v_cmp_gt_i64_e32 vcc, s[4:5], v[0:1]
	s_and_saveexec_b64 s[6:7], vcc
	s_cbranch_execz .LBB127_80
; %bb.71:
	s_sub_u32 s8, s0, s18
	s_subb_u32 s9, s1, 0
	s_and_b32 s6, s4, 7
	s_sub_u32 s0, s0, s2
	s_mov_b32 s7, 0
	s_subb_u32 s1, s1, s3
	s_and_b32 s10, s4, -8
	s_cmp_lg_u64 s[6:7], 0
	v_cmp_lt_u64_e64 s[0:1], s[0:1], -7
	s_cselect_b64 s[2:3], -1, 0
	s_mov_b32 s11, s5
	v_cndmask_b32_e64 v2, 0, 1, s[0:1]
	v_cmp_ne_u32_e64 s[0:1], 1, v2
	v_cndmask_b32_e64 v2, 0, 1, s[2:3]
	s_mov_b64 s[12:13], 0
	v_cmp_ne_u32_e64 s[2:3], 1, v2
	s_mov_b64 s[14:15], 0x200
	s_branch .LBB127_73
.LBB127_72:                             ;   in Loop: Header=BB127_73 Depth=1
	v_lshl_add_u64 v[0:1], v[0:1], 0, s[14:15]
	v_cmp_le_i64_e32 vcc, s[4:5], v[0:1]
	s_waitcnt lgkmcnt(1)
	v_lshl_add_u64 v[4:5], v[6:7], 3, s[34:35]
	s_or_b64 s[12:13], vcc, s[12:13]
	s_waitcnt lgkmcnt(0)
	global_store_dwordx2 v[4:5], v[2:3], off
	s_andn2_b64 exec, exec, s[12:13]
	s_cbranch_execz .LBB127_80
.LBB127_73:                             ; =>This Loop Header: Depth=1
                                        ;     Child Loop BB127_75 Depth 2
                                        ;     Child Loop BB127_79 Depth 2
	v_lshl_add_u32 v2, v0, 3, 0
	v_add_u32_e32 v3, 0x2000, v2
	ds_read_b64 v[4:5], v2
	ds_read2_b32 v[2:3], v3 offset1:1
	s_and_b64 vcc, exec, s[0:1]
	v_mov_b64_e32 v[6:7], s[8:9]
	s_mov_b64 s[16:17], 0
	s_cbranch_vccnz .LBB127_77
; %bb.74:                               ;   in Loop: Header=BB127_73 Depth=1
	s_mov_b32 s18, 0
	v_mov_b64_e32 v[6:7], s[8:9]
.LBB127_75:                             ;   Parent Loop BB127_73 Depth=1
                                        ; =>  This Inner Loop Header: Depth=2
	v_mov_b32_e32 v20, s18
	ds_read2_b64 v[8:11], v20 offset1:1
	ds_read2_b64 v[12:15], v20 offset0:2 offset1:3
	ds_read2_b64 v[16:19], v20 offset0:4 offset1:5
	;; [unrolled: 1-line block ×3, first 2 shown]
	v_mov_b32_e32 v25, s7
	s_waitcnt lgkmcnt(3)
	v_cmp_gt_i64_e32 vcc, v[4:5], v[8:9]
	v_mov_b32_e32 v27, s7
	v_mov_b32_e32 v29, s7
	v_cndmask_b32_e64 v24, 0, 1, vcc
	v_cmp_gt_i64_e32 vcc, v[4:5], v[10:11]
	v_lshl_add_u64 v[6:7], v[6:7], 0, v[24:25]
	v_mov_b32_e32 v31, s7
	v_cndmask_b32_e64 v26, 0, 1, vcc
	s_waitcnt lgkmcnt(2)
	v_cmp_gt_i64_e32 vcc, v[4:5], v[12:13]
	v_lshl_add_u64 v[6:7], v[6:7], 0, v[26:27]
	v_mov_b32_e32 v33, s7
	v_cndmask_b32_e64 v28, 0, 1, vcc
	v_cmp_gt_i64_e32 vcc, v[4:5], v[14:15]
	v_lshl_add_u64 v[6:7], v[6:7], 0, v[28:29]
	v_mov_b32_e32 v35, s7
	v_cndmask_b32_e64 v30, 0, 1, vcc
	s_waitcnt lgkmcnt(1)
	v_cmp_gt_i64_e32 vcc, v[4:5], v[16:17]
	v_lshl_add_u64 v[6:7], v[6:7], 0, v[30:31]
	v_mov_b32_e32 v37, s7
	v_cndmask_b32_e64 v32, 0, 1, vcc
	v_cmp_gt_i64_e32 vcc, v[4:5], v[18:19]
	v_lshl_add_u64 v[6:7], v[6:7], 0, v[32:33]
	s_add_u32 s16, s16, 8
	v_cndmask_b32_e64 v34, 0, 1, vcc
	s_waitcnt lgkmcnt(0)
	v_cmp_gt_i64_e32 vcc, v[4:5], v[20:21]
	v_lshl_add_u64 v[6:7], v[6:7], 0, v[34:35]
	v_mov_b32_e32 v39, s7
	v_cndmask_b32_e64 v36, 0, 1, vcc
	v_cmp_gt_i64_e32 vcc, v[4:5], v[22:23]
	s_addc_u32 s17, s17, 0
	s_add_i32 s18, s18, 64
	v_cndmask_b32_e64 v38, 0, 1, vcc
	v_lshl_add_u64 v[6:7], v[6:7], 0, v[36:37]
	s_cmp_eq_u64 s[10:11], s[16:17]
	v_lshl_add_u64 v[6:7], v[6:7], 0, v[38:39]
	s_cbranch_scc0 .LBB127_75
; %bb.76:                               ;   in Loop: Header=BB127_73 Depth=1
	s_mov_b64 s[16:17], s[10:11]
.LBB127_77:                             ;   in Loop: Header=BB127_73 Depth=1
	s_and_b64 vcc, exec, s[2:3]
	s_cbranch_vccnz .LBB127_72
; %bb.78:                               ;   in Loop: Header=BB127_73 Depth=1
	s_lshl_b32 s16, s16, 3
	s_add_i32 s18, s16, 0
	s_mov_b64 s[16:17], s[6:7]
.LBB127_79:                             ;   Parent Loop BB127_73 Depth=1
                                        ; =>  This Inner Loop Header: Depth=2
	v_mov_b32_e32 v8, s18
	ds_read_b64 v[10:11], v8
	s_add_i32 s18, s18, 8
	s_add_u32 s16, s16, -1
	v_mov_b32_e32 v9, s7
	s_addc_u32 s17, s17, -1
	s_waitcnt lgkmcnt(0)
	v_cmp_gt_i64_e32 vcc, v[4:5], v[10:11]
	s_cmp_lg_u64 s[16:17], 0
	s_nop 0
	v_cndmask_b32_e64 v8, 0, 1, vcc
	v_lshl_add_u64 v[6:7], v[6:7], 0, v[8:9]
	s_cbranch_scc1 .LBB127_79
	s_branch .LBB127_72
.LBB127_80:
	s_endpgm
	.section	.rodata,"a",@progbits
	.p2align	6, 0x0
	.amdhsa_kernel _ZN9rocsparseL41csrgemm_numeric_fill_block_per_row_kernelILj512ELj32ELj1024ELj137ELj64Ell21rocsparse_complex_numIfEEEvT5_PKS3_S5_NS_24const_host_device_scalarIT6_EEPKT4_S5_PKS7_SB_S5_SD_S8_SB_S5_SD_SB_S5_PS7_21rocsparse_index_base_SF_SF_SF_bbb
		.amdhsa_group_segment_fixed_size 0
		.amdhsa_private_segment_fixed_size 0
		.amdhsa_kernarg_size 156
		.amdhsa_user_sgpr_count 2
		.amdhsa_user_sgpr_dispatch_ptr 0
		.amdhsa_user_sgpr_queue_ptr 0
		.amdhsa_user_sgpr_kernarg_segment_ptr 1
		.amdhsa_user_sgpr_dispatch_id 0
		.amdhsa_user_sgpr_kernarg_preload_length 0
		.amdhsa_user_sgpr_kernarg_preload_offset 0
		.amdhsa_user_sgpr_private_segment_size 0
		.amdhsa_uses_dynamic_stack 0
		.amdhsa_enable_private_segment 0
		.amdhsa_system_sgpr_workgroup_id_x 1
		.amdhsa_system_sgpr_workgroup_id_y 0
		.amdhsa_system_sgpr_workgroup_id_z 0
		.amdhsa_system_sgpr_workgroup_info 0
		.amdhsa_system_vgpr_workitem_id 0
		.amdhsa_next_free_vgpr 40
		.amdhsa_next_free_sgpr 60
		.amdhsa_accum_offset 40
		.amdhsa_reserve_vcc 1
		.amdhsa_float_round_mode_32 0
		.amdhsa_float_round_mode_16_64 0
		.amdhsa_float_denorm_mode_32 3
		.amdhsa_float_denorm_mode_16_64 3
		.amdhsa_dx10_clamp 1
		.amdhsa_ieee_mode 1
		.amdhsa_fp16_overflow 0
		.amdhsa_tg_split 0
		.amdhsa_exception_fp_ieee_invalid_op 0
		.amdhsa_exception_fp_denorm_src 0
		.amdhsa_exception_fp_ieee_div_zero 0
		.amdhsa_exception_fp_ieee_overflow 0
		.amdhsa_exception_fp_ieee_underflow 0
		.amdhsa_exception_fp_ieee_inexact 0
		.amdhsa_exception_int_div_zero 0
	.end_amdhsa_kernel
	.section	.text._ZN9rocsparseL41csrgemm_numeric_fill_block_per_row_kernelILj512ELj32ELj1024ELj137ELj64Ell21rocsparse_complex_numIfEEEvT5_PKS3_S5_NS_24const_host_device_scalarIT6_EEPKT4_S5_PKS7_SB_S5_SD_S8_SB_S5_SD_SB_S5_PS7_21rocsparse_index_base_SF_SF_SF_bbb,"axG",@progbits,_ZN9rocsparseL41csrgemm_numeric_fill_block_per_row_kernelILj512ELj32ELj1024ELj137ELj64Ell21rocsparse_complex_numIfEEEvT5_PKS3_S5_NS_24const_host_device_scalarIT6_EEPKT4_S5_PKS7_SB_S5_SD_S8_SB_S5_SD_SB_S5_PS7_21rocsparse_index_base_SF_SF_SF_bbb,comdat
.Lfunc_end127:
	.size	_ZN9rocsparseL41csrgemm_numeric_fill_block_per_row_kernelILj512ELj32ELj1024ELj137ELj64Ell21rocsparse_complex_numIfEEEvT5_PKS3_S5_NS_24const_host_device_scalarIT6_EEPKT4_S5_PKS7_SB_S5_SD_S8_SB_S5_SD_SB_S5_PS7_21rocsparse_index_base_SF_SF_SF_bbb, .Lfunc_end127-_ZN9rocsparseL41csrgemm_numeric_fill_block_per_row_kernelILj512ELj32ELj1024ELj137ELj64Ell21rocsparse_complex_numIfEEEvT5_PKS3_S5_NS_24const_host_device_scalarIT6_EEPKT4_S5_PKS7_SB_S5_SD_S8_SB_S5_SD_SB_S5_PS7_21rocsparse_index_base_SF_SF_SF_bbb
                                        ; -- End function
	.set _ZN9rocsparseL41csrgemm_numeric_fill_block_per_row_kernelILj512ELj32ELj1024ELj137ELj64Ell21rocsparse_complex_numIfEEEvT5_PKS3_S5_NS_24const_host_device_scalarIT6_EEPKT4_S5_PKS7_SB_S5_SD_S8_SB_S5_SD_SB_S5_PS7_21rocsparse_index_base_SF_SF_SF_bbb.num_vgpr, 40
	.set _ZN9rocsparseL41csrgemm_numeric_fill_block_per_row_kernelILj512ELj32ELj1024ELj137ELj64Ell21rocsparse_complex_numIfEEEvT5_PKS3_S5_NS_24const_host_device_scalarIT6_EEPKT4_S5_PKS7_SB_S5_SD_S8_SB_S5_SD_SB_S5_PS7_21rocsparse_index_base_SF_SF_SF_bbb.num_agpr, 0
	.set _ZN9rocsparseL41csrgemm_numeric_fill_block_per_row_kernelILj512ELj32ELj1024ELj137ELj64Ell21rocsparse_complex_numIfEEEvT5_PKS3_S5_NS_24const_host_device_scalarIT6_EEPKT4_S5_PKS7_SB_S5_SD_S8_SB_S5_SD_SB_S5_PS7_21rocsparse_index_base_SF_SF_SF_bbb.numbered_sgpr, 60
	.set _ZN9rocsparseL41csrgemm_numeric_fill_block_per_row_kernelILj512ELj32ELj1024ELj137ELj64Ell21rocsparse_complex_numIfEEEvT5_PKS3_S5_NS_24const_host_device_scalarIT6_EEPKT4_S5_PKS7_SB_S5_SD_S8_SB_S5_SD_SB_S5_PS7_21rocsparse_index_base_SF_SF_SF_bbb.num_named_barrier, 0
	.set _ZN9rocsparseL41csrgemm_numeric_fill_block_per_row_kernelILj512ELj32ELj1024ELj137ELj64Ell21rocsparse_complex_numIfEEEvT5_PKS3_S5_NS_24const_host_device_scalarIT6_EEPKT4_S5_PKS7_SB_S5_SD_S8_SB_S5_SD_SB_S5_PS7_21rocsparse_index_base_SF_SF_SF_bbb.private_seg_size, 0
	.set _ZN9rocsparseL41csrgemm_numeric_fill_block_per_row_kernelILj512ELj32ELj1024ELj137ELj64Ell21rocsparse_complex_numIfEEEvT5_PKS3_S5_NS_24const_host_device_scalarIT6_EEPKT4_S5_PKS7_SB_S5_SD_S8_SB_S5_SD_SB_S5_PS7_21rocsparse_index_base_SF_SF_SF_bbb.uses_vcc, 1
	.set _ZN9rocsparseL41csrgemm_numeric_fill_block_per_row_kernelILj512ELj32ELj1024ELj137ELj64Ell21rocsparse_complex_numIfEEEvT5_PKS3_S5_NS_24const_host_device_scalarIT6_EEPKT4_S5_PKS7_SB_S5_SD_S8_SB_S5_SD_SB_S5_PS7_21rocsparse_index_base_SF_SF_SF_bbb.uses_flat_scratch, 0
	.set _ZN9rocsparseL41csrgemm_numeric_fill_block_per_row_kernelILj512ELj32ELj1024ELj137ELj64Ell21rocsparse_complex_numIfEEEvT5_PKS3_S5_NS_24const_host_device_scalarIT6_EEPKT4_S5_PKS7_SB_S5_SD_S8_SB_S5_SD_SB_S5_PS7_21rocsparse_index_base_SF_SF_SF_bbb.has_dyn_sized_stack, 0
	.set _ZN9rocsparseL41csrgemm_numeric_fill_block_per_row_kernelILj512ELj32ELj1024ELj137ELj64Ell21rocsparse_complex_numIfEEEvT5_PKS3_S5_NS_24const_host_device_scalarIT6_EEPKT4_S5_PKS7_SB_S5_SD_S8_SB_S5_SD_SB_S5_PS7_21rocsparse_index_base_SF_SF_SF_bbb.has_recursion, 0
	.set _ZN9rocsparseL41csrgemm_numeric_fill_block_per_row_kernelILj512ELj32ELj1024ELj137ELj64Ell21rocsparse_complex_numIfEEEvT5_PKS3_S5_NS_24const_host_device_scalarIT6_EEPKT4_S5_PKS7_SB_S5_SD_S8_SB_S5_SD_SB_S5_PS7_21rocsparse_index_base_SF_SF_SF_bbb.has_indirect_call, 0
	.section	.AMDGPU.csdata,"",@progbits
; Kernel info:
; codeLenInByte = 2876
; TotalNumSgprs: 66
; NumVgprs: 40
; NumAgprs: 0
; TotalNumVgprs: 40
; ScratchSize: 0
; MemoryBound: 0
; FloatMode: 240
; IeeeMode: 1
; LDSByteSize: 0 bytes/workgroup (compile time only)
; SGPRBlocks: 8
; VGPRBlocks: 4
; NumSGPRsForWavesPerEU: 66
; NumVGPRsForWavesPerEU: 40
; AccumOffset: 40
; Occupancy: 8
; WaveLimiterHint : 1
; COMPUTE_PGM_RSRC2:SCRATCH_EN: 0
; COMPUTE_PGM_RSRC2:USER_SGPR: 2
; COMPUTE_PGM_RSRC2:TRAP_HANDLER: 0
; COMPUTE_PGM_RSRC2:TGID_X_EN: 1
; COMPUTE_PGM_RSRC2:TGID_Y_EN: 0
; COMPUTE_PGM_RSRC2:TGID_Z_EN: 0
; COMPUTE_PGM_RSRC2:TIDIG_COMP_CNT: 0
; COMPUTE_PGM_RSRC3_GFX90A:ACCUM_OFFSET: 9
; COMPUTE_PGM_RSRC3_GFX90A:TG_SPLIT: 0
	.section	.text._ZN9rocsparseL41csrgemm_numeric_fill_block_per_row_kernelILj1024ELj32ELj2048ELj137ELj32Ell21rocsparse_complex_numIfEEEvT5_PKS3_S5_NS_24const_host_device_scalarIT6_EEPKT4_S5_PKS7_SB_S5_SD_S8_SB_S5_SD_SB_S5_PS7_21rocsparse_index_base_SF_SF_SF_bbb,"axG",@progbits,_ZN9rocsparseL41csrgemm_numeric_fill_block_per_row_kernelILj1024ELj32ELj2048ELj137ELj32Ell21rocsparse_complex_numIfEEEvT5_PKS3_S5_NS_24const_host_device_scalarIT6_EEPKT4_S5_PKS7_SB_S5_SD_S8_SB_S5_SD_SB_S5_PS7_21rocsparse_index_base_SF_SF_SF_bbb,comdat
	.globl	_ZN9rocsparseL41csrgemm_numeric_fill_block_per_row_kernelILj1024ELj32ELj2048ELj137ELj32Ell21rocsparse_complex_numIfEEEvT5_PKS3_S5_NS_24const_host_device_scalarIT6_EEPKT4_S5_PKS7_SB_S5_SD_S8_SB_S5_SD_SB_S5_PS7_21rocsparse_index_base_SF_SF_SF_bbb ; -- Begin function _ZN9rocsparseL41csrgemm_numeric_fill_block_per_row_kernelILj1024ELj32ELj2048ELj137ELj32Ell21rocsparse_complex_numIfEEEvT5_PKS3_S5_NS_24const_host_device_scalarIT6_EEPKT4_S5_PKS7_SB_S5_SD_S8_SB_S5_SD_SB_S5_PS7_21rocsparse_index_base_SF_SF_SF_bbb
	.p2align	8
	.type	_ZN9rocsparseL41csrgemm_numeric_fill_block_per_row_kernelILj1024ELj32ELj2048ELj137ELj32Ell21rocsparse_complex_numIfEEEvT5_PKS3_S5_NS_24const_host_device_scalarIT6_EEPKT4_S5_PKS7_SB_S5_SD_S8_SB_S5_SD_SB_S5_PS7_21rocsparse_index_base_SF_SF_SF_bbb,@function
_ZN9rocsparseL41csrgemm_numeric_fill_block_per_row_kernelILj1024ELj32ELj2048ELj137ELj32Ell21rocsparse_complex_numIfEEEvT5_PKS3_S5_NS_24const_host_device_scalarIT6_EEPKT4_S5_PKS7_SB_S5_SD_S8_SB_S5_SD_SB_S5_PS7_21rocsparse_index_base_SF_SF_SF_bbb: ; @_ZN9rocsparseL41csrgemm_numeric_fill_block_per_row_kernelILj1024ELj32ELj2048ELj137ELj32Ell21rocsparse_complex_numIfEEEvT5_PKS3_S5_NS_24const_host_device_scalarIT6_EEPKT4_S5_PKS7_SB_S5_SD_S8_SB_S5_SD_SB_S5_PS7_21rocsparse_index_base_SF_SF_SF_bbb
; %bb.0:
	s_load_dwordx2 s[70:71], s[0:1], 0x70
	s_load_dwordx4 s[20:23], s[0:1], 0x50
	s_load_dword s3, s[0:1], 0x98
	s_load_dwordx4 s[28:31], s[0:1], 0x8
	s_load_dwordx8 s[8:15], s[0:1], 0x20
	s_load_dwordx2 s[68:69], s[0:1], 0x80
	s_load_dwordx4 s[64:67], s[0:1], 0x88
	s_waitcnt lgkmcnt(0)
	s_bitcmp1_b32 s3, 0
	s_cselect_b64 s[36:37], -1, 0
	s_bitcmp1_b32 s3, 16
	s_cselect_b64 s[4:5], -1, 0
	s_xor_b64 s[4:5], s[4:5], -1
	v_cndmask_b32_e64 v1, 0, 1, s[4:5]
	s_mov_b32 s7, 0
	s_bitcmp0_b32 s3, 0
	v_cmp_ne_u32_e64 s[4:5], 1, v1
	s_mov_b32 s47, 0
	s_cbranch_scc1 .LBB128_5
; %bb.1:
	s_load_dwordx2 s[6:7], s[0:1], 0x18
	s_and_b64 vcc, exec, s[4:5]
	s_waitcnt lgkmcnt(0)
	s_mov_b32 s47, s6
	s_cbranch_vccnz .LBB128_3
; %bb.2:
	s_load_dword s47, s[6:7], 0x0
.LBB128_3:
	s_and_b64 vcc, exec, s[4:5]
	s_cbranch_vccnz .LBB128_5
; %bb.4:
	s_load_dword s7, s[6:7], 0x4
.LBB128_5:
	s_nop 0
	s_load_dwordx4 s[16:19], s[0:1], 0x60
	s_load_dwordx4 s[24:27], s[0:1], 0x40
	s_bitcmp1_b32 s3, 8
	s_cselect_b64 s[34:35], -1, 0
	s_bfe_u32 s3, s3, 0x10008
	s_mov_b32 s33, 0
	s_cmp_eq_u32 s3, 0
	s_mov_b32 s46, 0
	s_cbranch_scc1 .LBB128_11
; %bb.6:
	s_and_b64 vcc, exec, s[4:5]
	s_mov_b32 s33, s20
	s_cbranch_vccnz .LBB128_8
; %bb.7:
	s_load_dword s33, s[20:21], 0x0
.LBB128_8:
	s_and_b64 vcc, exec, s[4:5]
	s_cbranch_vccnz .LBB128_10
; %bb.9:
	s_load_dword s21, s[20:21], 0x4
.LBB128_10:
	s_waitcnt lgkmcnt(0)
	s_mov_b32 s46, s21
.LBB128_11:
	s_load_dwordx2 s[72:73], s[0:1], 0x0
	v_or_b32_e32 v1, 0xfffffc00, v0
	v_lshl_add_u32 v20, v0, 3, 0
	s_mov_b64 s[0:1], 0
	v_mov_b32_e32 v2, 0
	s_waitcnt lgkmcnt(0)
	v_mov_b64_e32 v[6:7], s[72:73]
	v_mov_b32_e32 v3, v20
	v_mov_b32_e32 v4, v1
.LBB128_12:                             ; =>This Inner Loop Header: Depth=1
	v_add_co_u32_e32 v4, vcc, 0x400, v4
	s_xor_b64 s[4:5], vcc, -1
	s_and_b64 s[4:5], exec, s[4:5]
	ds_write_b64 v3, v[6:7]
	v_add_u32_e32 v5, 0x4000, v3
	v_add_u32_e32 v3, 0x2000, v3
	s_or_b64 s[0:1], s[4:5], s[0:1]
	ds_write2_b32 v5, v2, v2 offset1:1
	s_andn2_b64 exec, exec, s[0:1]
	s_cbranch_execnz .LBB128_12
; %bb.13:
	s_or_b64 exec, exec, s[0:1]
	s_waitcnt lgkmcnt(0)
	s_barrier
	s_load_dwordx2 s[0:1], s[28:29], 0x0
	s_mov_b32 s3, 0
	v_lshrrev_b32_e32 v21, 5, v0
	s_waitcnt lgkmcnt(0)
	s_lshl_b64 s[0:1], s[0:1], 3
	s_add_u32 s4, s30, s0
	s_addc_u32 s5, s31, s1
	s_lshl_b64 s[0:1], s[2:3], 3
	s_add_u32 s0, s4, s0
	s_addc_u32 s1, s5, s1
	s_load_dwordx2 s[74:75], s[0:1], 0x0
	s_and_b64 vcc, exec, s[36:37]
	s_cbranch_vccz .LBB128_33
; %bb.14:
	s_waitcnt lgkmcnt(0)
	s_lshl_b64 s[0:1], s[74:75], 3
	s_add_u32 s0, s8, s0
	s_addc_u32 s1, s9, s1
	s_load_dwordx4 s[28:31], s[0:1], 0x0
	v_subrev_co_u32_e32 v2, vcc, s64, v21
	s_nop 1
	v_subb_co_u32_e64 v3, s[0:1], 0, 0, vcc
	s_waitcnt lgkmcnt(0)
	s_sub_u32 s0, s30, s64
	s_subb_u32 s1, s31, 0
	v_lshl_add_u64 v[2:3], s[28:29], 0, v[2:3]
	v_cmp_gt_i64_e32 vcc, s[0:1], v[2:3]
	s_and_saveexec_b64 s[2:3], vcc
	s_cbranch_execz .LBB128_32
; %bb.15:
	v_and_b32_e32 v4, 31, v0
	v_subrev_co_u32_e32 v4, vcc, s65, v4
	s_mov_b32 s6, s65
	s_nop 0
	v_subb_co_u32_e64 v5, s[4:5], 0, 0, vcc
	s_mov_b64 s[4:5], 0
	s_movk_i32 s48, 0x89
	s_branch .LBB128_17
.LBB128_16:                             ;   in Loop: Header=BB128_17 Depth=1
	s_or_b64 exec, exec, s[8:9]
	v_lshl_add_u64 v[2:3], v[2:3], 0, 32
	v_cmp_le_i64_e32 vcc, s[0:1], v[2:3]
	s_or_b64 s[4:5], vcc, s[4:5]
	s_andn2_b64 exec, exec, s[4:5]
	s_cbranch_execz .LBB128_32
.LBB128_17:                             ; =>This Loop Header: Depth=1
                                        ;     Child Loop BB128_21 Depth 2
                                        ;       Child Loop BB128_24 Depth 3
	v_lshl_add_u64 v[6:7], v[2:3], 3, s[10:11]
	global_load_dwordx2 v[6:7], v[6:7], off
	s_waitcnt vmcnt(0)
	v_subrev_co_u32_e32 v6, vcc, s64, v6
	s_nop 1
	v_subbrev_co_u32_e32 v7, vcc, 0, v7, vcc
	v_lshl_add_u64 v[6:7], v[6:7], 3, s[14:15]
	global_load_dwordx4 v[8:11], v[6:7], off
	s_waitcnt vmcnt(0)
	v_subrev_co_u32_e32 v6, vcc, s6, v10
	s_nop 1
	v_subbrev_co_u32_e32 v7, vcc, 0, v11, vcc
	v_lshl_add_u64 v[8:9], v[8:9], 0, v[4:5]
	v_cmp_lt_i64_e32 vcc, v[8:9], v[6:7]
	s_and_saveexec_b64 s[8:9], vcc
	s_cbranch_execz .LBB128_16
; %bb.18:                               ;   in Loop: Header=BB128_17 Depth=1
	v_lshl_add_u64 v[10:11], v[2:3], 3, s[12:13]
	global_load_dwordx2 v[10:11], v[10:11], off
	s_mov_b64 s[20:21], 0
	s_waitcnt vmcnt(0)
	v_mul_f32_e64 v22, v11, -s7
	v_mul_f32_e32 v23, s47, v11
	v_fmac_f32_e32 v22, s47, v10
	v_fmac_f32_e32 v23, s7, v10
	s_branch .LBB128_21
.LBB128_19:                             ;   in Loop: Header=BB128_21 Depth=2
	s_or_b64 exec, exec, s[30:31]
.LBB128_20:                             ;   in Loop: Header=BB128_21 Depth=2
	s_or_b64 exec, exec, s[28:29]
	s_waitcnt vmcnt(0)
	v_mul_f32_e64 v13, v11, -v23
	v_mul_f32_e32 v11, v22, v11
	v_fmac_f32_e32 v13, v22, v10
	v_fmac_f32_e32 v11, v23, v10
	v_lshl_add_u32 v10, v12, 3, 0
	ds_add_f32 v10, v13 offset:16384
	ds_add_f32 v10, v11 offset:16388
	v_lshl_add_u64 v[8:9], v[8:9], 0, 32
	v_cmp_ge_i64_e32 vcc, v[8:9], v[6:7]
	s_or_b64 s[20:21], vcc, s[20:21]
	s_andn2_b64 exec, exec, s[20:21]
	s_cbranch_execz .LBB128_16
.LBB128_21:                             ;   Parent Loop BB128_17 Depth=1
                                        ; =>  This Loop Header: Depth=2
                                        ;       Child Loop BB128_24 Depth 3
	v_lshlrev_b64 v[10:11], 3, v[8:9]
	v_lshl_add_u64 v[12:13], s[24:25], 0, v[10:11]
	global_load_dwordx2 v[12:13], v[12:13], off
	v_lshl_add_u64 v[10:11], s[26:27], 0, v[10:11]
	global_load_dwordx2 v[10:11], v[10:11], off
	s_waitcnt vmcnt(1)
	v_subrev_co_u32_e32 v14, vcc, s6, v12
	v_mul_lo_u32 v12, v14, s48
	v_and_b32_e32 v12, 0x7ff, v12
	v_lshl_add_u32 v24, v12, 3, 0
	ds_read_b64 v[18:19], v24
	v_subbrev_co_u32_e32 v15, vcc, 0, v13, vcc
	s_waitcnt lgkmcnt(0)
	v_cmp_ne_u64_e32 vcc, v[18:19], v[14:15]
	s_and_saveexec_b64 s[28:29], vcc
	s_cbranch_execz .LBB128_20
; %bb.22:                               ;   in Loop: Header=BB128_21 Depth=2
	s_mov_b64 s[30:31], 0
                                        ; implicit-def: $sgpr36_sgpr37
                                        ; implicit-def: $sgpr38_sgpr39
	s_branch .LBB128_24
.LBB128_23:                             ;   in Loop: Header=BB128_24 Depth=3
	s_or_b64 exec, exec, s[44:45]
	s_and_b64 s[40:41], exec, s[42:43]
	s_or_b64 s[30:31], s[40:41], s[30:31]
	s_andn2_b64 s[36:37], s[36:37], exec
	s_and_b64 s[40:41], s[38:39], exec
	s_or_b64 s[36:37], s[36:37], s[40:41]
	s_andn2_b64 exec, exec, s[30:31]
	s_cbranch_execz .LBB128_30
.LBB128_24:                             ;   Parent Loop BB128_17 Depth=1
                                        ;     Parent Loop BB128_21 Depth=2
                                        ; =>    This Inner Loop Header: Depth=3
	v_mov_b64_e32 v[16:17], v[12:13]
	v_cmp_ne_u64_e32 vcc, s[72:73], v[18:19]
	s_mov_b64 s[40:41], 0
                                        ; implicit-def: $vgpr12_vgpr13
	s_and_saveexec_b64 s[42:43], vcc
	s_xor_b64 s[42:43], exec, s[42:43]
; %bb.25:                               ;   in Loop: Header=BB128_24 Depth=3
	v_add_u32_e32 v12, 1, v16
	s_mov_b64 s[40:41], exec
	v_and_b32_e32 v12, 0x7ff, v12
                                        ; implicit-def: $vgpr24
; %bb.26:                               ;   in Loop: Header=BB128_24 Depth=3
	s_andn2_saveexec_b64 s[42:43], s[42:43]
	s_cbranch_execz .LBB128_28
; %bb.27:                               ;   in Loop: Header=BB128_24 Depth=3
	v_mov_b64_e32 v[12:13], s[72:73]
	ds_cmpst_rtn_b64 v[12:13], v24, v[12:13], v[14:15]
	s_andn2_b64 s[40:41], s[40:41], exec
	s_waitcnt lgkmcnt(0)
	v_cmp_ne_u64_e32 vcc, s[72:73], v[12:13]
	s_and_b64 s[44:45], vcc, exec
	s_or_b64 s[40:41], s[40:41], s[44:45]
	v_mov_b64_e32 v[12:13], v[16:17]
.LBB128_28:                             ;   in Loop: Header=BB128_24 Depth=3
	s_or_b64 exec, exec, s[42:43]
	s_mov_b64 s[42:43], -1
	s_or_b64 s[38:39], s[38:39], exec
                                        ; implicit-def: $vgpr24
                                        ; implicit-def: $vgpr18_vgpr19
	s_and_saveexec_b64 s[44:45], s[40:41]
	s_cbranch_execz .LBB128_23
; %bb.29:                               ;   in Loop: Header=BB128_24 Depth=3
	v_lshl_add_u32 v24, v12, 3, 0
	ds_read_b64 v[18:19], v24
	s_andn2_b64 s[38:39], s[38:39], exec
	s_waitcnt lgkmcnt(0)
	v_cmp_eq_u64_e32 vcc, v[18:19], v[14:15]
	s_orn2_b64 s[42:43], vcc, exec
	s_branch .LBB128_23
.LBB128_30:                             ;   in Loop: Header=BB128_21 Depth=2
	s_or_b64 exec, exec, s[30:31]
	s_and_saveexec_b64 s[30:31], s[36:37]
	s_xor_b64 s[30:31], exec, s[30:31]
	s_cbranch_execz .LBB128_19
; %bb.31:                               ;   in Loop: Header=BB128_21 Depth=2
	v_mov_b32_e32 v12, v16
	s_branch .LBB128_19
.LBB128_32:
	s_or_b64 exec, exec, s[2:3]
.LBB128_33:
	s_andn2_b64 vcc, exec, s[34:35]
	s_cbranch_vccnz .LBB128_50
; %bb.34:
	s_waitcnt lgkmcnt(0)
	s_lshl_b64 s[0:1], s[74:75], 3
	s_add_u32 s0, s22, s0
	s_addc_u32 s1, s23, s1
	s_load_dwordx4 s[4:7], s[0:1], 0x0
	v_subrev_co_u32_e32 v2, vcc, s67, v0
	s_waitcnt lgkmcnt(0)
	s_sub_u32 s0, s6, s67
	v_subb_co_u32_e64 v3, s[2:3], 0, 0, vcc
	s_subb_u32 s1, s7, 0
	v_lshl_add_u64 v[2:3], s[4:5], 0, v[2:3]
	v_cmp_gt_i64_e32 vcc, s[0:1], v[2:3]
	s_and_saveexec_b64 s[2:3], vcc
	s_cbranch_execz .LBB128_49
; %bb.35:
	s_mov_b32 s26, s67
	s_mov_b64 s[4:5], 0
	s_movk_i32 s27, 0x89
	s_mov_b64 s[6:7], 0x400
	s_branch .LBB128_38
.LBB128_36:                             ;   in Loop: Header=BB128_38 Depth=1
	s_or_b64 exec, exec, s[10:11]
.LBB128_37:                             ;   in Loop: Header=BB128_38 Depth=1
	s_or_b64 exec, exec, s[8:9]
	s_waitcnt vmcnt(0)
	v_mul_f32_e64 v7, v5, -s46
	v_mul_f32_e32 v5, s33, v5
	v_fmac_f32_e32 v7, s33, v4
	v_fmac_f32_e32 v5, s46, v4
	v_lshl_add_u32 v4, v6, 3, 0
	ds_add_f32 v4, v7 offset:16384
	ds_add_f32 v4, v5 offset:16388
	v_lshl_add_u64 v[2:3], v[2:3], 0, s[6:7]
	v_cmp_le_i64_e32 vcc, s[0:1], v[2:3]
	s_or_b64 s[4:5], vcc, s[4:5]
	s_andn2_b64 exec, exec, s[4:5]
	s_cbranch_execz .LBB128_49
.LBB128_38:                             ; =>This Loop Header: Depth=1
                                        ;     Child Loop BB128_41 Depth 2
	v_lshlrev_b64 v[4:5], 3, v[2:3]
	v_lshl_add_u64 v[6:7], s[16:17], 0, v[4:5]
	global_load_dwordx2 v[6:7], v[6:7], off
	v_lshl_add_u64 v[4:5], s[18:19], 0, v[4:5]
	global_load_dwordx2 v[4:5], v[4:5], off
	s_waitcnt vmcnt(1)
	v_subrev_co_u32_e32 v8, vcc, s26, v6
	v_mul_lo_u32 v6, v8, s27
	v_and_b32_e32 v6, 0x7ff, v6
	v_lshl_add_u32 v14, v6, 3, 0
	ds_read_b64 v[12:13], v14
	v_subbrev_co_u32_e32 v9, vcc, 0, v7, vcc
	s_waitcnt lgkmcnt(0)
	v_cmp_ne_u64_e32 vcc, v[12:13], v[8:9]
	s_and_saveexec_b64 s[8:9], vcc
	s_cbranch_execz .LBB128_37
; %bb.39:                               ;   in Loop: Header=BB128_38 Depth=1
	s_mov_b64 s[10:11], 0
                                        ; implicit-def: $sgpr12_sgpr13
                                        ; implicit-def: $sgpr14_sgpr15
	s_branch .LBB128_41
.LBB128_40:                             ;   in Loop: Header=BB128_41 Depth=2
	s_or_b64 exec, exec, s[24:25]
	s_and_b64 s[20:21], exec, s[22:23]
	s_or_b64 s[10:11], s[20:21], s[10:11]
	s_andn2_b64 s[12:13], s[12:13], exec
	s_and_b64 s[20:21], s[14:15], exec
	s_or_b64 s[12:13], s[12:13], s[20:21]
	s_andn2_b64 exec, exec, s[10:11]
	s_cbranch_execz .LBB128_47
.LBB128_41:                             ;   Parent Loop BB128_38 Depth=1
                                        ; =>  This Inner Loop Header: Depth=2
	v_mov_b64_e32 v[10:11], v[6:7]
	v_cmp_ne_u64_e32 vcc, s[72:73], v[12:13]
	s_mov_b64 s[20:21], 0
                                        ; implicit-def: $vgpr6_vgpr7
	s_and_saveexec_b64 s[22:23], vcc
	s_xor_b64 s[22:23], exec, s[22:23]
; %bb.42:                               ;   in Loop: Header=BB128_41 Depth=2
	v_add_u32_e32 v6, 1, v10
	s_mov_b64 s[20:21], exec
	v_and_b32_e32 v6, 0x7ff, v6
                                        ; implicit-def: $vgpr14
; %bb.43:                               ;   in Loop: Header=BB128_41 Depth=2
	s_andn2_saveexec_b64 s[22:23], s[22:23]
	s_cbranch_execz .LBB128_45
; %bb.44:                               ;   in Loop: Header=BB128_41 Depth=2
	v_mov_b64_e32 v[6:7], s[72:73]
	ds_cmpst_rtn_b64 v[6:7], v14, v[6:7], v[8:9]
	s_andn2_b64 s[20:21], s[20:21], exec
	s_waitcnt lgkmcnt(0)
	v_cmp_ne_u64_e32 vcc, s[72:73], v[6:7]
	s_and_b64 s[24:25], vcc, exec
	s_or_b64 s[20:21], s[20:21], s[24:25]
	v_mov_b64_e32 v[6:7], v[10:11]
.LBB128_45:                             ;   in Loop: Header=BB128_41 Depth=2
	s_or_b64 exec, exec, s[22:23]
	s_mov_b64 s[22:23], -1
	s_or_b64 s[14:15], s[14:15], exec
                                        ; implicit-def: $vgpr14
                                        ; implicit-def: $vgpr12_vgpr13
	s_and_saveexec_b64 s[24:25], s[20:21]
	s_cbranch_execz .LBB128_40
; %bb.46:                               ;   in Loop: Header=BB128_41 Depth=2
	v_lshl_add_u32 v14, v6, 3, 0
	ds_read_b64 v[12:13], v14
	s_andn2_b64 s[14:15], s[14:15], exec
	s_waitcnt lgkmcnt(0)
	v_cmp_eq_u64_e32 vcc, v[12:13], v[8:9]
	s_orn2_b64 s[22:23], vcc, exec
	s_branch .LBB128_40
.LBB128_47:                             ;   in Loop: Header=BB128_38 Depth=1
	s_or_b64 exec, exec, s[10:11]
	s_and_saveexec_b64 s[10:11], s[12:13]
	s_xor_b64 s[10:11], exec, s[10:11]
	s_cbranch_execz .LBB128_36
; %bb.48:                               ;   in Loop: Header=BB128_38 Depth=1
	v_mov_b32_e32 v6, v10
	s_branch .LBB128_36
.LBB128_49:
	s_or_b64 exec, exec, s[2:3]
.LBB128_50:
	s_movk_i32 s33, 0x1ff
	v_cmp_lt_u32_e64 s[34:35], s33, v0
	s_movk_i32 s33, 0x21f
	v_cmp_lt_u32_e64 s[36:37], s33, v0
	;; [unrolled: 2-line block ×12, first 2 shown]
	s_movk_i32 s33, 0x37f
	v_mbcnt_lo_u32_b32 v2, -1, 0
	v_cmp_lt_u32_e64 s[58:59], s33, v0
	s_movk_i32 s33, 0x39f
	v_mbcnt_hi_u32_b32 v2, -1, v2
	v_cmp_lt_u32_e64 s[60:61], s33, v0
	s_movk_i32 s33, 0x3bf
	v_sub_u32_e32 v2, 63, v2
	s_movk_i32 s0, 0x3ff
	s_movk_i32 s6, 0x5f
	;; [unrolled: 1-line block ×14, first 2 shown]
	v_cmp_lt_u32_e64 s[62:63], s33, v0
	s_movk_i32 s33, 0x3df
	v_mov_b32_e32 v3, 0
	v_lshrrev_b64 v[4:5], v2, -1
	v_lshl_add_u32 v14, v21, 3, 0
	v_cmp_eq_u32_e64 s[0:1], s0, v0
	v_cmp_lt_u32_e64 s[2:3], 31, v0
	v_cmp_lt_u32_e64 s[4:5], 63, v0
	;; [unrolled: 1-line block ×16, first 2 shown]
	s_mov_b64 s[76:77], 0
	v_mov_b64_e32 v[6:7], 0
	s_waitcnt lgkmcnt(0)
	s_barrier
	s_branch .LBB128_52
.LBB128_51:                             ;   in Loop: Header=BB128_52 Depth=1
	s_or_b64 exec, exec, s[78:79]
	s_waitcnt lgkmcnt(0)
	s_barrier
	ds_read_b64 v[8:9], v3 offset:33016
	v_add_co_u32_e32 v1, vcc, 0x400, v1
	s_xor_b64 s[78:79], vcc, -1
	s_and_b64 s[78:79], exec, s[78:79]
	s_waitcnt lgkmcnt(0)
	v_lshl_add_u64 v[6:7], v[8:9], 0, v[6:7]
	s_or_b64 s[76:77], s[78:79], s[76:77]
	v_add_u32_e32 v20, 0x2000, v20
	s_andn2_b64 exec, exec, s[76:77]
	s_cbranch_execz .LBB128_118
.LBB128_52:                             ; =>This Inner Loop Header: Depth=1
	ds_read_b64 v[8:9], v20
	v_add_u32_e32 v2, 0x4000, v20
	ds_read2_b32 v[10:11], v2 offset1:1
	s_waitcnt lgkmcnt(0)
	s_barrier
	v_cmp_gt_i64_e32 vcc, s[72:73], v[8:9]
	s_bcnt1_i32_b64 s33, vcc
	v_mov_b32_e32 v2, s33
	v_and_b32_e32 v13, vcc_lo, v4
	v_and_b32_e32 v12, vcc_hi, v5
	v_bcnt_u32_b32 v13, v13, 0
	v_bcnt_u32_b32 v12, v12, v13
	ds_write_b64 v14, v[2:3] offset:32768
	s_waitcnt lgkmcnt(0)
	s_barrier
	s_and_saveexec_b64 s[78:79], s[2:3]
	s_cbranch_execnz .LBB128_85
; %bb.53:                               ;   in Loop: Header=BB128_52 Depth=1
	s_or_b64 exec, exec, s[78:79]
	s_and_saveexec_b64 s[78:79], s[4:5]
	s_cbranch_execnz .LBB128_86
.LBB128_54:                             ;   in Loop: Header=BB128_52 Depth=1
	s_or_b64 exec, exec, s[78:79]
	s_and_saveexec_b64 s[78:79], s[6:7]
	s_cbranch_execnz .LBB128_87
.LBB128_55:                             ;   in Loop: Header=BB128_52 Depth=1
	s_or_b64 exec, exec, s[78:79]
	s_and_saveexec_b64 s[78:79], s[8:9]
	s_cbranch_execnz .LBB128_88
.LBB128_56:                             ;   in Loop: Header=BB128_52 Depth=1
	s_or_b64 exec, exec, s[78:79]
	s_and_saveexec_b64 s[78:79], s[10:11]
	s_cbranch_execnz .LBB128_89
.LBB128_57:                             ;   in Loop: Header=BB128_52 Depth=1
	s_or_b64 exec, exec, s[78:79]
	s_and_saveexec_b64 s[78:79], s[12:13]
	s_cbranch_execnz .LBB128_90
.LBB128_58:                             ;   in Loop: Header=BB128_52 Depth=1
	s_or_b64 exec, exec, s[78:79]
	s_and_saveexec_b64 s[78:79], s[14:15]
	s_cbranch_execnz .LBB128_91
.LBB128_59:                             ;   in Loop: Header=BB128_52 Depth=1
	s_or_b64 exec, exec, s[78:79]
	s_and_saveexec_b64 s[78:79], s[16:17]
	s_cbranch_execnz .LBB128_92
.LBB128_60:                             ;   in Loop: Header=BB128_52 Depth=1
	s_or_b64 exec, exec, s[78:79]
	s_and_saveexec_b64 s[78:79], s[18:19]
	s_cbranch_execnz .LBB128_93
.LBB128_61:                             ;   in Loop: Header=BB128_52 Depth=1
	s_or_b64 exec, exec, s[78:79]
	s_and_saveexec_b64 s[78:79], s[20:21]
	s_cbranch_execnz .LBB128_94
.LBB128_62:                             ;   in Loop: Header=BB128_52 Depth=1
	s_or_b64 exec, exec, s[78:79]
	s_and_saveexec_b64 s[78:79], s[22:23]
	s_cbranch_execnz .LBB128_95
.LBB128_63:                             ;   in Loop: Header=BB128_52 Depth=1
	s_or_b64 exec, exec, s[78:79]
	s_and_saveexec_b64 s[78:79], s[24:25]
	s_cbranch_execnz .LBB128_96
.LBB128_64:                             ;   in Loop: Header=BB128_52 Depth=1
	s_or_b64 exec, exec, s[78:79]
	s_and_saveexec_b64 s[78:79], s[26:27]
	s_cbranch_execnz .LBB128_97
.LBB128_65:                             ;   in Loop: Header=BB128_52 Depth=1
	s_or_b64 exec, exec, s[78:79]
	s_and_saveexec_b64 s[78:79], s[28:29]
	s_cbranch_execnz .LBB128_98
.LBB128_66:                             ;   in Loop: Header=BB128_52 Depth=1
	s_or_b64 exec, exec, s[78:79]
	s_and_saveexec_b64 s[78:79], s[30:31]
	s_cbranch_execnz .LBB128_99
.LBB128_67:                             ;   in Loop: Header=BB128_52 Depth=1
	s_or_b64 exec, exec, s[78:79]
	s_and_saveexec_b64 s[78:79], s[34:35]
	s_cbranch_execnz .LBB128_100
.LBB128_68:                             ;   in Loop: Header=BB128_52 Depth=1
	s_or_b64 exec, exec, s[78:79]
	s_and_saveexec_b64 s[78:79], s[36:37]
	s_cbranch_execnz .LBB128_101
.LBB128_69:                             ;   in Loop: Header=BB128_52 Depth=1
	s_or_b64 exec, exec, s[78:79]
	s_and_saveexec_b64 s[78:79], s[38:39]
	s_cbranch_execnz .LBB128_102
.LBB128_70:                             ;   in Loop: Header=BB128_52 Depth=1
	s_or_b64 exec, exec, s[78:79]
	s_and_saveexec_b64 s[78:79], s[40:41]
	s_cbranch_execnz .LBB128_103
.LBB128_71:                             ;   in Loop: Header=BB128_52 Depth=1
	s_or_b64 exec, exec, s[78:79]
	s_and_saveexec_b64 s[78:79], s[42:43]
	s_cbranch_execnz .LBB128_104
.LBB128_72:                             ;   in Loop: Header=BB128_52 Depth=1
	s_or_b64 exec, exec, s[78:79]
	s_and_saveexec_b64 s[78:79], s[44:45]
	s_cbranch_execnz .LBB128_105
.LBB128_73:                             ;   in Loop: Header=BB128_52 Depth=1
	s_or_b64 exec, exec, s[78:79]
	s_and_saveexec_b64 s[78:79], s[46:47]
	s_cbranch_execnz .LBB128_106
.LBB128_74:                             ;   in Loop: Header=BB128_52 Depth=1
	s_or_b64 exec, exec, s[78:79]
	s_and_saveexec_b64 s[78:79], s[48:49]
	s_cbranch_execnz .LBB128_107
.LBB128_75:                             ;   in Loop: Header=BB128_52 Depth=1
	s_or_b64 exec, exec, s[78:79]
	s_and_saveexec_b64 s[78:79], s[50:51]
	s_cbranch_execnz .LBB128_108
.LBB128_76:                             ;   in Loop: Header=BB128_52 Depth=1
	s_or_b64 exec, exec, s[78:79]
	s_and_saveexec_b64 s[78:79], s[52:53]
	s_cbranch_execnz .LBB128_109
.LBB128_77:                             ;   in Loop: Header=BB128_52 Depth=1
	s_or_b64 exec, exec, s[78:79]
	s_and_saveexec_b64 s[78:79], s[54:55]
	s_cbranch_execnz .LBB128_110
.LBB128_78:                             ;   in Loop: Header=BB128_52 Depth=1
	s_or_b64 exec, exec, s[78:79]
	s_and_saveexec_b64 s[78:79], s[56:57]
	s_cbranch_execnz .LBB128_111
.LBB128_79:                             ;   in Loop: Header=BB128_52 Depth=1
	s_or_b64 exec, exec, s[78:79]
	s_and_saveexec_b64 s[78:79], s[58:59]
	s_cbranch_execnz .LBB128_112
.LBB128_80:                             ;   in Loop: Header=BB128_52 Depth=1
	s_or_b64 exec, exec, s[78:79]
	s_and_saveexec_b64 s[78:79], s[60:61]
	s_cbranch_execnz .LBB128_113
.LBB128_81:                             ;   in Loop: Header=BB128_52 Depth=1
	s_or_b64 exec, exec, s[78:79]
	s_and_saveexec_b64 s[78:79], s[62:63]
	s_cbranch_execnz .LBB128_114
.LBB128_82:                             ;   in Loop: Header=BB128_52 Depth=1
	s_or_b64 exec, exec, s[78:79]
	s_and_saveexec_b64 s[78:79], s[64:65]
	s_cbranch_execnz .LBB128_115
.LBB128_83:                             ;   in Loop: Header=BB128_52 Depth=1
	s_or_b64 exec, exec, s[78:79]
	v_ashrrev_i32_e32 v13, 31, v12
	s_and_saveexec_b64 s[78:79], vcc
	s_cbranch_execnz .LBB128_116
.LBB128_84:                             ;   in Loop: Header=BB128_52 Depth=1
	s_or_b64 exec, exec, s[78:79]
	s_and_saveexec_b64 s[78:79], s[0:1]
	s_cbranch_execz .LBB128_51
	s_branch .LBB128_117
.LBB128_85:                             ;   in Loop: Header=BB128_52 Depth=1
	ds_read_b32 v2, v3 offset:32768
	s_waitcnt lgkmcnt(0)
	v_add_u32_e32 v12, v2, v12
	s_or_b64 exec, exec, s[78:79]
	s_and_saveexec_b64 s[78:79], s[4:5]
	s_cbranch_execz .LBB128_54
.LBB128_86:                             ;   in Loop: Header=BB128_52 Depth=1
	ds_read_b32 v2, v3 offset:32776
	s_waitcnt lgkmcnt(0)
	v_add_u32_e32 v12, v12, v2
	s_or_b64 exec, exec, s[78:79]
	s_and_saveexec_b64 s[78:79], s[6:7]
	s_cbranch_execz .LBB128_55
.LBB128_87:                             ;   in Loop: Header=BB128_52 Depth=1
	ds_read_b32 v2, v3 offset:32784
	s_waitcnt lgkmcnt(0)
	v_add_u32_e32 v12, v12, v2
	s_or_b64 exec, exec, s[78:79]
	s_and_saveexec_b64 s[78:79], s[8:9]
	s_cbranch_execz .LBB128_56
.LBB128_88:                             ;   in Loop: Header=BB128_52 Depth=1
	ds_read_b32 v2, v3 offset:32792
	s_waitcnt lgkmcnt(0)
	v_add_u32_e32 v12, v12, v2
	s_or_b64 exec, exec, s[78:79]
	s_and_saveexec_b64 s[78:79], s[10:11]
	s_cbranch_execz .LBB128_57
.LBB128_89:                             ;   in Loop: Header=BB128_52 Depth=1
	ds_read_b32 v2, v3 offset:32800
	s_waitcnt lgkmcnt(0)
	v_add_u32_e32 v12, v12, v2
	s_or_b64 exec, exec, s[78:79]
	s_and_saveexec_b64 s[78:79], s[12:13]
	s_cbranch_execz .LBB128_58
.LBB128_90:                             ;   in Loop: Header=BB128_52 Depth=1
	ds_read_b32 v2, v3 offset:32808
	s_waitcnt lgkmcnt(0)
	v_add_u32_e32 v12, v12, v2
	s_or_b64 exec, exec, s[78:79]
	s_and_saveexec_b64 s[78:79], s[14:15]
	s_cbranch_execz .LBB128_59
.LBB128_91:                             ;   in Loop: Header=BB128_52 Depth=1
	ds_read_b32 v2, v3 offset:32816
	s_waitcnt lgkmcnt(0)
	v_add_u32_e32 v12, v12, v2
	s_or_b64 exec, exec, s[78:79]
	s_and_saveexec_b64 s[78:79], s[16:17]
	s_cbranch_execz .LBB128_60
.LBB128_92:                             ;   in Loop: Header=BB128_52 Depth=1
	ds_read_b32 v2, v3 offset:32824
	s_waitcnt lgkmcnt(0)
	v_add_u32_e32 v12, v12, v2
	s_or_b64 exec, exec, s[78:79]
	s_and_saveexec_b64 s[78:79], s[18:19]
	s_cbranch_execz .LBB128_61
.LBB128_93:                             ;   in Loop: Header=BB128_52 Depth=1
	ds_read_b32 v2, v3 offset:32832
	s_waitcnt lgkmcnt(0)
	v_add_u32_e32 v12, v12, v2
	s_or_b64 exec, exec, s[78:79]
	s_and_saveexec_b64 s[78:79], s[20:21]
	s_cbranch_execz .LBB128_62
.LBB128_94:                             ;   in Loop: Header=BB128_52 Depth=1
	ds_read_b32 v2, v3 offset:32840
	s_waitcnt lgkmcnt(0)
	v_add_u32_e32 v12, v12, v2
	s_or_b64 exec, exec, s[78:79]
	s_and_saveexec_b64 s[78:79], s[22:23]
	s_cbranch_execz .LBB128_63
.LBB128_95:                             ;   in Loop: Header=BB128_52 Depth=1
	ds_read_b32 v2, v3 offset:32848
	s_waitcnt lgkmcnt(0)
	v_add_u32_e32 v12, v12, v2
	s_or_b64 exec, exec, s[78:79]
	s_and_saveexec_b64 s[78:79], s[24:25]
	s_cbranch_execz .LBB128_64
.LBB128_96:                             ;   in Loop: Header=BB128_52 Depth=1
	ds_read_b32 v2, v3 offset:32856
	s_waitcnt lgkmcnt(0)
	v_add_u32_e32 v12, v12, v2
	s_or_b64 exec, exec, s[78:79]
	s_and_saveexec_b64 s[78:79], s[26:27]
	s_cbranch_execz .LBB128_65
.LBB128_97:                             ;   in Loop: Header=BB128_52 Depth=1
	ds_read_b32 v2, v3 offset:32864
	s_waitcnt lgkmcnt(0)
	v_add_u32_e32 v12, v12, v2
	s_or_b64 exec, exec, s[78:79]
	s_and_saveexec_b64 s[78:79], s[28:29]
	s_cbranch_execz .LBB128_66
.LBB128_98:                             ;   in Loop: Header=BB128_52 Depth=1
	ds_read_b32 v2, v3 offset:32872
	s_waitcnt lgkmcnt(0)
	v_add_u32_e32 v12, v12, v2
	s_or_b64 exec, exec, s[78:79]
	s_and_saveexec_b64 s[78:79], s[30:31]
	s_cbranch_execz .LBB128_67
.LBB128_99:                             ;   in Loop: Header=BB128_52 Depth=1
	ds_read_b32 v2, v3 offset:32880
	s_waitcnt lgkmcnt(0)
	v_add_u32_e32 v12, v12, v2
	s_or_b64 exec, exec, s[78:79]
	s_and_saveexec_b64 s[78:79], s[34:35]
	s_cbranch_execz .LBB128_68
.LBB128_100:                            ;   in Loop: Header=BB128_52 Depth=1
	ds_read_b32 v2, v3 offset:32888
	s_waitcnt lgkmcnt(0)
	v_add_u32_e32 v12, v12, v2
	s_or_b64 exec, exec, s[78:79]
	s_and_saveexec_b64 s[78:79], s[36:37]
	s_cbranch_execz .LBB128_69
.LBB128_101:                            ;   in Loop: Header=BB128_52 Depth=1
	ds_read_b32 v2, v3 offset:32896
	s_waitcnt lgkmcnt(0)
	v_add_u32_e32 v12, v12, v2
	s_or_b64 exec, exec, s[78:79]
	s_and_saveexec_b64 s[78:79], s[38:39]
	s_cbranch_execz .LBB128_70
.LBB128_102:                            ;   in Loop: Header=BB128_52 Depth=1
	ds_read_b32 v2, v3 offset:32904
	s_waitcnt lgkmcnt(0)
	v_add_u32_e32 v12, v12, v2
	s_or_b64 exec, exec, s[78:79]
	s_and_saveexec_b64 s[78:79], s[40:41]
	s_cbranch_execz .LBB128_71
.LBB128_103:                            ;   in Loop: Header=BB128_52 Depth=1
	ds_read_b32 v2, v3 offset:32912
	s_waitcnt lgkmcnt(0)
	v_add_u32_e32 v12, v12, v2
	s_or_b64 exec, exec, s[78:79]
	s_and_saveexec_b64 s[78:79], s[42:43]
	s_cbranch_execz .LBB128_72
.LBB128_104:                            ;   in Loop: Header=BB128_52 Depth=1
	ds_read_b32 v2, v3 offset:32920
	s_waitcnt lgkmcnt(0)
	v_add_u32_e32 v12, v12, v2
	s_or_b64 exec, exec, s[78:79]
	s_and_saveexec_b64 s[78:79], s[44:45]
	s_cbranch_execz .LBB128_73
.LBB128_105:                            ;   in Loop: Header=BB128_52 Depth=1
	ds_read_b32 v2, v3 offset:32928
	s_waitcnt lgkmcnt(0)
	v_add_u32_e32 v12, v12, v2
	s_or_b64 exec, exec, s[78:79]
	s_and_saveexec_b64 s[78:79], s[46:47]
	s_cbranch_execz .LBB128_74
.LBB128_106:                            ;   in Loop: Header=BB128_52 Depth=1
	ds_read_b32 v2, v3 offset:32936
	s_waitcnt lgkmcnt(0)
	v_add_u32_e32 v12, v12, v2
	s_or_b64 exec, exec, s[78:79]
	s_and_saveexec_b64 s[78:79], s[48:49]
	s_cbranch_execz .LBB128_75
.LBB128_107:                            ;   in Loop: Header=BB128_52 Depth=1
	ds_read_b32 v2, v3 offset:32944
	s_waitcnt lgkmcnt(0)
	v_add_u32_e32 v12, v12, v2
	s_or_b64 exec, exec, s[78:79]
	s_and_saveexec_b64 s[78:79], s[50:51]
	s_cbranch_execz .LBB128_76
.LBB128_108:                            ;   in Loop: Header=BB128_52 Depth=1
	ds_read_b32 v2, v3 offset:32952
	s_waitcnt lgkmcnt(0)
	v_add_u32_e32 v12, v12, v2
	s_or_b64 exec, exec, s[78:79]
	s_and_saveexec_b64 s[78:79], s[52:53]
	s_cbranch_execz .LBB128_77
.LBB128_109:                            ;   in Loop: Header=BB128_52 Depth=1
	ds_read_b32 v2, v3 offset:32960
	s_waitcnt lgkmcnt(0)
	v_add_u32_e32 v12, v12, v2
	s_or_b64 exec, exec, s[78:79]
	s_and_saveexec_b64 s[78:79], s[54:55]
	s_cbranch_execz .LBB128_78
.LBB128_110:                            ;   in Loop: Header=BB128_52 Depth=1
	ds_read_b32 v2, v3 offset:32968
	s_waitcnt lgkmcnt(0)
	v_add_u32_e32 v12, v12, v2
	s_or_b64 exec, exec, s[78:79]
	s_and_saveexec_b64 s[78:79], s[56:57]
	s_cbranch_execz .LBB128_79
.LBB128_111:                            ;   in Loop: Header=BB128_52 Depth=1
	ds_read_b32 v2, v3 offset:32976
	s_waitcnt lgkmcnt(0)
	v_add_u32_e32 v12, v12, v2
	s_or_b64 exec, exec, s[78:79]
	s_and_saveexec_b64 s[78:79], s[58:59]
	s_cbranch_execz .LBB128_80
.LBB128_112:                            ;   in Loop: Header=BB128_52 Depth=1
	ds_read_b32 v2, v3 offset:32984
	s_waitcnt lgkmcnt(0)
	v_add_u32_e32 v12, v12, v2
	s_or_b64 exec, exec, s[78:79]
	s_and_saveexec_b64 s[78:79], s[60:61]
	s_cbranch_execz .LBB128_81
.LBB128_113:                            ;   in Loop: Header=BB128_52 Depth=1
	ds_read_b32 v2, v3 offset:32992
	s_waitcnt lgkmcnt(0)
	v_add_u32_e32 v12, v12, v2
	s_or_b64 exec, exec, s[78:79]
	s_and_saveexec_b64 s[78:79], s[62:63]
	s_cbranch_execz .LBB128_82
.LBB128_114:                            ;   in Loop: Header=BB128_52 Depth=1
	ds_read_b32 v2, v3 offset:33000
	s_waitcnt lgkmcnt(0)
	v_add_u32_e32 v12, v12, v2
	s_or_b64 exec, exec, s[78:79]
	s_and_saveexec_b64 s[78:79], s[64:65]
	s_cbranch_execz .LBB128_83
.LBB128_115:                            ;   in Loop: Header=BB128_52 Depth=1
	ds_read_b32 v2, v3 offset:33008
	s_waitcnt lgkmcnt(0)
	v_add_u32_e32 v12, v12, v2
	s_or_b64 exec, exec, s[78:79]
	v_ashrrev_i32_e32 v13, 31, v12
	s_and_saveexec_b64 s[78:79], vcc
	s_cbranch_execz .LBB128_84
.LBB128_116:                            ;   in Loop: Header=BB128_52 Depth=1
	v_add3_u32 v2, v6, -1, v12
	v_add_u32_e32 v15, v6, v12
	v_lshl_add_u32 v2, v2, 3, 0
	v_lshl_add_u32 v15, v15, 3, 0
	v_add_u32_e32 v15, 0x3ff8, v15
	ds_write_b64 v2, v[8:9]
	ds_write2_b32 v15, v10, v11 offset1:1
	s_or_b64 exec, exec, s[78:79]
	s_and_saveexec_b64 s[78:79], s[0:1]
	s_cbranch_execz .LBB128_51
.LBB128_117:                            ;   in Loop: Header=BB128_52 Depth=1
	ds_write_b64 v3, v[12:13] offset:33016
	s_branch .LBB128_51
.LBB128_118:
	s_or_b64 exec, exec, s[76:77]
	s_lshl_b64 s[0:1], s[74:75], 3
	s_add_u32 s4, s70, s0
	s_addc_u32 s5, s71, s1
	s_load_dwordx4 s[0:3], s[4:5], 0x0
	v_mov_b32_e32 v1, 0
	s_waitcnt lgkmcnt(0)
	s_sub_u32 s4, s2, s0
	s_subb_u32 s5, s3, s1
	v_cmp_gt_i64_e32 vcc, s[4:5], v[0:1]
	s_and_saveexec_b64 s[6:7], vcc
	s_cbranch_execz .LBB128_128
; %bb.119:
	s_sub_u32 s8, s0, s66
	s_subb_u32 s9, s1, 0
	s_and_b32 s6, s4, 7
	s_sub_u32 s0, s0, s2
	s_mov_b32 s7, 0
	s_subb_u32 s1, s1, s3
	s_and_b32 s10, s4, -8
	s_cmp_lg_u64 s[6:7], 0
	v_cmp_lt_u64_e64 s[0:1], s[0:1], -7
	s_cselect_b64 s[2:3], -1, 0
	s_mov_b32 s11, s5
	v_cndmask_b32_e64 v2, 0, 1, s[0:1]
	v_cmp_ne_u32_e64 s[0:1], 1, v2
	v_cndmask_b32_e64 v2, 0, 1, s[2:3]
	s_mov_b64 s[12:13], 0
	v_cmp_ne_u32_e64 s[2:3], 1, v2
	s_mov_b64 s[14:15], 0x400
	s_branch .LBB128_121
.LBB128_120:                            ;   in Loop: Header=BB128_121 Depth=1
	v_lshl_add_u64 v[0:1], v[0:1], 0, s[14:15]
	v_cmp_le_i64_e32 vcc, s[4:5], v[0:1]
	s_waitcnt lgkmcnt(1)
	v_lshl_add_u64 v[4:5], v[6:7], 3, s[68:69]
	s_or_b64 s[12:13], vcc, s[12:13]
	s_waitcnt lgkmcnt(0)
	global_store_dwordx2 v[4:5], v[2:3], off
	s_andn2_b64 exec, exec, s[12:13]
	s_cbranch_execz .LBB128_128
.LBB128_121:                            ; =>This Loop Header: Depth=1
                                        ;     Child Loop BB128_123 Depth 2
                                        ;     Child Loop BB128_127 Depth 2
	v_lshl_add_u32 v2, v0, 3, 0
	v_add_u32_e32 v3, 0x4000, v2
	ds_read_b64 v[4:5], v2
	ds_read2_b32 v[2:3], v3 offset1:1
	s_and_b64 vcc, exec, s[0:1]
	v_mov_b64_e32 v[6:7], s[8:9]
	s_mov_b64 s[16:17], 0
	s_cbranch_vccnz .LBB128_125
; %bb.122:                              ;   in Loop: Header=BB128_121 Depth=1
	s_mov_b32 s18, 0
	v_mov_b64_e32 v[6:7], s[8:9]
.LBB128_123:                            ;   Parent Loop BB128_121 Depth=1
                                        ; =>  This Inner Loop Header: Depth=2
	v_mov_b32_e32 v20, s18
	ds_read2_b64 v[8:11], v20 offset1:1
	ds_read2_b64 v[12:15], v20 offset0:2 offset1:3
	ds_read2_b64 v[16:19], v20 offset0:4 offset1:5
	;; [unrolled: 1-line block ×3, first 2 shown]
	v_mov_b32_e32 v25, s7
	s_waitcnt lgkmcnt(3)
	v_cmp_gt_i64_e32 vcc, v[4:5], v[8:9]
	v_mov_b32_e32 v27, s7
	v_mov_b32_e32 v29, s7
	v_cndmask_b32_e64 v24, 0, 1, vcc
	v_cmp_gt_i64_e32 vcc, v[4:5], v[10:11]
	v_lshl_add_u64 v[6:7], v[6:7], 0, v[24:25]
	v_mov_b32_e32 v31, s7
	v_cndmask_b32_e64 v26, 0, 1, vcc
	s_waitcnt lgkmcnt(2)
	v_cmp_gt_i64_e32 vcc, v[4:5], v[12:13]
	v_lshl_add_u64 v[6:7], v[6:7], 0, v[26:27]
	v_mov_b32_e32 v33, s7
	v_cndmask_b32_e64 v28, 0, 1, vcc
	v_cmp_gt_i64_e32 vcc, v[4:5], v[14:15]
	v_lshl_add_u64 v[6:7], v[6:7], 0, v[28:29]
	v_mov_b32_e32 v35, s7
	v_cndmask_b32_e64 v30, 0, 1, vcc
	s_waitcnt lgkmcnt(1)
	v_cmp_gt_i64_e32 vcc, v[4:5], v[16:17]
	v_lshl_add_u64 v[6:7], v[6:7], 0, v[30:31]
	v_mov_b32_e32 v37, s7
	v_cndmask_b32_e64 v32, 0, 1, vcc
	v_cmp_gt_i64_e32 vcc, v[4:5], v[18:19]
	v_lshl_add_u64 v[6:7], v[6:7], 0, v[32:33]
	s_add_u32 s16, s16, 8
	v_cndmask_b32_e64 v34, 0, 1, vcc
	s_waitcnt lgkmcnt(0)
	v_cmp_gt_i64_e32 vcc, v[4:5], v[20:21]
	v_lshl_add_u64 v[6:7], v[6:7], 0, v[34:35]
	v_mov_b32_e32 v39, s7
	v_cndmask_b32_e64 v36, 0, 1, vcc
	v_cmp_gt_i64_e32 vcc, v[4:5], v[22:23]
	s_addc_u32 s17, s17, 0
	s_add_i32 s18, s18, 64
	v_cndmask_b32_e64 v38, 0, 1, vcc
	v_lshl_add_u64 v[6:7], v[6:7], 0, v[36:37]
	s_cmp_eq_u64 s[10:11], s[16:17]
	v_lshl_add_u64 v[6:7], v[6:7], 0, v[38:39]
	s_cbranch_scc0 .LBB128_123
; %bb.124:                              ;   in Loop: Header=BB128_121 Depth=1
	s_mov_b64 s[16:17], s[10:11]
.LBB128_125:                            ;   in Loop: Header=BB128_121 Depth=1
	s_and_b64 vcc, exec, s[2:3]
	s_cbranch_vccnz .LBB128_120
; %bb.126:                              ;   in Loop: Header=BB128_121 Depth=1
	s_lshl_b32 s16, s16, 3
	s_add_i32 s18, s16, 0
	s_mov_b64 s[16:17], s[6:7]
.LBB128_127:                            ;   Parent Loop BB128_121 Depth=1
                                        ; =>  This Inner Loop Header: Depth=2
	v_mov_b32_e32 v8, s18
	ds_read_b64 v[10:11], v8
	s_add_i32 s18, s18, 8
	s_add_u32 s16, s16, -1
	v_mov_b32_e32 v9, s7
	s_addc_u32 s17, s17, -1
	s_waitcnt lgkmcnt(0)
	v_cmp_gt_i64_e32 vcc, v[4:5], v[10:11]
	s_cmp_lg_u64 s[16:17], 0
	s_nop 0
	v_cndmask_b32_e64 v8, 0, 1, vcc
	v_lshl_add_u64 v[6:7], v[6:7], 0, v[8:9]
	s_cbranch_scc1 .LBB128_127
	s_branch .LBB128_120
.LBB128_128:
	s_endpgm
	.section	.rodata,"a",@progbits
	.p2align	6, 0x0
	.amdhsa_kernel _ZN9rocsparseL41csrgemm_numeric_fill_block_per_row_kernelILj1024ELj32ELj2048ELj137ELj32Ell21rocsparse_complex_numIfEEEvT5_PKS3_S5_NS_24const_host_device_scalarIT6_EEPKT4_S5_PKS7_SB_S5_SD_S8_SB_S5_SD_SB_S5_PS7_21rocsparse_index_base_SF_SF_SF_bbb
		.amdhsa_group_segment_fixed_size 0
		.amdhsa_private_segment_fixed_size 0
		.amdhsa_kernarg_size 156
		.amdhsa_user_sgpr_count 2
		.amdhsa_user_sgpr_dispatch_ptr 0
		.amdhsa_user_sgpr_queue_ptr 0
		.amdhsa_user_sgpr_kernarg_segment_ptr 1
		.amdhsa_user_sgpr_dispatch_id 0
		.amdhsa_user_sgpr_kernarg_preload_length 0
		.amdhsa_user_sgpr_kernarg_preload_offset 0
		.amdhsa_user_sgpr_private_segment_size 0
		.amdhsa_uses_dynamic_stack 0
		.amdhsa_enable_private_segment 0
		.amdhsa_system_sgpr_workgroup_id_x 1
		.amdhsa_system_sgpr_workgroup_id_y 0
		.amdhsa_system_sgpr_workgroup_id_z 0
		.amdhsa_system_sgpr_workgroup_info 0
		.amdhsa_system_vgpr_workitem_id 0
		.amdhsa_next_free_vgpr 40
		.amdhsa_next_free_sgpr 80
		.amdhsa_accum_offset 40
		.amdhsa_reserve_vcc 1
		.amdhsa_float_round_mode_32 0
		.amdhsa_float_round_mode_16_64 0
		.amdhsa_float_denorm_mode_32 3
		.amdhsa_float_denorm_mode_16_64 3
		.amdhsa_dx10_clamp 1
		.amdhsa_ieee_mode 1
		.amdhsa_fp16_overflow 0
		.amdhsa_tg_split 0
		.amdhsa_exception_fp_ieee_invalid_op 0
		.amdhsa_exception_fp_denorm_src 0
		.amdhsa_exception_fp_ieee_div_zero 0
		.amdhsa_exception_fp_ieee_overflow 0
		.amdhsa_exception_fp_ieee_underflow 0
		.amdhsa_exception_fp_ieee_inexact 0
		.amdhsa_exception_int_div_zero 0
	.end_amdhsa_kernel
	.section	.text._ZN9rocsparseL41csrgemm_numeric_fill_block_per_row_kernelILj1024ELj32ELj2048ELj137ELj32Ell21rocsparse_complex_numIfEEEvT5_PKS3_S5_NS_24const_host_device_scalarIT6_EEPKT4_S5_PKS7_SB_S5_SD_S8_SB_S5_SD_SB_S5_PS7_21rocsparse_index_base_SF_SF_SF_bbb,"axG",@progbits,_ZN9rocsparseL41csrgemm_numeric_fill_block_per_row_kernelILj1024ELj32ELj2048ELj137ELj32Ell21rocsparse_complex_numIfEEEvT5_PKS3_S5_NS_24const_host_device_scalarIT6_EEPKT4_S5_PKS7_SB_S5_SD_S8_SB_S5_SD_SB_S5_PS7_21rocsparse_index_base_SF_SF_SF_bbb,comdat
.Lfunc_end128:
	.size	_ZN9rocsparseL41csrgemm_numeric_fill_block_per_row_kernelILj1024ELj32ELj2048ELj137ELj32Ell21rocsparse_complex_numIfEEEvT5_PKS3_S5_NS_24const_host_device_scalarIT6_EEPKT4_S5_PKS7_SB_S5_SD_S8_SB_S5_SD_SB_S5_PS7_21rocsparse_index_base_SF_SF_SF_bbb, .Lfunc_end128-_ZN9rocsparseL41csrgemm_numeric_fill_block_per_row_kernelILj1024ELj32ELj2048ELj137ELj32Ell21rocsparse_complex_numIfEEEvT5_PKS3_S5_NS_24const_host_device_scalarIT6_EEPKT4_S5_PKS7_SB_S5_SD_S8_SB_S5_SD_SB_S5_PS7_21rocsparse_index_base_SF_SF_SF_bbb
                                        ; -- End function
	.set _ZN9rocsparseL41csrgemm_numeric_fill_block_per_row_kernelILj1024ELj32ELj2048ELj137ELj32Ell21rocsparse_complex_numIfEEEvT5_PKS3_S5_NS_24const_host_device_scalarIT6_EEPKT4_S5_PKS7_SB_S5_SD_S8_SB_S5_SD_SB_S5_PS7_21rocsparse_index_base_SF_SF_SF_bbb.num_vgpr, 40
	.set _ZN9rocsparseL41csrgemm_numeric_fill_block_per_row_kernelILj1024ELj32ELj2048ELj137ELj32Ell21rocsparse_complex_numIfEEEvT5_PKS3_S5_NS_24const_host_device_scalarIT6_EEPKT4_S5_PKS7_SB_S5_SD_S8_SB_S5_SD_SB_S5_PS7_21rocsparse_index_base_SF_SF_SF_bbb.num_agpr, 0
	.set _ZN9rocsparseL41csrgemm_numeric_fill_block_per_row_kernelILj1024ELj32ELj2048ELj137ELj32Ell21rocsparse_complex_numIfEEEvT5_PKS3_S5_NS_24const_host_device_scalarIT6_EEPKT4_S5_PKS7_SB_S5_SD_S8_SB_S5_SD_SB_S5_PS7_21rocsparse_index_base_SF_SF_SF_bbb.numbered_sgpr, 80
	.set _ZN9rocsparseL41csrgemm_numeric_fill_block_per_row_kernelILj1024ELj32ELj2048ELj137ELj32Ell21rocsparse_complex_numIfEEEvT5_PKS3_S5_NS_24const_host_device_scalarIT6_EEPKT4_S5_PKS7_SB_S5_SD_S8_SB_S5_SD_SB_S5_PS7_21rocsparse_index_base_SF_SF_SF_bbb.num_named_barrier, 0
	.set _ZN9rocsparseL41csrgemm_numeric_fill_block_per_row_kernelILj1024ELj32ELj2048ELj137ELj32Ell21rocsparse_complex_numIfEEEvT5_PKS3_S5_NS_24const_host_device_scalarIT6_EEPKT4_S5_PKS7_SB_S5_SD_S8_SB_S5_SD_SB_S5_PS7_21rocsparse_index_base_SF_SF_SF_bbb.private_seg_size, 0
	.set _ZN9rocsparseL41csrgemm_numeric_fill_block_per_row_kernelILj1024ELj32ELj2048ELj137ELj32Ell21rocsparse_complex_numIfEEEvT5_PKS3_S5_NS_24const_host_device_scalarIT6_EEPKT4_S5_PKS7_SB_S5_SD_S8_SB_S5_SD_SB_S5_PS7_21rocsparse_index_base_SF_SF_SF_bbb.uses_vcc, 1
	.set _ZN9rocsparseL41csrgemm_numeric_fill_block_per_row_kernelILj1024ELj32ELj2048ELj137ELj32Ell21rocsparse_complex_numIfEEEvT5_PKS3_S5_NS_24const_host_device_scalarIT6_EEPKT4_S5_PKS7_SB_S5_SD_S8_SB_S5_SD_SB_S5_PS7_21rocsparse_index_base_SF_SF_SF_bbb.uses_flat_scratch, 0
	.set _ZN9rocsparseL41csrgemm_numeric_fill_block_per_row_kernelILj1024ELj32ELj2048ELj137ELj32Ell21rocsparse_complex_numIfEEEvT5_PKS3_S5_NS_24const_host_device_scalarIT6_EEPKT4_S5_PKS7_SB_S5_SD_S8_SB_S5_SD_SB_S5_PS7_21rocsparse_index_base_SF_SF_SF_bbb.has_dyn_sized_stack, 0
	.set _ZN9rocsparseL41csrgemm_numeric_fill_block_per_row_kernelILj1024ELj32ELj2048ELj137ELj32Ell21rocsparse_complex_numIfEEEvT5_PKS3_S5_NS_24const_host_device_scalarIT6_EEPKT4_S5_PKS7_SB_S5_SD_S8_SB_S5_SD_SB_S5_PS7_21rocsparse_index_base_SF_SF_SF_bbb.has_recursion, 0
	.set _ZN9rocsparseL41csrgemm_numeric_fill_block_per_row_kernelILj1024ELj32ELj2048ELj137ELj32Ell21rocsparse_complex_numIfEEEvT5_PKS3_S5_NS_24const_host_device_scalarIT6_EEPKT4_S5_PKS7_SB_S5_SD_S8_SB_S5_SD_SB_S5_PS7_21rocsparse_index_base_SF_SF_SF_bbb.has_indirect_call, 0
	.section	.AMDGPU.csdata,"",@progbits
; Kernel info:
; codeLenInByte = 4120
; TotalNumSgprs: 86
; NumVgprs: 40
; NumAgprs: 0
; TotalNumVgprs: 40
; ScratchSize: 0
; MemoryBound: 0
; FloatMode: 240
; IeeeMode: 1
; LDSByteSize: 0 bytes/workgroup (compile time only)
; SGPRBlocks: 10
; VGPRBlocks: 4
; NumSGPRsForWavesPerEU: 86
; NumVGPRsForWavesPerEU: 40
; AccumOffset: 40
; Occupancy: 8
; WaveLimiterHint : 1
; COMPUTE_PGM_RSRC2:SCRATCH_EN: 0
; COMPUTE_PGM_RSRC2:USER_SGPR: 2
; COMPUTE_PGM_RSRC2:TRAP_HANDLER: 0
; COMPUTE_PGM_RSRC2:TGID_X_EN: 1
; COMPUTE_PGM_RSRC2:TGID_Y_EN: 0
; COMPUTE_PGM_RSRC2:TGID_Z_EN: 0
; COMPUTE_PGM_RSRC2:TIDIG_COMP_CNT: 0
; COMPUTE_PGM_RSRC3_GFX90A:ACCUM_OFFSET: 9
; COMPUTE_PGM_RSRC3_GFX90A:TG_SPLIT: 0
	.section	.text._ZN9rocsparseL41csrgemm_numeric_fill_block_per_row_kernelILj1024ELj32ELj2048ELj137ELj64Ell21rocsparse_complex_numIfEEEvT5_PKS3_S5_NS_24const_host_device_scalarIT6_EEPKT4_S5_PKS7_SB_S5_SD_S8_SB_S5_SD_SB_S5_PS7_21rocsparse_index_base_SF_SF_SF_bbb,"axG",@progbits,_ZN9rocsparseL41csrgemm_numeric_fill_block_per_row_kernelILj1024ELj32ELj2048ELj137ELj64Ell21rocsparse_complex_numIfEEEvT5_PKS3_S5_NS_24const_host_device_scalarIT6_EEPKT4_S5_PKS7_SB_S5_SD_S8_SB_S5_SD_SB_S5_PS7_21rocsparse_index_base_SF_SF_SF_bbb,comdat
	.globl	_ZN9rocsparseL41csrgemm_numeric_fill_block_per_row_kernelILj1024ELj32ELj2048ELj137ELj64Ell21rocsparse_complex_numIfEEEvT5_PKS3_S5_NS_24const_host_device_scalarIT6_EEPKT4_S5_PKS7_SB_S5_SD_S8_SB_S5_SD_SB_S5_PS7_21rocsparse_index_base_SF_SF_SF_bbb ; -- Begin function _ZN9rocsparseL41csrgemm_numeric_fill_block_per_row_kernelILj1024ELj32ELj2048ELj137ELj64Ell21rocsparse_complex_numIfEEEvT5_PKS3_S5_NS_24const_host_device_scalarIT6_EEPKT4_S5_PKS7_SB_S5_SD_S8_SB_S5_SD_SB_S5_PS7_21rocsparse_index_base_SF_SF_SF_bbb
	.p2align	8
	.type	_ZN9rocsparseL41csrgemm_numeric_fill_block_per_row_kernelILj1024ELj32ELj2048ELj137ELj64Ell21rocsparse_complex_numIfEEEvT5_PKS3_S5_NS_24const_host_device_scalarIT6_EEPKT4_S5_PKS7_SB_S5_SD_S8_SB_S5_SD_SB_S5_PS7_21rocsparse_index_base_SF_SF_SF_bbb,@function
_ZN9rocsparseL41csrgemm_numeric_fill_block_per_row_kernelILj1024ELj32ELj2048ELj137ELj64Ell21rocsparse_complex_numIfEEEvT5_PKS3_S5_NS_24const_host_device_scalarIT6_EEPKT4_S5_PKS7_SB_S5_SD_S8_SB_S5_SD_SB_S5_PS7_21rocsparse_index_base_SF_SF_SF_bbb: ; @_ZN9rocsparseL41csrgemm_numeric_fill_block_per_row_kernelILj1024ELj32ELj2048ELj137ELj64Ell21rocsparse_complex_numIfEEEvT5_PKS3_S5_NS_24const_host_device_scalarIT6_EEPKT4_S5_PKS7_SB_S5_SD_S8_SB_S5_SD_SB_S5_PS7_21rocsparse_index_base_SF_SF_SF_bbb
; %bb.0:
	s_load_dwordx2 s[40:41], s[0:1], 0x70
	s_load_dwordx4 s[20:23], s[0:1], 0x50
	s_load_dword s3, s[0:1], 0x98
	s_load_dwordx4 s[28:31], s[0:1], 0x8
	s_load_dwordx8 s[8:15], s[0:1], 0x20
	s_load_dwordx2 s[34:35], s[0:1], 0x80
	s_load_dwordx4 s[36:39], s[0:1], 0x88
	s_waitcnt lgkmcnt(0)
	s_bitcmp1_b32 s3, 0
	s_cselect_b64 s[48:49], -1, 0
	s_bitcmp1_b32 s3, 16
	s_cselect_b64 s[4:5], -1, 0
	s_xor_b64 s[4:5], s[4:5], -1
	v_cndmask_b32_e64 v1, 0, 1, s[4:5]
	s_mov_b32 s7, 0
	s_bitcmp0_b32 s3, 0
	v_cmp_ne_u32_e64 s[4:5], 1, v1
	s_mov_b32 s59, 0
	s_cbranch_scc1 .LBB129_5
; %bb.1:
	s_load_dwordx2 s[6:7], s[0:1], 0x18
	s_and_b64 vcc, exec, s[4:5]
	s_waitcnt lgkmcnt(0)
	s_mov_b32 s59, s6
	s_cbranch_vccnz .LBB129_3
; %bb.2:
	s_load_dword s59, s[6:7], 0x0
.LBB129_3:
	s_and_b64 vcc, exec, s[4:5]
	s_cbranch_vccnz .LBB129_5
; %bb.4:
	s_load_dword s7, s[6:7], 0x4
.LBB129_5:
	s_nop 0
	s_load_dwordx4 s[16:19], s[0:1], 0x60
	s_load_dwordx4 s[24:27], s[0:1], 0x40
	s_bitcmp1_b32 s3, 8
	s_cselect_b64 s[46:47], -1, 0
	s_bfe_u32 s3, s3, 0x10008
	s_mov_b32 s33, 0
	s_cmp_eq_u32 s3, 0
	s_mov_b32 s58, 0
	s_cbranch_scc1 .LBB129_11
; %bb.6:
	s_and_b64 vcc, exec, s[4:5]
	s_mov_b32 s33, s20
	s_cbranch_vccnz .LBB129_8
; %bb.7:
	s_load_dword s33, s[20:21], 0x0
.LBB129_8:
	s_and_b64 vcc, exec, s[4:5]
	s_cbranch_vccnz .LBB129_10
; %bb.9:
	s_load_dword s21, s[20:21], 0x4
.LBB129_10:
	s_waitcnt lgkmcnt(0)
	s_mov_b32 s58, s21
.LBB129_11:
	s_load_dwordx2 s[42:43], s[0:1], 0x0
	v_or_b32_e32 v1, 0xfffffc00, v0
	v_lshl_add_u32 v20, v0, 3, 0
	s_mov_b64 s[0:1], 0
	v_mov_b32_e32 v2, 0
	s_waitcnt lgkmcnt(0)
	v_mov_b64_e32 v[6:7], s[42:43]
	v_mov_b32_e32 v3, v20
	v_mov_b32_e32 v4, v1
.LBB129_12:                             ; =>This Inner Loop Header: Depth=1
	v_add_co_u32_e32 v4, vcc, 0x400, v4
	s_xor_b64 s[4:5], vcc, -1
	s_and_b64 s[4:5], exec, s[4:5]
	ds_write_b64 v3, v[6:7]
	v_add_u32_e32 v5, 0x4000, v3
	v_add_u32_e32 v3, 0x2000, v3
	s_or_b64 s[0:1], s[4:5], s[0:1]
	ds_write2_b32 v5, v2, v2 offset1:1
	s_andn2_b64 exec, exec, s[0:1]
	s_cbranch_execnz .LBB129_12
; %bb.13:
	s_or_b64 exec, exec, s[0:1]
	s_waitcnt lgkmcnt(0)
	s_barrier
	s_load_dwordx2 s[0:1], s[28:29], 0x0
	s_mov_b32 s3, 0
	s_waitcnt lgkmcnt(0)
	s_lshl_b64 s[0:1], s[0:1], 3
	s_add_u32 s4, s30, s0
	s_addc_u32 s5, s31, s1
	s_lshl_b64 s[0:1], s[2:3], 3
	s_add_u32 s0, s4, s0
	s_addc_u32 s1, s5, s1
	s_load_dwordx2 s[44:45], s[0:1], 0x0
	s_and_b64 vcc, exec, s[48:49]
	s_cbranch_vccz .LBB129_33
; %bb.14:
	s_waitcnt lgkmcnt(0)
	s_lshl_b64 s[0:1], s[44:45], 3
	s_add_u32 s0, s8, s0
	s_addc_u32 s1, s9, s1
	s_load_dwordx4 s[28:31], s[0:1], 0x0
	v_lshrrev_b32_e32 v2, 5, v0
	v_subrev_co_u32_e32 v2, vcc, s36, v2
	s_waitcnt lgkmcnt(0)
	s_sub_u32 s0, s30, s36
	v_subb_co_u32_e64 v3, s[2:3], 0, 0, vcc
	s_subb_u32 s1, s31, 0
	v_lshl_add_u64 v[2:3], s[28:29], 0, v[2:3]
	v_cmp_gt_i64_e32 vcc, s[0:1], v[2:3]
	s_and_saveexec_b64 s[2:3], vcc
	s_cbranch_execz .LBB129_32
; %bb.15:
	v_and_b32_e32 v4, 31, v0
	v_subrev_co_u32_e32 v4, vcc, s37, v4
	s_mov_b32 s6, s37
	s_nop 0
	v_subb_co_u32_e64 v5, s[4:5], 0, 0, vcc
	s_mov_b64 s[4:5], 0
	s_movk_i32 s37, 0x89
	s_branch .LBB129_17
.LBB129_16:                             ;   in Loop: Header=BB129_17 Depth=1
	s_or_b64 exec, exec, s[8:9]
	v_lshl_add_u64 v[2:3], v[2:3], 0, 32
	v_cmp_le_i64_e32 vcc, s[0:1], v[2:3]
	s_or_b64 s[4:5], vcc, s[4:5]
	s_andn2_b64 exec, exec, s[4:5]
	s_cbranch_execz .LBB129_32
.LBB129_17:                             ; =>This Loop Header: Depth=1
                                        ;     Child Loop BB129_21 Depth 2
                                        ;       Child Loop BB129_24 Depth 3
	v_lshl_add_u64 v[6:7], v[2:3], 3, s[10:11]
	global_load_dwordx2 v[6:7], v[6:7], off
	s_waitcnt vmcnt(0)
	v_subrev_co_u32_e32 v6, vcc, s36, v6
	s_nop 1
	v_subbrev_co_u32_e32 v7, vcc, 0, v7, vcc
	v_lshl_add_u64 v[6:7], v[6:7], 3, s[14:15]
	global_load_dwordx4 v[8:11], v[6:7], off
	s_waitcnt vmcnt(0)
	v_subrev_co_u32_e32 v6, vcc, s6, v10
	s_nop 1
	v_subbrev_co_u32_e32 v7, vcc, 0, v11, vcc
	v_lshl_add_u64 v[8:9], v[8:9], 0, v[4:5]
	v_cmp_lt_i64_e32 vcc, v[8:9], v[6:7]
	s_and_saveexec_b64 s[8:9], vcc
	s_cbranch_execz .LBB129_16
; %bb.18:                               ;   in Loop: Header=BB129_17 Depth=1
	v_lshl_add_u64 v[10:11], v[2:3], 3, s[12:13]
	global_load_dwordx2 v[10:11], v[10:11], off
	s_mov_b64 s[20:21], 0
	s_waitcnt vmcnt(0)
	v_mul_f32_e64 v21, v11, -s7
	v_mul_f32_e32 v22, s59, v11
	v_fmac_f32_e32 v21, s59, v10
	v_fmac_f32_e32 v22, s7, v10
	s_branch .LBB129_21
.LBB129_19:                             ;   in Loop: Header=BB129_21 Depth=2
	s_or_b64 exec, exec, s[30:31]
.LBB129_20:                             ;   in Loop: Header=BB129_21 Depth=2
	s_or_b64 exec, exec, s[28:29]
	s_waitcnt vmcnt(0)
	v_mul_f32_e64 v13, v11, -v22
	v_mul_f32_e32 v11, v21, v11
	v_fmac_f32_e32 v13, v21, v10
	v_fmac_f32_e32 v11, v22, v10
	v_lshl_add_u32 v10, v12, 3, 0
	ds_add_f32 v10, v13 offset:16384
	ds_add_f32 v10, v11 offset:16388
	v_lshl_add_u64 v[8:9], v[8:9], 0, 32
	v_cmp_ge_i64_e32 vcc, v[8:9], v[6:7]
	s_or_b64 s[20:21], vcc, s[20:21]
	s_andn2_b64 exec, exec, s[20:21]
	s_cbranch_execz .LBB129_16
.LBB129_21:                             ;   Parent Loop BB129_17 Depth=1
                                        ; =>  This Loop Header: Depth=2
                                        ;       Child Loop BB129_24 Depth 3
	v_lshlrev_b64 v[10:11], 3, v[8:9]
	v_lshl_add_u64 v[12:13], s[24:25], 0, v[10:11]
	global_load_dwordx2 v[12:13], v[12:13], off
	v_lshl_add_u64 v[10:11], s[26:27], 0, v[10:11]
	global_load_dwordx2 v[10:11], v[10:11], off
	s_waitcnt vmcnt(1)
	v_subrev_co_u32_e32 v14, vcc, s6, v12
	v_mul_lo_u32 v12, v14, s37
	v_and_b32_e32 v12, 0x7ff, v12
	v_lshl_add_u32 v23, v12, 3, 0
	ds_read_b64 v[18:19], v23
	v_subbrev_co_u32_e32 v15, vcc, 0, v13, vcc
	s_waitcnt lgkmcnt(0)
	v_cmp_ne_u64_e32 vcc, v[18:19], v[14:15]
	s_and_saveexec_b64 s[28:29], vcc
	s_cbranch_execz .LBB129_20
; %bb.22:                               ;   in Loop: Header=BB129_21 Depth=2
	s_mov_b64 s[30:31], 0
                                        ; implicit-def: $sgpr48_sgpr49
                                        ; implicit-def: $sgpr50_sgpr51
	s_branch .LBB129_24
.LBB129_23:                             ;   in Loop: Header=BB129_24 Depth=3
	s_or_b64 exec, exec, s[56:57]
	s_and_b64 s[52:53], exec, s[54:55]
	s_or_b64 s[30:31], s[52:53], s[30:31]
	s_andn2_b64 s[48:49], s[48:49], exec
	s_and_b64 s[52:53], s[50:51], exec
	s_or_b64 s[48:49], s[48:49], s[52:53]
	s_andn2_b64 exec, exec, s[30:31]
	s_cbranch_execz .LBB129_30
.LBB129_24:                             ;   Parent Loop BB129_17 Depth=1
                                        ;     Parent Loop BB129_21 Depth=2
                                        ; =>    This Inner Loop Header: Depth=3
	v_mov_b64_e32 v[16:17], v[12:13]
	v_cmp_ne_u64_e32 vcc, s[42:43], v[18:19]
	s_mov_b64 s[52:53], 0
                                        ; implicit-def: $vgpr12_vgpr13
	s_and_saveexec_b64 s[54:55], vcc
	s_xor_b64 s[54:55], exec, s[54:55]
; %bb.25:                               ;   in Loop: Header=BB129_24 Depth=3
	v_add_u32_e32 v12, 1, v16
	s_mov_b64 s[52:53], exec
	v_and_b32_e32 v12, 0x7ff, v12
                                        ; implicit-def: $vgpr23
; %bb.26:                               ;   in Loop: Header=BB129_24 Depth=3
	s_andn2_saveexec_b64 s[54:55], s[54:55]
	s_cbranch_execz .LBB129_28
; %bb.27:                               ;   in Loop: Header=BB129_24 Depth=3
	v_mov_b64_e32 v[12:13], s[42:43]
	ds_cmpst_rtn_b64 v[12:13], v23, v[12:13], v[14:15]
	s_andn2_b64 s[52:53], s[52:53], exec
	s_waitcnt lgkmcnt(0)
	v_cmp_ne_u64_e32 vcc, s[42:43], v[12:13]
	s_and_b64 s[56:57], vcc, exec
	s_or_b64 s[52:53], s[52:53], s[56:57]
	v_mov_b64_e32 v[12:13], v[16:17]
.LBB129_28:                             ;   in Loop: Header=BB129_24 Depth=3
	s_or_b64 exec, exec, s[54:55]
	s_mov_b64 s[54:55], -1
	s_or_b64 s[50:51], s[50:51], exec
                                        ; implicit-def: $vgpr23
                                        ; implicit-def: $vgpr18_vgpr19
	s_and_saveexec_b64 s[56:57], s[52:53]
	s_cbranch_execz .LBB129_23
; %bb.29:                               ;   in Loop: Header=BB129_24 Depth=3
	v_lshl_add_u32 v23, v12, 3, 0
	ds_read_b64 v[18:19], v23
	s_andn2_b64 s[50:51], s[50:51], exec
	s_waitcnt lgkmcnt(0)
	v_cmp_eq_u64_e32 vcc, v[18:19], v[14:15]
	s_orn2_b64 s[54:55], vcc, exec
	s_branch .LBB129_23
.LBB129_30:                             ;   in Loop: Header=BB129_21 Depth=2
	s_or_b64 exec, exec, s[30:31]
	s_and_saveexec_b64 s[30:31], s[48:49]
	s_xor_b64 s[30:31], exec, s[30:31]
	s_cbranch_execz .LBB129_19
; %bb.31:                               ;   in Loop: Header=BB129_21 Depth=2
	v_mov_b32_e32 v12, v16
	s_branch .LBB129_19
.LBB129_32:
	s_or_b64 exec, exec, s[2:3]
.LBB129_33:
	s_andn2_b64 vcc, exec, s[46:47]
	s_cbranch_vccnz .LBB129_50
; %bb.34:
	s_waitcnt lgkmcnt(0)
	s_lshl_b64 s[0:1], s[44:45], 3
	s_add_u32 s0, s22, s0
	s_addc_u32 s1, s23, s1
	s_load_dwordx4 s[4:7], s[0:1], 0x0
	v_subrev_co_u32_e32 v2, vcc, s39, v0
	s_waitcnt lgkmcnt(0)
	s_sub_u32 s0, s6, s39
	v_subb_co_u32_e64 v3, s[2:3], 0, 0, vcc
	s_subb_u32 s1, s7, 0
	v_lshl_add_u64 v[2:3], s[4:5], 0, v[2:3]
	v_cmp_gt_i64_e32 vcc, s[0:1], v[2:3]
	s_and_saveexec_b64 s[2:3], vcc
	s_cbranch_execz .LBB129_49
; %bb.35:
	s_mov_b32 s26, s39
	s_mov_b64 s[4:5], 0
	s_movk_i32 s27, 0x89
	s_mov_b64 s[6:7], 0x400
	s_branch .LBB129_38
.LBB129_36:                             ;   in Loop: Header=BB129_38 Depth=1
	s_or_b64 exec, exec, s[10:11]
.LBB129_37:                             ;   in Loop: Header=BB129_38 Depth=1
	s_or_b64 exec, exec, s[8:9]
	s_waitcnt vmcnt(0)
	v_mul_f32_e64 v7, v5, -s58
	v_mul_f32_e32 v5, s33, v5
	v_fmac_f32_e32 v7, s33, v4
	v_fmac_f32_e32 v5, s58, v4
	v_lshl_add_u32 v4, v6, 3, 0
	ds_add_f32 v4, v7 offset:16384
	ds_add_f32 v4, v5 offset:16388
	v_lshl_add_u64 v[2:3], v[2:3], 0, s[6:7]
	v_cmp_le_i64_e32 vcc, s[0:1], v[2:3]
	s_or_b64 s[4:5], vcc, s[4:5]
	s_andn2_b64 exec, exec, s[4:5]
	s_cbranch_execz .LBB129_49
.LBB129_38:                             ; =>This Loop Header: Depth=1
                                        ;     Child Loop BB129_41 Depth 2
	v_lshlrev_b64 v[4:5], 3, v[2:3]
	v_lshl_add_u64 v[6:7], s[16:17], 0, v[4:5]
	global_load_dwordx2 v[6:7], v[6:7], off
	v_lshl_add_u64 v[4:5], s[18:19], 0, v[4:5]
	global_load_dwordx2 v[4:5], v[4:5], off
	s_waitcnt vmcnt(1)
	v_subrev_co_u32_e32 v8, vcc, s26, v6
	v_mul_lo_u32 v6, v8, s27
	v_and_b32_e32 v6, 0x7ff, v6
	v_lshl_add_u32 v14, v6, 3, 0
	ds_read_b64 v[12:13], v14
	v_subbrev_co_u32_e32 v9, vcc, 0, v7, vcc
	s_waitcnt lgkmcnt(0)
	v_cmp_ne_u64_e32 vcc, v[12:13], v[8:9]
	s_and_saveexec_b64 s[8:9], vcc
	s_cbranch_execz .LBB129_37
; %bb.39:                               ;   in Loop: Header=BB129_38 Depth=1
	s_mov_b64 s[10:11], 0
                                        ; implicit-def: $sgpr12_sgpr13
                                        ; implicit-def: $sgpr14_sgpr15
	s_branch .LBB129_41
.LBB129_40:                             ;   in Loop: Header=BB129_41 Depth=2
	s_or_b64 exec, exec, s[24:25]
	s_and_b64 s[20:21], exec, s[22:23]
	s_or_b64 s[10:11], s[20:21], s[10:11]
	s_andn2_b64 s[12:13], s[12:13], exec
	s_and_b64 s[20:21], s[14:15], exec
	s_or_b64 s[12:13], s[12:13], s[20:21]
	s_andn2_b64 exec, exec, s[10:11]
	s_cbranch_execz .LBB129_47
.LBB129_41:                             ;   Parent Loop BB129_38 Depth=1
                                        ; =>  This Inner Loop Header: Depth=2
	v_mov_b64_e32 v[10:11], v[6:7]
	v_cmp_ne_u64_e32 vcc, s[42:43], v[12:13]
	s_mov_b64 s[20:21], 0
                                        ; implicit-def: $vgpr6_vgpr7
	s_and_saveexec_b64 s[22:23], vcc
	s_xor_b64 s[22:23], exec, s[22:23]
; %bb.42:                               ;   in Loop: Header=BB129_41 Depth=2
	v_add_u32_e32 v6, 1, v10
	s_mov_b64 s[20:21], exec
	v_and_b32_e32 v6, 0x7ff, v6
                                        ; implicit-def: $vgpr14
; %bb.43:                               ;   in Loop: Header=BB129_41 Depth=2
	s_andn2_saveexec_b64 s[22:23], s[22:23]
	s_cbranch_execz .LBB129_45
; %bb.44:                               ;   in Loop: Header=BB129_41 Depth=2
	v_mov_b64_e32 v[6:7], s[42:43]
	ds_cmpst_rtn_b64 v[6:7], v14, v[6:7], v[8:9]
	s_andn2_b64 s[20:21], s[20:21], exec
	s_waitcnt lgkmcnt(0)
	v_cmp_ne_u64_e32 vcc, s[42:43], v[6:7]
	s_and_b64 s[24:25], vcc, exec
	s_or_b64 s[20:21], s[20:21], s[24:25]
	v_mov_b64_e32 v[6:7], v[10:11]
.LBB129_45:                             ;   in Loop: Header=BB129_41 Depth=2
	s_or_b64 exec, exec, s[22:23]
	s_mov_b64 s[22:23], -1
	s_or_b64 s[14:15], s[14:15], exec
                                        ; implicit-def: $vgpr14
                                        ; implicit-def: $vgpr12_vgpr13
	s_and_saveexec_b64 s[24:25], s[20:21]
	s_cbranch_execz .LBB129_40
; %bb.46:                               ;   in Loop: Header=BB129_41 Depth=2
	v_lshl_add_u32 v14, v6, 3, 0
	ds_read_b64 v[12:13], v14
	s_andn2_b64 s[14:15], s[14:15], exec
	s_waitcnt lgkmcnt(0)
	v_cmp_eq_u64_e32 vcc, v[12:13], v[8:9]
	s_orn2_b64 s[22:23], vcc, exec
	s_branch .LBB129_40
.LBB129_47:                             ;   in Loop: Header=BB129_38 Depth=1
	s_or_b64 exec, exec, s[10:11]
	s_and_saveexec_b64 s[10:11], s[12:13]
	s_xor_b64 s[10:11], exec, s[10:11]
	s_cbranch_execz .LBB129_36
; %bb.48:                               ;   in Loop: Header=BB129_38 Depth=1
	v_mov_b32_e32 v6, v10
	s_branch .LBB129_36
.LBB129_49:
	s_or_b64 exec, exec, s[2:3]
.LBB129_50:
	v_mbcnt_lo_u32_b32 v2, -1, 0
	v_mbcnt_hi_u32_b32 v2, -1, v2
	v_sub_u32_e32 v2, 63, v2
	v_lshrrev_b64 v[4:5], v2, -1
	v_lshrrev_b32_e32 v2, 3, v0
	v_and_b32_e32 v2, 0x78, v2
	s_movk_i32 s0, 0x3ff
	s_movk_i32 s4, 0x7f
	;; [unrolled: 1-line block ×15, first 2 shown]
	v_mov_b32_e32 v3, 0
	v_add_u32_e32 v14, 0, v2
	v_cmp_eq_u32_e64 s[0:1], s0, v0
	v_cmp_lt_u32_e64 s[2:3], 63, v0
	v_cmp_lt_u32_e64 s[4:5], s4, v0
	v_cmp_lt_u32_e64 s[6:7], s6, v0
	v_cmp_lt_u32_e64 s[8:9], s8, v0
	v_cmp_lt_u32_e64 s[10:11], s10, v0
	v_cmp_lt_u32_e64 s[12:13], s12, v0
	v_cmp_lt_u32_e64 s[14:15], s14, v0
	v_cmp_lt_u32_e64 s[16:17], s16, v0
	v_cmp_lt_u32_e64 s[18:19], s18, v0
	v_cmp_lt_u32_e64 s[20:21], s20, v0
	v_cmp_lt_u32_e64 s[22:23], s22, v0
	v_cmp_lt_u32_e64 s[24:25], s24, v0
	v_cmp_lt_u32_e64 s[26:27], s26, v0
	v_cmp_lt_u32_e64 s[28:29], s28, v0
	v_cmp_lt_u32_e64 s[30:31], s30, v0
	s_mov_b64 s[36:37], 0
	v_mov_b64_e32 v[6:7], 0
	s_waitcnt lgkmcnt(0)
	s_barrier
	s_branch .LBB129_52
.LBB129_51:                             ;   in Loop: Header=BB129_52 Depth=1
	s_or_b64 exec, exec, s[46:47]
	s_waitcnt lgkmcnt(0)
	s_barrier
	ds_read_b64 v[8:9], v3 offset:32888
	v_add_co_u32_e32 v1, vcc, 0x400, v1
	s_xor_b64 s[46:47], vcc, -1
	s_and_b64 s[46:47], exec, s[46:47]
	s_waitcnt lgkmcnt(0)
	v_lshl_add_u64 v[6:7], v[8:9], 0, v[6:7]
	s_or_b64 s[36:37], s[46:47], s[36:37]
	v_add_u32_e32 v20, 0x2000, v20
	s_andn2_b64 exec, exec, s[36:37]
	s_cbranch_execz .LBB129_86
.LBB129_52:                             ; =>This Inner Loop Header: Depth=1
	ds_read_b64 v[8:9], v20
	v_add_u32_e32 v2, 0x4000, v20
	ds_read2_b32 v[10:11], v2 offset1:1
	s_waitcnt lgkmcnt(0)
	s_barrier
	v_cmp_gt_i64_e32 vcc, s[42:43], v[8:9]
	s_bcnt1_i32_b64 s33, vcc
	v_mov_b32_e32 v2, s33
	v_and_b32_e32 v13, vcc_lo, v4
	v_and_b32_e32 v12, vcc_hi, v5
	v_bcnt_u32_b32 v13, v13, 0
	v_bcnt_u32_b32 v12, v12, v13
	ds_write_b64 v14, v[2:3] offset:32768
	s_waitcnt lgkmcnt(0)
	s_barrier
	s_and_saveexec_b64 s[46:47], s[2:3]
	s_cbranch_execnz .LBB129_69
; %bb.53:                               ;   in Loop: Header=BB129_52 Depth=1
	s_or_b64 exec, exec, s[46:47]
	s_and_saveexec_b64 s[46:47], s[4:5]
	s_cbranch_execnz .LBB129_70
.LBB129_54:                             ;   in Loop: Header=BB129_52 Depth=1
	s_or_b64 exec, exec, s[46:47]
	s_and_saveexec_b64 s[46:47], s[6:7]
	s_cbranch_execnz .LBB129_71
.LBB129_55:                             ;   in Loop: Header=BB129_52 Depth=1
	s_or_b64 exec, exec, s[46:47]
	s_and_saveexec_b64 s[46:47], s[8:9]
	s_cbranch_execnz .LBB129_72
.LBB129_56:                             ;   in Loop: Header=BB129_52 Depth=1
	s_or_b64 exec, exec, s[46:47]
	s_and_saveexec_b64 s[46:47], s[10:11]
	s_cbranch_execnz .LBB129_73
.LBB129_57:                             ;   in Loop: Header=BB129_52 Depth=1
	s_or_b64 exec, exec, s[46:47]
	s_and_saveexec_b64 s[46:47], s[12:13]
	s_cbranch_execnz .LBB129_74
.LBB129_58:                             ;   in Loop: Header=BB129_52 Depth=1
	s_or_b64 exec, exec, s[46:47]
	s_and_saveexec_b64 s[46:47], s[14:15]
	s_cbranch_execnz .LBB129_75
.LBB129_59:                             ;   in Loop: Header=BB129_52 Depth=1
	s_or_b64 exec, exec, s[46:47]
	s_and_saveexec_b64 s[46:47], s[16:17]
	s_cbranch_execnz .LBB129_76
.LBB129_60:                             ;   in Loop: Header=BB129_52 Depth=1
	s_or_b64 exec, exec, s[46:47]
	s_and_saveexec_b64 s[46:47], s[18:19]
	s_cbranch_execnz .LBB129_77
.LBB129_61:                             ;   in Loop: Header=BB129_52 Depth=1
	s_or_b64 exec, exec, s[46:47]
	s_and_saveexec_b64 s[46:47], s[20:21]
	s_cbranch_execnz .LBB129_78
.LBB129_62:                             ;   in Loop: Header=BB129_52 Depth=1
	s_or_b64 exec, exec, s[46:47]
	s_and_saveexec_b64 s[46:47], s[22:23]
	s_cbranch_execnz .LBB129_79
.LBB129_63:                             ;   in Loop: Header=BB129_52 Depth=1
	s_or_b64 exec, exec, s[46:47]
	s_and_saveexec_b64 s[46:47], s[24:25]
	s_cbranch_execnz .LBB129_80
.LBB129_64:                             ;   in Loop: Header=BB129_52 Depth=1
	s_or_b64 exec, exec, s[46:47]
	s_and_saveexec_b64 s[46:47], s[26:27]
	s_cbranch_execnz .LBB129_81
.LBB129_65:                             ;   in Loop: Header=BB129_52 Depth=1
	s_or_b64 exec, exec, s[46:47]
	s_and_saveexec_b64 s[46:47], s[28:29]
	s_cbranch_execnz .LBB129_82
.LBB129_66:                             ;   in Loop: Header=BB129_52 Depth=1
	s_or_b64 exec, exec, s[46:47]
	s_and_saveexec_b64 s[46:47], s[30:31]
	s_cbranch_execnz .LBB129_83
.LBB129_67:                             ;   in Loop: Header=BB129_52 Depth=1
	s_or_b64 exec, exec, s[46:47]
	v_ashrrev_i32_e32 v13, 31, v12
	s_and_saveexec_b64 s[46:47], vcc
	s_cbranch_execnz .LBB129_84
.LBB129_68:                             ;   in Loop: Header=BB129_52 Depth=1
	s_or_b64 exec, exec, s[46:47]
	s_and_saveexec_b64 s[46:47], s[0:1]
	s_cbranch_execz .LBB129_51
	s_branch .LBB129_85
.LBB129_69:                             ;   in Loop: Header=BB129_52 Depth=1
	ds_read_b32 v2, v3 offset:32768
	s_waitcnt lgkmcnt(0)
	v_add_u32_e32 v12, v2, v12
	s_or_b64 exec, exec, s[46:47]
	s_and_saveexec_b64 s[46:47], s[4:5]
	s_cbranch_execz .LBB129_54
.LBB129_70:                             ;   in Loop: Header=BB129_52 Depth=1
	ds_read_b32 v2, v3 offset:32776
	s_waitcnt lgkmcnt(0)
	v_add_u32_e32 v12, v12, v2
	s_or_b64 exec, exec, s[46:47]
	s_and_saveexec_b64 s[46:47], s[6:7]
	s_cbranch_execz .LBB129_55
.LBB129_71:                             ;   in Loop: Header=BB129_52 Depth=1
	ds_read_b32 v2, v3 offset:32784
	s_waitcnt lgkmcnt(0)
	v_add_u32_e32 v12, v12, v2
	s_or_b64 exec, exec, s[46:47]
	s_and_saveexec_b64 s[46:47], s[8:9]
	s_cbranch_execz .LBB129_56
.LBB129_72:                             ;   in Loop: Header=BB129_52 Depth=1
	ds_read_b32 v2, v3 offset:32792
	s_waitcnt lgkmcnt(0)
	v_add_u32_e32 v12, v12, v2
	s_or_b64 exec, exec, s[46:47]
	s_and_saveexec_b64 s[46:47], s[10:11]
	s_cbranch_execz .LBB129_57
.LBB129_73:                             ;   in Loop: Header=BB129_52 Depth=1
	ds_read_b32 v2, v3 offset:32800
	s_waitcnt lgkmcnt(0)
	v_add_u32_e32 v12, v12, v2
	s_or_b64 exec, exec, s[46:47]
	s_and_saveexec_b64 s[46:47], s[12:13]
	s_cbranch_execz .LBB129_58
.LBB129_74:                             ;   in Loop: Header=BB129_52 Depth=1
	ds_read_b32 v2, v3 offset:32808
	s_waitcnt lgkmcnt(0)
	v_add_u32_e32 v12, v12, v2
	s_or_b64 exec, exec, s[46:47]
	s_and_saveexec_b64 s[46:47], s[14:15]
	s_cbranch_execz .LBB129_59
.LBB129_75:                             ;   in Loop: Header=BB129_52 Depth=1
	ds_read_b32 v2, v3 offset:32816
	s_waitcnt lgkmcnt(0)
	v_add_u32_e32 v12, v12, v2
	s_or_b64 exec, exec, s[46:47]
	s_and_saveexec_b64 s[46:47], s[16:17]
	s_cbranch_execz .LBB129_60
.LBB129_76:                             ;   in Loop: Header=BB129_52 Depth=1
	ds_read_b32 v2, v3 offset:32824
	s_waitcnt lgkmcnt(0)
	v_add_u32_e32 v12, v12, v2
	s_or_b64 exec, exec, s[46:47]
	s_and_saveexec_b64 s[46:47], s[18:19]
	s_cbranch_execz .LBB129_61
.LBB129_77:                             ;   in Loop: Header=BB129_52 Depth=1
	ds_read_b32 v2, v3 offset:32832
	s_waitcnt lgkmcnt(0)
	v_add_u32_e32 v12, v12, v2
	s_or_b64 exec, exec, s[46:47]
	s_and_saveexec_b64 s[46:47], s[20:21]
	s_cbranch_execz .LBB129_62
.LBB129_78:                             ;   in Loop: Header=BB129_52 Depth=1
	ds_read_b32 v2, v3 offset:32840
	s_waitcnt lgkmcnt(0)
	v_add_u32_e32 v12, v12, v2
	s_or_b64 exec, exec, s[46:47]
	s_and_saveexec_b64 s[46:47], s[22:23]
	s_cbranch_execz .LBB129_63
.LBB129_79:                             ;   in Loop: Header=BB129_52 Depth=1
	ds_read_b32 v2, v3 offset:32848
	s_waitcnt lgkmcnt(0)
	v_add_u32_e32 v12, v12, v2
	s_or_b64 exec, exec, s[46:47]
	s_and_saveexec_b64 s[46:47], s[24:25]
	s_cbranch_execz .LBB129_64
.LBB129_80:                             ;   in Loop: Header=BB129_52 Depth=1
	ds_read_b32 v2, v3 offset:32856
	s_waitcnt lgkmcnt(0)
	v_add_u32_e32 v12, v12, v2
	s_or_b64 exec, exec, s[46:47]
	s_and_saveexec_b64 s[46:47], s[26:27]
	s_cbranch_execz .LBB129_65
.LBB129_81:                             ;   in Loop: Header=BB129_52 Depth=1
	ds_read_b32 v2, v3 offset:32864
	s_waitcnt lgkmcnt(0)
	v_add_u32_e32 v12, v12, v2
	s_or_b64 exec, exec, s[46:47]
	s_and_saveexec_b64 s[46:47], s[28:29]
	s_cbranch_execz .LBB129_66
.LBB129_82:                             ;   in Loop: Header=BB129_52 Depth=1
	ds_read_b32 v2, v3 offset:32872
	s_waitcnt lgkmcnt(0)
	v_add_u32_e32 v12, v12, v2
	s_or_b64 exec, exec, s[46:47]
	s_and_saveexec_b64 s[46:47], s[30:31]
	s_cbranch_execz .LBB129_67
.LBB129_83:                             ;   in Loop: Header=BB129_52 Depth=1
	ds_read_b32 v2, v3 offset:32880
	s_waitcnt lgkmcnt(0)
	v_add_u32_e32 v12, v12, v2
	s_or_b64 exec, exec, s[46:47]
	v_ashrrev_i32_e32 v13, 31, v12
	s_and_saveexec_b64 s[46:47], vcc
	s_cbranch_execz .LBB129_68
.LBB129_84:                             ;   in Loop: Header=BB129_52 Depth=1
	v_add3_u32 v2, v6, -1, v12
	v_add_u32_e32 v15, v6, v12
	v_lshl_add_u32 v2, v2, 3, 0
	v_lshl_add_u32 v15, v15, 3, 0
	v_add_u32_e32 v15, 0x3ff8, v15
	ds_write_b64 v2, v[8:9]
	ds_write2_b32 v15, v10, v11 offset1:1
	s_or_b64 exec, exec, s[46:47]
	s_and_saveexec_b64 s[46:47], s[0:1]
	s_cbranch_execz .LBB129_51
.LBB129_85:                             ;   in Loop: Header=BB129_52 Depth=1
	ds_write_b64 v3, v[12:13] offset:32888
	s_branch .LBB129_51
.LBB129_86:
	s_or_b64 exec, exec, s[36:37]
	s_lshl_b64 s[0:1], s[44:45], 3
	s_add_u32 s4, s40, s0
	s_addc_u32 s5, s41, s1
	s_load_dwordx4 s[0:3], s[4:5], 0x0
	v_mov_b32_e32 v1, 0
	s_waitcnt lgkmcnt(0)
	s_sub_u32 s4, s2, s0
	s_subb_u32 s5, s3, s1
	v_cmp_gt_i64_e32 vcc, s[4:5], v[0:1]
	s_and_saveexec_b64 s[6:7], vcc
	s_cbranch_execz .LBB129_96
; %bb.87:
	s_sub_u32 s8, s0, s38
	s_subb_u32 s9, s1, 0
	s_and_b32 s6, s4, 7
	s_sub_u32 s0, s0, s2
	s_mov_b32 s7, 0
	s_subb_u32 s1, s1, s3
	s_and_b32 s10, s4, -8
	s_cmp_lg_u64 s[6:7], 0
	v_cmp_lt_u64_e64 s[0:1], s[0:1], -7
	s_cselect_b64 s[2:3], -1, 0
	s_mov_b32 s11, s5
	v_cndmask_b32_e64 v2, 0, 1, s[0:1]
	v_cmp_ne_u32_e64 s[0:1], 1, v2
	v_cndmask_b32_e64 v2, 0, 1, s[2:3]
	s_mov_b64 s[12:13], 0
	v_cmp_ne_u32_e64 s[2:3], 1, v2
	s_mov_b64 s[14:15], 0x400
	s_branch .LBB129_89
.LBB129_88:                             ;   in Loop: Header=BB129_89 Depth=1
	v_lshl_add_u64 v[0:1], v[0:1], 0, s[14:15]
	v_cmp_le_i64_e32 vcc, s[4:5], v[0:1]
	s_waitcnt lgkmcnt(1)
	v_lshl_add_u64 v[4:5], v[6:7], 3, s[34:35]
	s_or_b64 s[12:13], vcc, s[12:13]
	s_waitcnt lgkmcnt(0)
	global_store_dwordx2 v[4:5], v[2:3], off
	s_andn2_b64 exec, exec, s[12:13]
	s_cbranch_execz .LBB129_96
.LBB129_89:                             ; =>This Loop Header: Depth=1
                                        ;     Child Loop BB129_91 Depth 2
                                        ;     Child Loop BB129_95 Depth 2
	v_lshl_add_u32 v2, v0, 3, 0
	v_add_u32_e32 v3, 0x4000, v2
	ds_read_b64 v[4:5], v2
	ds_read2_b32 v[2:3], v3 offset1:1
	s_and_b64 vcc, exec, s[0:1]
	v_mov_b64_e32 v[6:7], s[8:9]
	s_mov_b64 s[16:17], 0
	s_cbranch_vccnz .LBB129_93
; %bb.90:                               ;   in Loop: Header=BB129_89 Depth=1
	s_mov_b32 s18, 0
	v_mov_b64_e32 v[6:7], s[8:9]
.LBB129_91:                             ;   Parent Loop BB129_89 Depth=1
                                        ; =>  This Inner Loop Header: Depth=2
	v_mov_b32_e32 v20, s18
	ds_read2_b64 v[8:11], v20 offset1:1
	ds_read2_b64 v[12:15], v20 offset0:2 offset1:3
	ds_read2_b64 v[16:19], v20 offset0:4 offset1:5
	;; [unrolled: 1-line block ×3, first 2 shown]
	v_mov_b32_e32 v25, s7
	s_waitcnt lgkmcnt(3)
	v_cmp_gt_i64_e32 vcc, v[4:5], v[8:9]
	v_mov_b32_e32 v27, s7
	v_mov_b32_e32 v29, s7
	v_cndmask_b32_e64 v24, 0, 1, vcc
	v_cmp_gt_i64_e32 vcc, v[4:5], v[10:11]
	v_lshl_add_u64 v[6:7], v[6:7], 0, v[24:25]
	v_mov_b32_e32 v31, s7
	v_cndmask_b32_e64 v26, 0, 1, vcc
	s_waitcnt lgkmcnt(2)
	v_cmp_gt_i64_e32 vcc, v[4:5], v[12:13]
	v_lshl_add_u64 v[6:7], v[6:7], 0, v[26:27]
	v_mov_b32_e32 v33, s7
	v_cndmask_b32_e64 v28, 0, 1, vcc
	v_cmp_gt_i64_e32 vcc, v[4:5], v[14:15]
	v_lshl_add_u64 v[6:7], v[6:7], 0, v[28:29]
	v_mov_b32_e32 v35, s7
	v_cndmask_b32_e64 v30, 0, 1, vcc
	s_waitcnt lgkmcnt(1)
	v_cmp_gt_i64_e32 vcc, v[4:5], v[16:17]
	v_lshl_add_u64 v[6:7], v[6:7], 0, v[30:31]
	v_mov_b32_e32 v37, s7
	v_cndmask_b32_e64 v32, 0, 1, vcc
	v_cmp_gt_i64_e32 vcc, v[4:5], v[18:19]
	v_lshl_add_u64 v[6:7], v[6:7], 0, v[32:33]
	s_add_u32 s16, s16, 8
	v_cndmask_b32_e64 v34, 0, 1, vcc
	s_waitcnt lgkmcnt(0)
	v_cmp_gt_i64_e32 vcc, v[4:5], v[20:21]
	v_lshl_add_u64 v[6:7], v[6:7], 0, v[34:35]
	v_mov_b32_e32 v39, s7
	v_cndmask_b32_e64 v36, 0, 1, vcc
	v_cmp_gt_i64_e32 vcc, v[4:5], v[22:23]
	s_addc_u32 s17, s17, 0
	s_add_i32 s18, s18, 64
	v_cndmask_b32_e64 v38, 0, 1, vcc
	v_lshl_add_u64 v[6:7], v[6:7], 0, v[36:37]
	s_cmp_eq_u64 s[10:11], s[16:17]
	v_lshl_add_u64 v[6:7], v[6:7], 0, v[38:39]
	s_cbranch_scc0 .LBB129_91
; %bb.92:                               ;   in Loop: Header=BB129_89 Depth=1
	s_mov_b64 s[16:17], s[10:11]
.LBB129_93:                             ;   in Loop: Header=BB129_89 Depth=1
	s_and_b64 vcc, exec, s[2:3]
	s_cbranch_vccnz .LBB129_88
; %bb.94:                               ;   in Loop: Header=BB129_89 Depth=1
	s_lshl_b32 s16, s16, 3
	s_add_i32 s18, s16, 0
	s_mov_b64 s[16:17], s[6:7]
.LBB129_95:                             ;   Parent Loop BB129_89 Depth=1
                                        ; =>  This Inner Loop Header: Depth=2
	v_mov_b32_e32 v8, s18
	ds_read_b64 v[10:11], v8
	s_add_i32 s18, s18, 8
	s_add_u32 s16, s16, -1
	v_mov_b32_e32 v9, s7
	s_addc_u32 s17, s17, -1
	s_waitcnt lgkmcnt(0)
	v_cmp_gt_i64_e32 vcc, v[4:5], v[10:11]
	s_cmp_lg_u64 s[16:17], 0
	s_nop 0
	v_cndmask_b32_e64 v8, 0, 1, vcc
	v_lshl_add_u64 v[6:7], v[6:7], 0, v[8:9]
	s_cbranch_scc1 .LBB129_95
	s_branch .LBB129_88
.LBB129_96:
	s_endpgm
	.section	.rodata,"a",@progbits
	.p2align	6, 0x0
	.amdhsa_kernel _ZN9rocsparseL41csrgemm_numeric_fill_block_per_row_kernelILj1024ELj32ELj2048ELj137ELj64Ell21rocsparse_complex_numIfEEEvT5_PKS3_S5_NS_24const_host_device_scalarIT6_EEPKT4_S5_PKS7_SB_S5_SD_S8_SB_S5_SD_SB_S5_PS7_21rocsparse_index_base_SF_SF_SF_bbb
		.amdhsa_group_segment_fixed_size 0
		.amdhsa_private_segment_fixed_size 0
		.amdhsa_kernarg_size 156
		.amdhsa_user_sgpr_count 2
		.amdhsa_user_sgpr_dispatch_ptr 0
		.amdhsa_user_sgpr_queue_ptr 0
		.amdhsa_user_sgpr_kernarg_segment_ptr 1
		.amdhsa_user_sgpr_dispatch_id 0
		.amdhsa_user_sgpr_kernarg_preload_length 0
		.amdhsa_user_sgpr_kernarg_preload_offset 0
		.amdhsa_user_sgpr_private_segment_size 0
		.amdhsa_uses_dynamic_stack 0
		.amdhsa_enable_private_segment 0
		.amdhsa_system_sgpr_workgroup_id_x 1
		.amdhsa_system_sgpr_workgroup_id_y 0
		.amdhsa_system_sgpr_workgroup_id_z 0
		.amdhsa_system_sgpr_workgroup_info 0
		.amdhsa_system_vgpr_workitem_id 0
		.amdhsa_next_free_vgpr 40
		.amdhsa_next_free_sgpr 60
		.amdhsa_accum_offset 40
		.amdhsa_reserve_vcc 1
		.amdhsa_float_round_mode_32 0
		.amdhsa_float_round_mode_16_64 0
		.amdhsa_float_denorm_mode_32 3
		.amdhsa_float_denorm_mode_16_64 3
		.amdhsa_dx10_clamp 1
		.amdhsa_ieee_mode 1
		.amdhsa_fp16_overflow 0
		.amdhsa_tg_split 0
		.amdhsa_exception_fp_ieee_invalid_op 0
		.amdhsa_exception_fp_denorm_src 0
		.amdhsa_exception_fp_ieee_div_zero 0
		.amdhsa_exception_fp_ieee_overflow 0
		.amdhsa_exception_fp_ieee_underflow 0
		.amdhsa_exception_fp_ieee_inexact 0
		.amdhsa_exception_int_div_zero 0
	.end_amdhsa_kernel
	.section	.text._ZN9rocsparseL41csrgemm_numeric_fill_block_per_row_kernelILj1024ELj32ELj2048ELj137ELj64Ell21rocsparse_complex_numIfEEEvT5_PKS3_S5_NS_24const_host_device_scalarIT6_EEPKT4_S5_PKS7_SB_S5_SD_S8_SB_S5_SD_SB_S5_PS7_21rocsparse_index_base_SF_SF_SF_bbb,"axG",@progbits,_ZN9rocsparseL41csrgemm_numeric_fill_block_per_row_kernelILj1024ELj32ELj2048ELj137ELj64Ell21rocsparse_complex_numIfEEEvT5_PKS3_S5_NS_24const_host_device_scalarIT6_EEPKT4_S5_PKS7_SB_S5_SD_S8_SB_S5_SD_SB_S5_PS7_21rocsparse_index_base_SF_SF_SF_bbb,comdat
.Lfunc_end129:
	.size	_ZN9rocsparseL41csrgemm_numeric_fill_block_per_row_kernelILj1024ELj32ELj2048ELj137ELj64Ell21rocsparse_complex_numIfEEEvT5_PKS3_S5_NS_24const_host_device_scalarIT6_EEPKT4_S5_PKS7_SB_S5_SD_S8_SB_S5_SD_SB_S5_PS7_21rocsparse_index_base_SF_SF_SF_bbb, .Lfunc_end129-_ZN9rocsparseL41csrgemm_numeric_fill_block_per_row_kernelILj1024ELj32ELj2048ELj137ELj64Ell21rocsparse_complex_numIfEEEvT5_PKS3_S5_NS_24const_host_device_scalarIT6_EEPKT4_S5_PKS7_SB_S5_SD_S8_SB_S5_SD_SB_S5_PS7_21rocsparse_index_base_SF_SF_SF_bbb
                                        ; -- End function
	.set _ZN9rocsparseL41csrgemm_numeric_fill_block_per_row_kernelILj1024ELj32ELj2048ELj137ELj64Ell21rocsparse_complex_numIfEEEvT5_PKS3_S5_NS_24const_host_device_scalarIT6_EEPKT4_S5_PKS7_SB_S5_SD_S8_SB_S5_SD_SB_S5_PS7_21rocsparse_index_base_SF_SF_SF_bbb.num_vgpr, 40
	.set _ZN9rocsparseL41csrgemm_numeric_fill_block_per_row_kernelILj1024ELj32ELj2048ELj137ELj64Ell21rocsparse_complex_numIfEEEvT5_PKS3_S5_NS_24const_host_device_scalarIT6_EEPKT4_S5_PKS7_SB_S5_SD_S8_SB_S5_SD_SB_S5_PS7_21rocsparse_index_base_SF_SF_SF_bbb.num_agpr, 0
	.set _ZN9rocsparseL41csrgemm_numeric_fill_block_per_row_kernelILj1024ELj32ELj2048ELj137ELj64Ell21rocsparse_complex_numIfEEEvT5_PKS3_S5_NS_24const_host_device_scalarIT6_EEPKT4_S5_PKS7_SB_S5_SD_S8_SB_S5_SD_SB_S5_PS7_21rocsparse_index_base_SF_SF_SF_bbb.numbered_sgpr, 60
	.set _ZN9rocsparseL41csrgemm_numeric_fill_block_per_row_kernelILj1024ELj32ELj2048ELj137ELj64Ell21rocsparse_complex_numIfEEEvT5_PKS3_S5_NS_24const_host_device_scalarIT6_EEPKT4_S5_PKS7_SB_S5_SD_S8_SB_S5_SD_SB_S5_PS7_21rocsparse_index_base_SF_SF_SF_bbb.num_named_barrier, 0
	.set _ZN9rocsparseL41csrgemm_numeric_fill_block_per_row_kernelILj1024ELj32ELj2048ELj137ELj64Ell21rocsparse_complex_numIfEEEvT5_PKS3_S5_NS_24const_host_device_scalarIT6_EEPKT4_S5_PKS7_SB_S5_SD_S8_SB_S5_SD_SB_S5_PS7_21rocsparse_index_base_SF_SF_SF_bbb.private_seg_size, 0
	.set _ZN9rocsparseL41csrgemm_numeric_fill_block_per_row_kernelILj1024ELj32ELj2048ELj137ELj64Ell21rocsparse_complex_numIfEEEvT5_PKS3_S5_NS_24const_host_device_scalarIT6_EEPKT4_S5_PKS7_SB_S5_SD_S8_SB_S5_SD_SB_S5_PS7_21rocsparse_index_base_SF_SF_SF_bbb.uses_vcc, 1
	.set _ZN9rocsparseL41csrgemm_numeric_fill_block_per_row_kernelILj1024ELj32ELj2048ELj137ELj64Ell21rocsparse_complex_numIfEEEvT5_PKS3_S5_NS_24const_host_device_scalarIT6_EEPKT4_S5_PKS7_SB_S5_SD_S8_SB_S5_SD_SB_S5_PS7_21rocsparse_index_base_SF_SF_SF_bbb.uses_flat_scratch, 0
	.set _ZN9rocsparseL41csrgemm_numeric_fill_block_per_row_kernelILj1024ELj32ELj2048ELj137ELj64Ell21rocsparse_complex_numIfEEEvT5_PKS3_S5_NS_24const_host_device_scalarIT6_EEPKT4_S5_PKS7_SB_S5_SD_S8_SB_S5_SD_SB_S5_PS7_21rocsparse_index_base_SF_SF_SF_bbb.has_dyn_sized_stack, 0
	.set _ZN9rocsparseL41csrgemm_numeric_fill_block_per_row_kernelILj1024ELj32ELj2048ELj137ELj64Ell21rocsparse_complex_numIfEEEvT5_PKS3_S5_NS_24const_host_device_scalarIT6_EEPKT4_S5_PKS7_SB_S5_SD_S8_SB_S5_SD_SB_S5_PS7_21rocsparse_index_base_SF_SF_SF_bbb.has_recursion, 0
	.set _ZN9rocsparseL41csrgemm_numeric_fill_block_per_row_kernelILj1024ELj32ELj2048ELj137ELj64Ell21rocsparse_complex_numIfEEEvT5_PKS3_S5_NS_24const_host_device_scalarIT6_EEPKT4_S5_PKS7_SB_S5_SD_S8_SB_S5_SD_SB_S5_PS7_21rocsparse_index_base_SF_SF_SF_bbb.has_indirect_call, 0
	.section	.AMDGPU.csdata,"",@progbits
; Kernel info:
; codeLenInByte = 3296
; TotalNumSgprs: 66
; NumVgprs: 40
; NumAgprs: 0
; TotalNumVgprs: 40
; ScratchSize: 0
; MemoryBound: 0
; FloatMode: 240
; IeeeMode: 1
; LDSByteSize: 0 bytes/workgroup (compile time only)
; SGPRBlocks: 8
; VGPRBlocks: 4
; NumSGPRsForWavesPerEU: 66
; NumVGPRsForWavesPerEU: 40
; AccumOffset: 40
; Occupancy: 8
; WaveLimiterHint : 1
; COMPUTE_PGM_RSRC2:SCRATCH_EN: 0
; COMPUTE_PGM_RSRC2:USER_SGPR: 2
; COMPUTE_PGM_RSRC2:TRAP_HANDLER: 0
; COMPUTE_PGM_RSRC2:TGID_X_EN: 1
; COMPUTE_PGM_RSRC2:TGID_Y_EN: 0
; COMPUTE_PGM_RSRC2:TGID_Z_EN: 0
; COMPUTE_PGM_RSRC2:TIDIG_COMP_CNT: 0
; COMPUTE_PGM_RSRC3_GFX90A:ACCUM_OFFSET: 9
; COMPUTE_PGM_RSRC3_GFX90A:TG_SPLIT: 0
	.section	.text._ZN9rocsparseL41csrgemm_numeric_fill_block_per_row_kernelILj1024ELj64ELj4096ELj137ELj32Ell21rocsparse_complex_numIfEEEvT5_PKS3_S5_NS_24const_host_device_scalarIT6_EEPKT4_S5_PKS7_SB_S5_SD_S8_SB_S5_SD_SB_S5_PS7_21rocsparse_index_base_SF_SF_SF_bbb,"axG",@progbits,_ZN9rocsparseL41csrgemm_numeric_fill_block_per_row_kernelILj1024ELj64ELj4096ELj137ELj32Ell21rocsparse_complex_numIfEEEvT5_PKS3_S5_NS_24const_host_device_scalarIT6_EEPKT4_S5_PKS7_SB_S5_SD_S8_SB_S5_SD_SB_S5_PS7_21rocsparse_index_base_SF_SF_SF_bbb,comdat
	.globl	_ZN9rocsparseL41csrgemm_numeric_fill_block_per_row_kernelILj1024ELj64ELj4096ELj137ELj32Ell21rocsparse_complex_numIfEEEvT5_PKS3_S5_NS_24const_host_device_scalarIT6_EEPKT4_S5_PKS7_SB_S5_SD_S8_SB_S5_SD_SB_S5_PS7_21rocsparse_index_base_SF_SF_SF_bbb ; -- Begin function _ZN9rocsparseL41csrgemm_numeric_fill_block_per_row_kernelILj1024ELj64ELj4096ELj137ELj32Ell21rocsparse_complex_numIfEEEvT5_PKS3_S5_NS_24const_host_device_scalarIT6_EEPKT4_S5_PKS7_SB_S5_SD_S8_SB_S5_SD_SB_S5_PS7_21rocsparse_index_base_SF_SF_SF_bbb
	.p2align	8
	.type	_ZN9rocsparseL41csrgemm_numeric_fill_block_per_row_kernelILj1024ELj64ELj4096ELj137ELj32Ell21rocsparse_complex_numIfEEEvT5_PKS3_S5_NS_24const_host_device_scalarIT6_EEPKT4_S5_PKS7_SB_S5_SD_S8_SB_S5_SD_SB_S5_PS7_21rocsparse_index_base_SF_SF_SF_bbb,@function
_ZN9rocsparseL41csrgemm_numeric_fill_block_per_row_kernelILj1024ELj64ELj4096ELj137ELj32Ell21rocsparse_complex_numIfEEEvT5_PKS3_S5_NS_24const_host_device_scalarIT6_EEPKT4_S5_PKS7_SB_S5_SD_S8_SB_S5_SD_SB_S5_PS7_21rocsparse_index_base_SF_SF_SF_bbb: ; @_ZN9rocsparseL41csrgemm_numeric_fill_block_per_row_kernelILj1024ELj64ELj4096ELj137ELj32Ell21rocsparse_complex_numIfEEEvT5_PKS3_S5_NS_24const_host_device_scalarIT6_EEPKT4_S5_PKS7_SB_S5_SD_S8_SB_S5_SD_SB_S5_PS7_21rocsparse_index_base_SF_SF_SF_bbb
; %bb.0:
	s_load_dwordx2 s[4:5], s[0:1], 0x70
	s_load_dwordx4 s[52:55], s[0:1], 0x88
                                        ; implicit-def: $vgpr40 : SGPR spill to VGPR lane
	s_mov_b32 s7, 0
	s_mov_b32 s47, 0
	s_waitcnt lgkmcnt(0)
	v_writelane_b32 v40, s4, 0
	s_nop 1
	v_writelane_b32 v40, s5, 1
	s_load_dwordx4 s[20:23], s[0:1], 0x50
	s_load_dword s3, s[0:1], 0x98
	s_load_dwordx4 s[28:31], s[0:1], 0x8
	s_load_dwordx8 s[8:15], s[0:1], 0x20
	s_load_dwordx2 s[4:5], s[0:1], 0x80
	s_waitcnt lgkmcnt(0)
	s_bitcmp1_b32 s3, 0
	s_cselect_b64 s[36:37], -1, 0
	s_bitcmp1_b32 s3, 16
	v_writelane_b32 v40, s4, 2
	s_nop 1
	v_writelane_b32 v40, s5, 3
	s_cselect_b64 s[4:5], -1, 0
	s_xor_b64 s[4:5], s[4:5], -1
	v_cndmask_b32_e64 v1, 0, 1, s[4:5]
	s_bitcmp0_b32 s3, 0
	v_cmp_ne_u32_e64 s[4:5], 1, v1
	s_cbranch_scc1 .LBB130_5
; %bb.1:
	s_load_dwordx2 s[6:7], s[0:1], 0x18
	s_and_b64 vcc, exec, s[4:5]
	s_waitcnt lgkmcnt(0)
	s_mov_b32 s47, s6
	s_cbranch_vccnz .LBB130_3
; %bb.2:
	s_load_dword s47, s[6:7], 0x0
.LBB130_3:
	s_and_b64 vcc, exec, s[4:5]
	s_cbranch_vccnz .LBB130_5
; %bb.4:
	s_load_dword s7, s[6:7], 0x4
.LBB130_5:
	s_nop 0
	s_load_dwordx4 s[16:19], s[0:1], 0x60
	s_load_dwordx4 s[24:27], s[0:1], 0x40
	s_bitcmp1_b32 s3, 8
	s_cselect_b64 s[34:35], -1, 0
	s_bfe_u32 s3, s3, 0x10008
	s_mov_b32 s33, 0
	s_cmp_eq_u32 s3, 0
	s_mov_b32 s46, 0
	s_cbranch_scc1 .LBB130_11
; %bb.6:
	s_and_b64 vcc, exec, s[4:5]
	s_mov_b32 s33, s20
	s_cbranch_vccnz .LBB130_8
; %bb.7:
	s_load_dword s33, s[20:21], 0x0
.LBB130_8:
	s_and_b64 vcc, exec, s[4:5]
	s_cbranch_vccnz .LBB130_10
; %bb.9:
	s_load_dword s21, s[20:21], 0x4
.LBB130_10:
	s_waitcnt lgkmcnt(0)
	s_mov_b32 s46, s21
.LBB130_11:
	s_load_dwordx2 s[72:73], s[0:1], 0x0
	v_or_b32_e32 v1, 0xfffffc00, v0
	v_lshl_add_u32 v20, v0, 3, 0
	s_mov_b64 s[0:1], 0
	v_mov_b32_e32 v2, 0
	s_waitcnt lgkmcnt(0)
	v_mov_b64_e32 v[6:7], s[72:73]
	s_movk_i32 s3, 0xbff
	v_mov_b32_e32 v3, v20
	v_mov_b32_e32 v4, v1
.LBB130_12:                             ; =>This Inner Loop Header: Depth=1
	v_add_u32_e32 v4, 0x400, v4
	v_cmp_lt_u32_e32 vcc, s3, v4
	ds_write_b64 v3, v[6:7]
	v_add_u32_e32 v5, 0x8000, v3
	v_add_u32_e32 v3, 0x2000, v3
	s_or_b64 s[0:1], vcc, s[0:1]
	ds_write2_b32 v5, v2, v2 offset1:1
	s_andn2_b64 exec, exec, s[0:1]
	s_cbranch_execnz .LBB130_12
; %bb.13:
	s_or_b64 exec, exec, s[0:1]
	s_waitcnt lgkmcnt(0)
	s_barrier
	s_load_dwordx2 s[0:1], s[28:29], 0x0
	s_mov_b32 s3, 0
	s_waitcnt lgkmcnt(0)
	s_lshl_b64 s[0:1], s[0:1], 3
	s_add_u32 s4, s30, s0
	s_addc_u32 s5, s31, s1
	s_lshl_b64 s[0:1], s[2:3], 3
	s_add_u32 s0, s4, s0
	s_addc_u32 s1, s5, s1
	s_load_dwordx2 s[50:51], s[0:1], 0x0
	s_and_b64 vcc, exec, s[36:37]
	s_cbranch_vccz .LBB130_33
; %bb.14:
	s_waitcnt lgkmcnt(0)
	s_lshl_b64 s[0:1], s[50:51], 3
	s_add_u32 s0, s8, s0
	s_addc_u32 s1, s9, s1
	s_load_dwordx4 s[28:31], s[0:1], 0x0
	v_lshrrev_b32_e32 v2, 6, v0
	v_subrev_co_u32_e32 v2, vcc, s52, v2
	s_waitcnt lgkmcnt(0)
	s_sub_u32 s0, s30, s52
	v_subb_co_u32_e64 v3, s[2:3], 0, 0, vcc
	s_subb_u32 s1, s31, 0
	v_lshl_add_u64 v[2:3], s[28:29], 0, v[2:3]
	v_cmp_gt_i64_e32 vcc, s[0:1], v[2:3]
	s_and_saveexec_b64 s[2:3], vcc
	s_cbranch_execz .LBB130_32
; %bb.15:
	v_and_b32_e32 v4, 63, v0
	v_subrev_co_u32_e32 v4, vcc, s53, v4
	s_mov_b32 s6, s53
	s_nop 0
	v_subb_co_u32_e64 v5, s[4:5], 0, 0, vcc
	s_mov_b64 s[4:5], 0
	s_movk_i32 s48, 0x89
	s_branch .LBB130_17
.LBB130_16:                             ;   in Loop: Header=BB130_17 Depth=1
	s_or_b64 exec, exec, s[8:9]
	v_lshl_add_u64 v[2:3], v[2:3], 0, 16
	v_cmp_le_i64_e32 vcc, s[0:1], v[2:3]
	s_or_b64 s[4:5], vcc, s[4:5]
	s_andn2_b64 exec, exec, s[4:5]
	s_cbranch_execz .LBB130_32
.LBB130_17:                             ; =>This Loop Header: Depth=1
                                        ;     Child Loop BB130_21 Depth 2
                                        ;       Child Loop BB130_24 Depth 3
	v_lshl_add_u64 v[6:7], v[2:3], 3, s[10:11]
	global_load_dwordx2 v[6:7], v[6:7], off
	s_waitcnt vmcnt(0)
	v_subrev_co_u32_e32 v6, vcc, s52, v6
	s_nop 1
	v_subbrev_co_u32_e32 v7, vcc, 0, v7, vcc
	v_lshl_add_u64 v[6:7], v[6:7], 3, s[14:15]
	global_load_dwordx4 v[8:11], v[6:7], off
	s_waitcnt vmcnt(0)
	v_subrev_co_u32_e32 v6, vcc, s6, v10
	s_nop 1
	v_subbrev_co_u32_e32 v7, vcc, 0, v11, vcc
	v_lshl_add_u64 v[8:9], v[8:9], 0, v[4:5]
	v_cmp_lt_i64_e32 vcc, v[8:9], v[6:7]
	s_and_saveexec_b64 s[8:9], vcc
	s_cbranch_execz .LBB130_16
; %bb.18:                               ;   in Loop: Header=BB130_17 Depth=1
	v_lshl_add_u64 v[10:11], v[2:3], 3, s[12:13]
	global_load_dwordx2 v[10:11], v[10:11], off
	s_mov_b64 s[20:21], 0
	s_waitcnt vmcnt(0)
	v_mul_f32_e64 v21, v11, -s7
	v_mul_f32_e32 v22, s47, v11
	v_fmac_f32_e32 v21, s47, v10
	v_fmac_f32_e32 v22, s7, v10
	s_branch .LBB130_21
.LBB130_19:                             ;   in Loop: Header=BB130_21 Depth=2
	s_or_b64 exec, exec, s[30:31]
.LBB130_20:                             ;   in Loop: Header=BB130_21 Depth=2
	s_or_b64 exec, exec, s[28:29]
	s_waitcnt vmcnt(0)
	v_mul_f32_e64 v13, v11, -v22
	v_mul_f32_e32 v11, v21, v11
	v_fmac_f32_e32 v13, v21, v10
	v_fmac_f32_e32 v11, v22, v10
	v_lshl_add_u32 v10, v12, 3, 0
	ds_add_f32 v10, v13 offset:32768
	ds_add_f32 v10, v11 offset:32772
	v_lshl_add_u64 v[8:9], v[8:9], 0, 64
	v_cmp_ge_i64_e32 vcc, v[8:9], v[6:7]
	s_or_b64 s[20:21], vcc, s[20:21]
	s_andn2_b64 exec, exec, s[20:21]
	s_cbranch_execz .LBB130_16
.LBB130_21:                             ;   Parent Loop BB130_17 Depth=1
                                        ; =>  This Loop Header: Depth=2
                                        ;       Child Loop BB130_24 Depth 3
	v_lshlrev_b64 v[10:11], 3, v[8:9]
	v_lshl_add_u64 v[12:13], s[24:25], 0, v[10:11]
	global_load_dwordx2 v[12:13], v[12:13], off
	v_lshl_add_u64 v[10:11], s[26:27], 0, v[10:11]
	global_load_dwordx2 v[10:11], v[10:11], off
	s_waitcnt vmcnt(1)
	v_subrev_co_u32_e32 v14, vcc, s6, v12
	v_mul_lo_u32 v12, v14, s48
	v_and_b32_e32 v12, 0xfff, v12
	v_lshl_add_u32 v23, v12, 3, 0
	ds_read_b64 v[18:19], v23
	v_subbrev_co_u32_e32 v15, vcc, 0, v13, vcc
	s_waitcnt lgkmcnt(0)
	v_cmp_ne_u64_e32 vcc, v[18:19], v[14:15]
	s_and_saveexec_b64 s[28:29], vcc
	s_cbranch_execz .LBB130_20
; %bb.22:                               ;   in Loop: Header=BB130_21 Depth=2
	s_mov_b64 s[30:31], 0
                                        ; implicit-def: $sgpr36_sgpr37
                                        ; implicit-def: $sgpr38_sgpr39
	s_branch .LBB130_24
.LBB130_23:                             ;   in Loop: Header=BB130_24 Depth=3
	s_or_b64 exec, exec, s[44:45]
	s_and_b64 s[40:41], exec, s[42:43]
	s_or_b64 s[30:31], s[40:41], s[30:31]
	s_andn2_b64 s[36:37], s[36:37], exec
	s_and_b64 s[40:41], s[38:39], exec
	s_or_b64 s[36:37], s[36:37], s[40:41]
	s_andn2_b64 exec, exec, s[30:31]
	s_cbranch_execz .LBB130_30
.LBB130_24:                             ;   Parent Loop BB130_17 Depth=1
                                        ;     Parent Loop BB130_21 Depth=2
                                        ; =>    This Inner Loop Header: Depth=3
	v_mov_b64_e32 v[16:17], v[12:13]
	v_cmp_ne_u64_e32 vcc, s[72:73], v[18:19]
	s_mov_b64 s[40:41], 0
                                        ; implicit-def: $vgpr12_vgpr13
	s_and_saveexec_b64 s[42:43], vcc
	s_xor_b64 s[42:43], exec, s[42:43]
; %bb.25:                               ;   in Loop: Header=BB130_24 Depth=3
	v_add_u32_e32 v12, 1, v16
	s_mov_b64 s[40:41], exec
	v_and_b32_e32 v12, 0xfff, v12
                                        ; implicit-def: $vgpr23
; %bb.26:                               ;   in Loop: Header=BB130_24 Depth=3
	s_andn2_saveexec_b64 s[42:43], s[42:43]
	s_cbranch_execz .LBB130_28
; %bb.27:                               ;   in Loop: Header=BB130_24 Depth=3
	v_mov_b64_e32 v[12:13], s[72:73]
	ds_cmpst_rtn_b64 v[12:13], v23, v[12:13], v[14:15]
	s_andn2_b64 s[40:41], s[40:41], exec
	s_waitcnt lgkmcnt(0)
	v_cmp_ne_u64_e32 vcc, s[72:73], v[12:13]
	s_and_b64 s[44:45], vcc, exec
	s_or_b64 s[40:41], s[40:41], s[44:45]
	v_mov_b64_e32 v[12:13], v[16:17]
.LBB130_28:                             ;   in Loop: Header=BB130_24 Depth=3
	s_or_b64 exec, exec, s[42:43]
	s_mov_b64 s[42:43], -1
	s_or_b64 s[38:39], s[38:39], exec
                                        ; implicit-def: $vgpr23
                                        ; implicit-def: $vgpr18_vgpr19
	s_and_saveexec_b64 s[44:45], s[40:41]
	s_cbranch_execz .LBB130_23
; %bb.29:                               ;   in Loop: Header=BB130_24 Depth=3
	v_lshl_add_u32 v23, v12, 3, 0
	ds_read_b64 v[18:19], v23
	s_andn2_b64 s[38:39], s[38:39], exec
	s_waitcnt lgkmcnt(0)
	v_cmp_eq_u64_e32 vcc, v[18:19], v[14:15]
	s_orn2_b64 s[42:43], vcc, exec
	s_branch .LBB130_23
.LBB130_30:                             ;   in Loop: Header=BB130_21 Depth=2
	s_or_b64 exec, exec, s[30:31]
	s_and_saveexec_b64 s[30:31], s[36:37]
	s_xor_b64 s[30:31], exec, s[30:31]
	s_cbranch_execz .LBB130_19
; %bb.31:                               ;   in Loop: Header=BB130_21 Depth=2
	v_mov_b32_e32 v12, v16
	s_branch .LBB130_19
.LBB130_32:
	s_or_b64 exec, exec, s[2:3]
.LBB130_33:
	s_andn2_b64 vcc, exec, s[34:35]
	s_cbranch_vccnz .LBB130_50
; %bb.34:
	s_waitcnt lgkmcnt(0)
	s_lshl_b64 s[0:1], s[50:51], 3
	s_add_u32 s0, s22, s0
	s_addc_u32 s1, s23, s1
	s_load_dwordx4 s[4:7], s[0:1], 0x0
	v_subrev_co_u32_e32 v2, vcc, s55, v0
	s_waitcnt lgkmcnt(0)
	s_sub_u32 s0, s6, s55
	v_subb_co_u32_e64 v3, s[2:3], 0, 0, vcc
	s_subb_u32 s1, s7, 0
	v_lshl_add_u64 v[2:3], s[4:5], 0, v[2:3]
	v_cmp_gt_i64_e32 vcc, s[0:1], v[2:3]
	s_and_saveexec_b64 s[2:3], vcc
	s_cbranch_execz .LBB130_49
; %bb.35:
	s_mov_b32 s26, s55
	s_mov_b64 s[4:5], 0
	s_movk_i32 s27, 0x89
	s_mov_b64 s[6:7], 0x400
	s_branch .LBB130_38
.LBB130_36:                             ;   in Loop: Header=BB130_38 Depth=1
	s_or_b64 exec, exec, s[10:11]
.LBB130_37:                             ;   in Loop: Header=BB130_38 Depth=1
	s_or_b64 exec, exec, s[8:9]
	s_waitcnt vmcnt(0)
	v_mul_f32_e64 v7, v5, -s46
	v_mul_f32_e32 v5, s33, v5
	v_fmac_f32_e32 v7, s33, v4
	v_fmac_f32_e32 v5, s46, v4
	v_lshl_add_u32 v4, v6, 3, 0
	ds_add_f32 v4, v7 offset:32768
	ds_add_f32 v4, v5 offset:32772
	v_lshl_add_u64 v[2:3], v[2:3], 0, s[6:7]
	v_cmp_le_i64_e32 vcc, s[0:1], v[2:3]
	s_or_b64 s[4:5], vcc, s[4:5]
	s_andn2_b64 exec, exec, s[4:5]
	s_cbranch_execz .LBB130_49
.LBB130_38:                             ; =>This Loop Header: Depth=1
                                        ;     Child Loop BB130_41 Depth 2
	v_lshlrev_b64 v[4:5], 3, v[2:3]
	v_lshl_add_u64 v[6:7], s[16:17], 0, v[4:5]
	global_load_dwordx2 v[6:7], v[6:7], off
	v_lshl_add_u64 v[4:5], s[18:19], 0, v[4:5]
	global_load_dwordx2 v[4:5], v[4:5], off
	s_waitcnt vmcnt(1)
	v_subrev_co_u32_e32 v8, vcc, s26, v6
	v_mul_lo_u32 v6, v8, s27
	v_and_b32_e32 v6, 0xfff, v6
	v_lshl_add_u32 v14, v6, 3, 0
	ds_read_b64 v[12:13], v14
	v_subbrev_co_u32_e32 v9, vcc, 0, v7, vcc
	s_waitcnt lgkmcnt(0)
	v_cmp_ne_u64_e32 vcc, v[12:13], v[8:9]
	s_and_saveexec_b64 s[8:9], vcc
	s_cbranch_execz .LBB130_37
; %bb.39:                               ;   in Loop: Header=BB130_38 Depth=1
	s_mov_b64 s[10:11], 0
                                        ; implicit-def: $sgpr12_sgpr13
                                        ; implicit-def: $sgpr14_sgpr15
	s_branch .LBB130_41
.LBB130_40:                             ;   in Loop: Header=BB130_41 Depth=2
	s_or_b64 exec, exec, s[24:25]
	s_and_b64 s[20:21], exec, s[22:23]
	s_or_b64 s[10:11], s[20:21], s[10:11]
	s_andn2_b64 s[12:13], s[12:13], exec
	s_and_b64 s[20:21], s[14:15], exec
	s_or_b64 s[12:13], s[12:13], s[20:21]
	s_andn2_b64 exec, exec, s[10:11]
	s_cbranch_execz .LBB130_47
.LBB130_41:                             ;   Parent Loop BB130_38 Depth=1
                                        ; =>  This Inner Loop Header: Depth=2
	v_mov_b64_e32 v[10:11], v[6:7]
	v_cmp_ne_u64_e32 vcc, s[72:73], v[12:13]
	s_mov_b64 s[20:21], 0
                                        ; implicit-def: $vgpr6_vgpr7
	s_and_saveexec_b64 s[22:23], vcc
	s_xor_b64 s[22:23], exec, s[22:23]
; %bb.42:                               ;   in Loop: Header=BB130_41 Depth=2
	v_add_u32_e32 v6, 1, v10
	s_mov_b64 s[20:21], exec
	v_and_b32_e32 v6, 0xfff, v6
                                        ; implicit-def: $vgpr14
; %bb.43:                               ;   in Loop: Header=BB130_41 Depth=2
	s_andn2_saveexec_b64 s[22:23], s[22:23]
	s_cbranch_execz .LBB130_45
; %bb.44:                               ;   in Loop: Header=BB130_41 Depth=2
	v_mov_b64_e32 v[6:7], s[72:73]
	ds_cmpst_rtn_b64 v[6:7], v14, v[6:7], v[8:9]
	s_andn2_b64 s[20:21], s[20:21], exec
	s_waitcnt lgkmcnt(0)
	v_cmp_ne_u64_e32 vcc, s[72:73], v[6:7]
	s_and_b64 s[24:25], vcc, exec
	s_or_b64 s[20:21], s[20:21], s[24:25]
	v_mov_b64_e32 v[6:7], v[10:11]
.LBB130_45:                             ;   in Loop: Header=BB130_41 Depth=2
	s_or_b64 exec, exec, s[22:23]
	s_mov_b64 s[22:23], -1
	s_or_b64 s[14:15], s[14:15], exec
                                        ; implicit-def: $vgpr14
                                        ; implicit-def: $vgpr12_vgpr13
	s_and_saveexec_b64 s[24:25], s[20:21]
	s_cbranch_execz .LBB130_40
; %bb.46:                               ;   in Loop: Header=BB130_41 Depth=2
	v_lshl_add_u32 v14, v6, 3, 0
	ds_read_b64 v[12:13], v14
	s_andn2_b64 s[14:15], s[14:15], exec
	s_waitcnt lgkmcnt(0)
	v_cmp_eq_u64_e32 vcc, v[12:13], v[8:9]
	s_orn2_b64 s[22:23], vcc, exec
	s_branch .LBB130_40
.LBB130_47:                             ;   in Loop: Header=BB130_38 Depth=1
	s_or_b64 exec, exec, s[10:11]
	s_and_saveexec_b64 s[10:11], s[12:13]
	s_xor_b64 s[10:11], exec, s[10:11]
	s_cbranch_execz .LBB130_36
; %bb.48:                               ;   in Loop: Header=BB130_38 Depth=1
	v_mov_b32_e32 v6, v10
	s_branch .LBB130_36
.LBB130_49:
	s_or_b64 exec, exec, s[2:3]
.LBB130_50:
	s_movk_i32 s33, 0x25f
	v_cmp_lt_u32_e64 s[34:35], s33, v0
	s_movk_i32 s33, 0x27f
	v_cmp_lt_u32_e64 s[36:37], s33, v0
	;; [unrolled: 2-line block ×4, first 2 shown]
	s_movk_i32 s33, 0x2df
	s_waitcnt lgkmcnt(0)
	v_writelane_b32 v40, s50, 4
	v_cmp_lt_u32_e64 s[42:43], s33, v0
	s_movk_i32 s33, 0x2ff
	v_writelane_b32 v40, s51, 5
	v_cmp_lt_u32_e64 s[44:45], s33, v0
	s_movk_i32 s33, 0x31f
	;; [unrolled: 3-line block ×5, first 2 shown]
	v_writelane_b32 v40, s55, 9
	v_mbcnt_lo_u32_b32 v2, -1, 0
	v_cmp_lt_u32_e64 s[52:53], s33, v0
	s_movk_i32 s33, 0x39f
	v_mbcnt_hi_u32_b32 v2, -1, v2
	v_cmp_lt_u32_e64 s[54:55], s33, v0
	s_movk_i32 s33, 0x3bf
	v_sub_u32_e32 v2, 63, v2
	s_add_i32 s0, 0, 0x10000
	v_cmp_lt_u32_e64 s[56:57], s33, v0
	s_movk_i32 s33, 0x3df
	v_lshrrev_b64 v[4:5], v2, -1
	v_lshrrev_b32_e32 v2, 2, v0
	v_writelane_b32 v40, s0, 10
	v_cmp_lt_u32_e64 s[58:59], s33, v0
	s_add_i32 s33, 0, 0x10008
	v_and_b32_e32 v2, 0xf8, v2
	v_writelane_b32 v40, s33, 11
	s_add_i32 s33, 0, 0x10010
	v_add_u32_e32 v14, s0, v2
	s_movk_i32 s0, 0x3ff
	v_writelane_b32 v40, s33, 12
	s_add_i32 s33, 0, 0x10018
	v_cmp_eq_u32_e32 vcc, s0, v0
	s_movk_i32 s0, 0x5f
	s_movk_i32 s2, 0x7f
	;; [unrolled: 1-line block ×16, first 2 shown]
	v_writelane_b32 v40, s33, 13
	s_add_i32 s33, 0, 0x10028
	v_mov_b32_e32 v3, 0
	v_cmp_lt_u32_e64 s[0:1], s0, v0
	v_cmp_lt_u32_e64 s[2:3], s2, v0
	;; [unrolled: 1-line block ×16, first 2 shown]
	v_mov_b64_e32 v[6:7], 0
	s_add_i32 s81, 0, 0x10020
	v_writelane_b32 v40, s33, 14
	s_add_i32 s84, 0, 0x10030
	s_add_i32 s85, 0, 0x10038
	;; [unrolled: 1-line block ×26, first 2 shown]
	v_cmp_lt_u32_e64 s[60:61], 31, v0
	v_cmp_lt_u32_e64 s[62:63], 63, v0
	s_mov_b64 s[76:77], 0
	s_barrier
	s_branch .LBB130_52
.LBB130_51:                             ;   in Loop: Header=BB130_52 Depth=1
	s_or_b64 exec, exec, s[64:65]
	v_mov_b32_e32 v2, s80
	s_waitcnt lgkmcnt(0)
	s_barrier
	ds_read_b64 v[8:9], v2
	v_add_u32_e32 v1, 0x400, v1
	s_movk_i32 s64, 0xbff
	v_cmp_lt_u32_e64 s[64:65], s64, v1
	s_or_b64 s[76:77], s[64:65], s[76:77]
	s_waitcnt lgkmcnt(0)
	v_lshl_add_u64 v[6:7], v[8:9], 0, v[6:7]
	v_add_u32_e32 v20, 0x2000, v20
	s_andn2_b64 exec, exec, s[76:77]
	s_cbranch_execz .LBB130_118
.LBB130_52:                             ; =>This Inner Loop Header: Depth=1
	ds_read_b64 v[8:9], v20
	v_add_u32_e32 v2, 0x8000, v20
	ds_read2_b32 v[10:11], v2 offset1:1
	s_waitcnt lgkmcnt(0)
	s_barrier
	v_cmp_gt_i64_e64 s[64:65], s[72:73], v[8:9]
	s_bcnt1_i32_b64 s78, s[64:65]
	v_mov_b32_e32 v2, s78
	v_and_b32_e32 v13, s64, v4
	v_and_b32_e32 v12, s65, v5
	v_bcnt_u32_b32 v13, v13, 0
	v_bcnt_u32_b32 v12, v12, v13
	ds_write_b64 v14, v[2:3]
	s_waitcnt lgkmcnt(0)
	s_barrier
	s_and_saveexec_b64 s[78:79], s[60:61]
	s_cbranch_execnz .LBB130_85
; %bb.53:                               ;   in Loop: Header=BB130_52 Depth=1
	s_or_b64 exec, exec, s[78:79]
	s_and_saveexec_b64 s[78:79], s[62:63]
	s_cbranch_execnz .LBB130_86
.LBB130_54:                             ;   in Loop: Header=BB130_52 Depth=1
	s_or_b64 exec, exec, s[78:79]
	s_and_saveexec_b64 s[78:79], s[0:1]
	s_cbranch_execnz .LBB130_87
.LBB130_55:                             ;   in Loop: Header=BB130_52 Depth=1
	s_or_b64 exec, exec, s[78:79]
	s_and_saveexec_b64 s[78:79], s[2:3]
	s_cbranch_execnz .LBB130_88
.LBB130_56:                             ;   in Loop: Header=BB130_52 Depth=1
	s_or_b64 exec, exec, s[78:79]
	s_and_saveexec_b64 s[78:79], s[4:5]
	s_cbranch_execnz .LBB130_89
.LBB130_57:                             ;   in Loop: Header=BB130_52 Depth=1
	s_or_b64 exec, exec, s[78:79]
	s_and_saveexec_b64 s[78:79], s[6:7]
	s_cbranch_execnz .LBB130_90
.LBB130_58:                             ;   in Loop: Header=BB130_52 Depth=1
	s_or_b64 exec, exec, s[78:79]
	s_and_saveexec_b64 s[78:79], s[8:9]
	s_cbranch_execnz .LBB130_91
.LBB130_59:                             ;   in Loop: Header=BB130_52 Depth=1
	s_or_b64 exec, exec, s[78:79]
	s_and_saveexec_b64 s[78:79], s[10:11]
	s_cbranch_execnz .LBB130_92
.LBB130_60:                             ;   in Loop: Header=BB130_52 Depth=1
	s_or_b64 exec, exec, s[78:79]
	s_and_saveexec_b64 s[78:79], s[12:13]
	s_cbranch_execnz .LBB130_93
.LBB130_61:                             ;   in Loop: Header=BB130_52 Depth=1
	s_or_b64 exec, exec, s[78:79]
	s_and_saveexec_b64 s[78:79], s[14:15]
	s_cbranch_execnz .LBB130_94
.LBB130_62:                             ;   in Loop: Header=BB130_52 Depth=1
	s_or_b64 exec, exec, s[78:79]
	s_and_saveexec_b64 s[78:79], s[16:17]
	s_cbranch_execnz .LBB130_95
.LBB130_63:                             ;   in Loop: Header=BB130_52 Depth=1
	s_or_b64 exec, exec, s[78:79]
	s_and_saveexec_b64 s[78:79], s[18:19]
	s_cbranch_execnz .LBB130_96
.LBB130_64:                             ;   in Loop: Header=BB130_52 Depth=1
	s_or_b64 exec, exec, s[78:79]
	s_and_saveexec_b64 s[78:79], s[20:21]
	s_cbranch_execnz .LBB130_97
.LBB130_65:                             ;   in Loop: Header=BB130_52 Depth=1
	s_or_b64 exec, exec, s[78:79]
	s_and_saveexec_b64 s[78:79], s[22:23]
	s_cbranch_execnz .LBB130_98
.LBB130_66:                             ;   in Loop: Header=BB130_52 Depth=1
	s_or_b64 exec, exec, s[78:79]
	s_and_saveexec_b64 s[78:79], s[24:25]
	s_cbranch_execnz .LBB130_99
.LBB130_67:                             ;   in Loop: Header=BB130_52 Depth=1
	s_or_b64 exec, exec, s[78:79]
	s_and_saveexec_b64 s[78:79], s[26:27]
	s_cbranch_execnz .LBB130_100
.LBB130_68:                             ;   in Loop: Header=BB130_52 Depth=1
	s_or_b64 exec, exec, s[78:79]
	s_and_saveexec_b64 s[78:79], s[28:29]
	s_cbranch_execnz .LBB130_101
.LBB130_69:                             ;   in Loop: Header=BB130_52 Depth=1
	s_or_b64 exec, exec, s[78:79]
	s_and_saveexec_b64 s[78:79], s[30:31]
	s_cbranch_execnz .LBB130_102
.LBB130_70:                             ;   in Loop: Header=BB130_52 Depth=1
	s_or_b64 exec, exec, s[78:79]
	s_and_saveexec_b64 s[78:79], s[34:35]
	s_cbranch_execnz .LBB130_103
.LBB130_71:                             ;   in Loop: Header=BB130_52 Depth=1
	s_or_b64 exec, exec, s[78:79]
	s_and_saveexec_b64 s[78:79], s[36:37]
	s_cbranch_execnz .LBB130_104
.LBB130_72:                             ;   in Loop: Header=BB130_52 Depth=1
	s_or_b64 exec, exec, s[78:79]
	s_and_saveexec_b64 s[78:79], s[38:39]
	s_cbranch_execnz .LBB130_105
.LBB130_73:                             ;   in Loop: Header=BB130_52 Depth=1
	s_or_b64 exec, exec, s[78:79]
	s_and_saveexec_b64 s[78:79], s[40:41]
	s_cbranch_execnz .LBB130_106
.LBB130_74:                             ;   in Loop: Header=BB130_52 Depth=1
	s_or_b64 exec, exec, s[78:79]
	s_and_saveexec_b64 s[78:79], s[42:43]
	s_cbranch_execnz .LBB130_107
.LBB130_75:                             ;   in Loop: Header=BB130_52 Depth=1
	s_or_b64 exec, exec, s[78:79]
	s_and_saveexec_b64 s[78:79], s[44:45]
	s_cbranch_execnz .LBB130_108
.LBB130_76:                             ;   in Loop: Header=BB130_52 Depth=1
	s_or_b64 exec, exec, s[78:79]
	s_and_saveexec_b64 s[78:79], s[46:47]
	s_cbranch_execnz .LBB130_109
.LBB130_77:                             ;   in Loop: Header=BB130_52 Depth=1
	s_or_b64 exec, exec, s[78:79]
	s_and_saveexec_b64 s[78:79], s[48:49]
	s_cbranch_execnz .LBB130_110
.LBB130_78:                             ;   in Loop: Header=BB130_52 Depth=1
	s_or_b64 exec, exec, s[78:79]
	s_and_saveexec_b64 s[78:79], s[50:51]
	s_cbranch_execnz .LBB130_111
.LBB130_79:                             ;   in Loop: Header=BB130_52 Depth=1
	s_or_b64 exec, exec, s[78:79]
	s_and_saveexec_b64 s[78:79], s[52:53]
	s_cbranch_execnz .LBB130_112
.LBB130_80:                             ;   in Loop: Header=BB130_52 Depth=1
	s_or_b64 exec, exec, s[78:79]
	s_and_saveexec_b64 s[78:79], s[54:55]
	s_cbranch_execnz .LBB130_113
.LBB130_81:                             ;   in Loop: Header=BB130_52 Depth=1
	s_or_b64 exec, exec, s[78:79]
	s_and_saveexec_b64 s[78:79], s[56:57]
	s_cbranch_execnz .LBB130_114
.LBB130_82:                             ;   in Loop: Header=BB130_52 Depth=1
	s_or_b64 exec, exec, s[78:79]
	s_and_saveexec_b64 s[78:79], s[58:59]
	s_cbranch_execnz .LBB130_115
.LBB130_83:                             ;   in Loop: Header=BB130_52 Depth=1
	s_or_b64 exec, exec, s[78:79]
	v_ashrrev_i32_e32 v13, 31, v12
	s_and_saveexec_b64 s[78:79], s[64:65]
	s_cbranch_execnz .LBB130_116
.LBB130_84:                             ;   in Loop: Header=BB130_52 Depth=1
	s_or_b64 exec, exec, s[78:79]
	s_and_saveexec_b64 s[64:65], vcc
	s_cbranch_execz .LBB130_51
	s_branch .LBB130_117
.LBB130_85:                             ;   in Loop: Header=BB130_52 Depth=1
	v_readlane_b32 s82, v40, 10
	s_nop 1
	v_mov_b32_e32 v2, s82
	ds_read_b32 v2, v2
	s_waitcnt lgkmcnt(0)
	v_add_u32_e32 v12, v2, v12
	s_or_b64 exec, exec, s[78:79]
	s_and_saveexec_b64 s[78:79], s[62:63]
	s_cbranch_execz .LBB130_54
.LBB130_86:                             ;   in Loop: Header=BB130_52 Depth=1
	v_readlane_b32 s82, v40, 11
	s_nop 1
	v_mov_b32_e32 v2, s82
	ds_read_b32 v2, v2
	s_waitcnt lgkmcnt(0)
	v_add_u32_e32 v12, v12, v2
	s_or_b64 exec, exec, s[78:79]
	s_and_saveexec_b64 s[78:79], s[0:1]
	s_cbranch_execz .LBB130_55
.LBB130_87:                             ;   in Loop: Header=BB130_52 Depth=1
	v_readlane_b32 s82, v40, 12
	s_nop 1
	v_mov_b32_e32 v2, s82
	ds_read_b32 v2, v2
	s_waitcnt lgkmcnt(0)
	v_add_u32_e32 v12, v12, v2
	s_or_b64 exec, exec, s[78:79]
	s_and_saveexec_b64 s[78:79], s[2:3]
	s_cbranch_execz .LBB130_56
.LBB130_88:                             ;   in Loop: Header=BB130_52 Depth=1
	v_readlane_b32 s82, v40, 13
	s_nop 1
	v_mov_b32_e32 v2, s82
	ds_read_b32 v2, v2
	s_waitcnt lgkmcnt(0)
	v_add_u32_e32 v12, v12, v2
	s_or_b64 exec, exec, s[78:79]
	s_and_saveexec_b64 s[78:79], s[4:5]
	s_cbranch_execz .LBB130_57
.LBB130_89:                             ;   in Loop: Header=BB130_52 Depth=1
	v_mov_b32_e32 v2, s81
	ds_read_b32 v2, v2
	s_waitcnt lgkmcnt(0)
	v_add_u32_e32 v12, v12, v2
	s_or_b64 exec, exec, s[78:79]
	s_and_saveexec_b64 s[78:79], s[6:7]
	s_cbranch_execz .LBB130_58
.LBB130_90:                             ;   in Loop: Header=BB130_52 Depth=1
	v_readlane_b32 s82, v40, 14
	s_nop 1
	v_mov_b32_e32 v2, s82
	ds_read_b32 v2, v2
	s_waitcnt lgkmcnt(0)
	v_add_u32_e32 v12, v12, v2
	s_or_b64 exec, exec, s[78:79]
	s_and_saveexec_b64 s[78:79], s[8:9]
	s_cbranch_execz .LBB130_59
.LBB130_91:                             ;   in Loop: Header=BB130_52 Depth=1
	v_mov_b32_e32 v2, s84
	ds_read_b32 v2, v2
	s_waitcnt lgkmcnt(0)
	v_add_u32_e32 v12, v12, v2
	s_or_b64 exec, exec, s[78:79]
	s_and_saveexec_b64 s[78:79], s[10:11]
	s_cbranch_execz .LBB130_60
.LBB130_92:                             ;   in Loop: Header=BB130_52 Depth=1
	v_mov_b32_e32 v2, s85
	ds_read_b32 v2, v2
	s_waitcnt lgkmcnt(0)
	v_add_u32_e32 v12, v12, v2
	s_or_b64 exec, exec, s[78:79]
	s_and_saveexec_b64 s[78:79], s[12:13]
	s_cbranch_execz .LBB130_61
.LBB130_93:                             ;   in Loop: Header=BB130_52 Depth=1
	v_mov_b32_e32 v2, s86
	ds_read_b32 v2, v2
	s_waitcnt lgkmcnt(0)
	v_add_u32_e32 v12, v12, v2
	s_or_b64 exec, exec, s[78:79]
	s_and_saveexec_b64 s[78:79], s[14:15]
	s_cbranch_execz .LBB130_62
.LBB130_94:                             ;   in Loop: Header=BB130_52 Depth=1
	v_mov_b32_e32 v2, s87
	ds_read_b32 v2, v2
	s_waitcnt lgkmcnt(0)
	v_add_u32_e32 v12, v12, v2
	s_or_b64 exec, exec, s[78:79]
	s_and_saveexec_b64 s[78:79], s[16:17]
	s_cbranch_execz .LBB130_63
.LBB130_95:                             ;   in Loop: Header=BB130_52 Depth=1
	v_mov_b32_e32 v2, s88
	ds_read_b32 v2, v2
	s_waitcnt lgkmcnt(0)
	v_add_u32_e32 v12, v12, v2
	s_or_b64 exec, exec, s[78:79]
	s_and_saveexec_b64 s[78:79], s[18:19]
	s_cbranch_execz .LBB130_64
.LBB130_96:                             ;   in Loop: Header=BB130_52 Depth=1
	v_mov_b32_e32 v2, s89
	ds_read_b32 v2, v2
	s_waitcnt lgkmcnt(0)
	v_add_u32_e32 v12, v12, v2
	s_or_b64 exec, exec, s[78:79]
	s_and_saveexec_b64 s[78:79], s[20:21]
	s_cbranch_execz .LBB130_65
.LBB130_97:                             ;   in Loop: Header=BB130_52 Depth=1
	v_mov_b32_e32 v2, s90
	ds_read_b32 v2, v2
	s_waitcnt lgkmcnt(0)
	v_add_u32_e32 v12, v12, v2
	s_or_b64 exec, exec, s[78:79]
	s_and_saveexec_b64 s[78:79], s[22:23]
	s_cbranch_execz .LBB130_66
.LBB130_98:                             ;   in Loop: Header=BB130_52 Depth=1
	v_mov_b32_e32 v2, s91
	ds_read_b32 v2, v2
	s_waitcnt lgkmcnt(0)
	v_add_u32_e32 v12, v12, v2
	s_or_b64 exec, exec, s[78:79]
	s_and_saveexec_b64 s[78:79], s[24:25]
	s_cbranch_execz .LBB130_67
.LBB130_99:                             ;   in Loop: Header=BB130_52 Depth=1
	v_mov_b32_e32 v2, s92
	ds_read_b32 v2, v2
	s_waitcnt lgkmcnt(0)
	v_add_u32_e32 v12, v12, v2
	s_or_b64 exec, exec, s[78:79]
	s_and_saveexec_b64 s[78:79], s[26:27]
	s_cbranch_execz .LBB130_68
.LBB130_100:                            ;   in Loop: Header=BB130_52 Depth=1
	v_mov_b32_e32 v2, s93
	ds_read_b32 v2, v2
	s_waitcnt lgkmcnt(0)
	v_add_u32_e32 v12, v12, v2
	s_or_b64 exec, exec, s[78:79]
	s_and_saveexec_b64 s[78:79], s[28:29]
	s_cbranch_execz .LBB130_69
.LBB130_101:                            ;   in Loop: Header=BB130_52 Depth=1
	v_mov_b32_e32 v2, s94
	ds_read_b32 v2, v2
	s_waitcnt lgkmcnt(0)
	v_add_u32_e32 v12, v12, v2
	s_or_b64 exec, exec, s[78:79]
	s_and_saveexec_b64 s[78:79], s[30:31]
	s_cbranch_execz .LBB130_70
.LBB130_102:                            ;   in Loop: Header=BB130_52 Depth=1
	v_mov_b32_e32 v2, s95
	ds_read_b32 v2, v2
	s_waitcnt lgkmcnt(0)
	v_add_u32_e32 v12, v12, v2
	s_or_b64 exec, exec, s[78:79]
	s_and_saveexec_b64 s[78:79], s[34:35]
	s_cbranch_execz .LBB130_71
.LBB130_103:                            ;   in Loop: Header=BB130_52 Depth=1
	v_mov_b32_e32 v2, s96
	ds_read_b32 v2, v2
	s_waitcnt lgkmcnt(0)
	v_add_u32_e32 v12, v12, v2
	s_or_b64 exec, exec, s[78:79]
	s_and_saveexec_b64 s[78:79], s[36:37]
	s_cbranch_execz .LBB130_72
.LBB130_104:                            ;   in Loop: Header=BB130_52 Depth=1
	v_mov_b32_e32 v2, s97
	ds_read_b32 v2, v2
	s_waitcnt lgkmcnt(0)
	v_add_u32_e32 v12, v12, v2
	s_or_b64 exec, exec, s[78:79]
	s_and_saveexec_b64 s[78:79], s[38:39]
	s_cbranch_execz .LBB130_73
.LBB130_105:                            ;   in Loop: Header=BB130_52 Depth=1
	v_mov_b32_e32 v2, s98
	ds_read_b32 v2, v2
	s_waitcnt lgkmcnt(0)
	v_add_u32_e32 v12, v12, v2
	s_or_b64 exec, exec, s[78:79]
	s_and_saveexec_b64 s[78:79], s[40:41]
	s_cbranch_execz .LBB130_74
.LBB130_106:                            ;   in Loop: Header=BB130_52 Depth=1
	v_mov_b32_e32 v2, s99
	ds_read_b32 v2, v2
	s_waitcnt lgkmcnt(0)
	v_add_u32_e32 v12, v12, v2
	s_or_b64 exec, exec, s[78:79]
	s_and_saveexec_b64 s[78:79], s[42:43]
	s_cbranch_execz .LBB130_75
.LBB130_107:                            ;   in Loop: Header=BB130_52 Depth=1
	v_mov_b32_e32 v2, s70
	ds_read_b32 v2, v2
	s_waitcnt lgkmcnt(0)
	v_add_u32_e32 v12, v12, v2
	s_or_b64 exec, exec, s[78:79]
	s_and_saveexec_b64 s[78:79], s[44:45]
	s_cbranch_execz .LBB130_76
.LBB130_108:                            ;   in Loop: Header=BB130_52 Depth=1
	v_mov_b32_e32 v2, s71
	ds_read_b32 v2, v2
	s_waitcnt lgkmcnt(0)
	v_add_u32_e32 v12, v12, v2
	s_or_b64 exec, exec, s[78:79]
	s_and_saveexec_b64 s[78:79], s[46:47]
	s_cbranch_execz .LBB130_77
.LBB130_109:                            ;   in Loop: Header=BB130_52 Depth=1
	v_mov_b32_e32 v2, s74
	ds_read_b32 v2, v2
	s_waitcnt lgkmcnt(0)
	v_add_u32_e32 v12, v12, v2
	s_or_b64 exec, exec, s[78:79]
	s_and_saveexec_b64 s[78:79], s[48:49]
	s_cbranch_execz .LBB130_78
.LBB130_110:                            ;   in Loop: Header=BB130_52 Depth=1
	v_mov_b32_e32 v2, s75
	ds_read_b32 v2, v2
	s_waitcnt lgkmcnt(0)
	v_add_u32_e32 v12, v12, v2
	s_or_b64 exec, exec, s[78:79]
	s_and_saveexec_b64 s[78:79], s[50:51]
	s_cbranch_execz .LBB130_79
.LBB130_111:                            ;   in Loop: Header=BB130_52 Depth=1
	v_mov_b32_e32 v2, s66
	ds_read_b32 v2, v2
	s_waitcnt lgkmcnt(0)
	v_add_u32_e32 v12, v12, v2
	s_or_b64 exec, exec, s[78:79]
	s_and_saveexec_b64 s[78:79], s[52:53]
	s_cbranch_execz .LBB130_80
.LBB130_112:                            ;   in Loop: Header=BB130_52 Depth=1
	v_mov_b32_e32 v2, s68
	ds_read_b32 v2, v2
	s_waitcnt lgkmcnt(0)
	v_add_u32_e32 v12, v12, v2
	s_or_b64 exec, exec, s[78:79]
	s_and_saveexec_b64 s[78:79], s[54:55]
	s_cbranch_execz .LBB130_81
.LBB130_113:                            ;   in Loop: Header=BB130_52 Depth=1
	v_mov_b32_e32 v2, s69
	ds_read_b32 v2, v2
	s_waitcnt lgkmcnt(0)
	v_add_u32_e32 v12, v12, v2
	s_or_b64 exec, exec, s[78:79]
	s_and_saveexec_b64 s[78:79], s[56:57]
	s_cbranch_execz .LBB130_82
.LBB130_114:                            ;   in Loop: Header=BB130_52 Depth=1
	v_mov_b32_e32 v2, s33
	ds_read_b32 v2, v2
	s_waitcnt lgkmcnt(0)
	v_add_u32_e32 v12, v12, v2
	s_or_b64 exec, exec, s[78:79]
	s_and_saveexec_b64 s[78:79], s[58:59]
	s_cbranch_execz .LBB130_83
.LBB130_115:                            ;   in Loop: Header=BB130_52 Depth=1
	v_mov_b32_e32 v2, s67
	ds_read_b32 v2, v2
	s_waitcnt lgkmcnt(0)
	v_add_u32_e32 v12, v12, v2
	s_or_b64 exec, exec, s[78:79]
	v_ashrrev_i32_e32 v13, 31, v12
	s_and_saveexec_b64 s[78:79], s[64:65]
	s_cbranch_execz .LBB130_84
.LBB130_116:                            ;   in Loop: Header=BB130_52 Depth=1
	v_add3_u32 v2, v6, -1, v12
	v_add_u32_e32 v15, v6, v12
	v_lshl_add_u32 v2, v2, 3, 0
	v_lshl_add_u32 v15, v15, 3, 0
	v_add_u32_e32 v15, 0x7ff8, v15
	ds_write_b64 v2, v[8:9]
	ds_write2_b32 v15, v10, v11 offset1:1
	s_or_b64 exec, exec, s[78:79]
	s_and_saveexec_b64 s[64:65], vcc
	s_cbranch_execz .LBB130_51
.LBB130_117:                            ;   in Loop: Header=BB130_52 Depth=1
	v_mov_b32_e32 v2, s80
	ds_write_b64 v2, v[12:13]
	s_branch .LBB130_51
.LBB130_118:
	s_or_b64 exec, exec, s[76:77]
	v_readlane_b32 s0, v40, 4
	v_readlane_b32 s1, v40, 5
	s_lshl_b64 s[0:1], s[0:1], 3
	v_readlane_b32 s2, v40, 0
	v_readlane_b32 s3, v40, 1
	s_add_u32 s4, s2, s0
	s_addc_u32 s5, s3, s1
	s_load_dwordx4 s[0:3], s[4:5], 0x0
	v_mov_b32_e32 v1, 0
	s_waitcnt lgkmcnt(0)
	s_sub_u32 s4, s2, s0
	s_subb_u32 s5, s3, s1
	v_cmp_gt_i64_e32 vcc, s[4:5], v[0:1]
	s_and_saveexec_b64 s[6:7], vcc
	s_cbranch_execz .LBB130_128
; %bb.119:
	v_readlane_b32 s8, v40, 6
	v_readlane_b32 s10, v40, 8
	;; [unrolled: 1-line block ×3, first 2 shown]
	s_sub_u32 s8, s0, s10
	s_subb_u32 s9, s1, 0
	s_and_b32 s6, s4, 7
	s_sub_u32 s0, s0, s2
	s_mov_b32 s7, 0
	s_subb_u32 s1, s1, s3
	s_and_b32 s10, s4, -8
	s_cmp_lg_u64 s[6:7], 0
	v_cmp_lt_u64_e64 s[0:1], s[0:1], -7
	s_cselect_b64 s[2:3], -1, 0
	v_readlane_b32 s11, v40, 9
	v_cndmask_b32_e64 v2, 0, 1, s[0:1]
	v_cmp_ne_u32_e64 s[0:1], 1, v2
	v_cndmask_b32_e64 v2, 0, 1, s[2:3]
	s_mov_b32 s11, s5
	s_mov_b64 s[12:13], 0
	v_cmp_ne_u32_e64 s[2:3], 1, v2
	s_mov_b64 s[14:15], 0x400
	s_branch .LBB130_121
.LBB130_120:                            ;   in Loop: Header=BB130_121 Depth=1
	v_readlane_b32 s16, v40, 2
	v_lshl_add_u64 v[0:1], v[0:1], 0, s[14:15]
	v_readlane_b32 s17, v40, 3
	v_cmp_le_i64_e32 vcc, s[4:5], v[0:1]
	s_or_b64 s[12:13], vcc, s[12:13]
	s_waitcnt lgkmcnt(1)
	v_lshl_add_u64 v[4:5], v[6:7], 3, s[16:17]
	s_waitcnt lgkmcnt(0)
	global_store_dwordx2 v[4:5], v[2:3], off
	s_andn2_b64 exec, exec, s[12:13]
	s_cbranch_execz .LBB130_128
.LBB130_121:                            ; =>This Loop Header: Depth=1
                                        ;     Child Loop BB130_123 Depth 2
                                        ;     Child Loop BB130_127 Depth 2
	v_lshl_add_u32 v2, v0, 3, 0
	v_add_u32_e32 v3, 0x8000, v2
	ds_read_b64 v[4:5], v2
	ds_read2_b32 v[2:3], v3 offset1:1
	s_and_b64 vcc, exec, s[0:1]
	v_mov_b64_e32 v[6:7], s[8:9]
	s_mov_b64 s[16:17], 0
	s_cbranch_vccnz .LBB130_125
; %bb.122:                              ;   in Loop: Header=BB130_121 Depth=1
	s_mov_b32 s18, 0
	v_mov_b64_e32 v[6:7], s[8:9]
.LBB130_123:                            ;   Parent Loop BB130_121 Depth=1
                                        ; =>  This Inner Loop Header: Depth=2
	v_mov_b32_e32 v20, s18
	ds_read2_b64 v[8:11], v20 offset1:1
	ds_read2_b64 v[12:15], v20 offset0:2 offset1:3
	ds_read2_b64 v[16:19], v20 offset0:4 offset1:5
	;; [unrolled: 1-line block ×3, first 2 shown]
	v_mov_b32_e32 v25, s7
	s_waitcnt lgkmcnt(3)
	v_cmp_gt_i64_e32 vcc, v[4:5], v[8:9]
	v_mov_b32_e32 v27, s7
	v_mov_b32_e32 v29, s7
	v_cndmask_b32_e64 v24, 0, 1, vcc
	v_cmp_gt_i64_e32 vcc, v[4:5], v[10:11]
	v_lshl_add_u64 v[6:7], v[6:7], 0, v[24:25]
	v_mov_b32_e32 v31, s7
	v_cndmask_b32_e64 v26, 0, 1, vcc
	s_waitcnt lgkmcnt(2)
	v_cmp_gt_i64_e32 vcc, v[4:5], v[12:13]
	v_lshl_add_u64 v[6:7], v[6:7], 0, v[26:27]
	v_mov_b32_e32 v33, s7
	v_cndmask_b32_e64 v28, 0, 1, vcc
	v_cmp_gt_i64_e32 vcc, v[4:5], v[14:15]
	v_lshl_add_u64 v[6:7], v[6:7], 0, v[28:29]
	v_mov_b32_e32 v35, s7
	v_cndmask_b32_e64 v30, 0, 1, vcc
	s_waitcnt lgkmcnt(1)
	v_cmp_gt_i64_e32 vcc, v[4:5], v[16:17]
	v_lshl_add_u64 v[6:7], v[6:7], 0, v[30:31]
	v_mov_b32_e32 v37, s7
	v_cndmask_b32_e64 v32, 0, 1, vcc
	v_cmp_gt_i64_e32 vcc, v[4:5], v[18:19]
	v_lshl_add_u64 v[6:7], v[6:7], 0, v[32:33]
	s_add_u32 s16, s16, 8
	v_cndmask_b32_e64 v34, 0, 1, vcc
	s_waitcnt lgkmcnt(0)
	v_cmp_gt_i64_e32 vcc, v[4:5], v[20:21]
	v_lshl_add_u64 v[6:7], v[6:7], 0, v[34:35]
	v_mov_b32_e32 v39, s7
	v_cndmask_b32_e64 v36, 0, 1, vcc
	v_cmp_gt_i64_e32 vcc, v[4:5], v[22:23]
	s_addc_u32 s17, s17, 0
	s_add_i32 s18, s18, 64
	v_cndmask_b32_e64 v38, 0, 1, vcc
	v_lshl_add_u64 v[6:7], v[6:7], 0, v[36:37]
	s_cmp_eq_u64 s[10:11], s[16:17]
	v_lshl_add_u64 v[6:7], v[6:7], 0, v[38:39]
	s_cbranch_scc0 .LBB130_123
; %bb.124:                              ;   in Loop: Header=BB130_121 Depth=1
	s_mov_b64 s[16:17], s[10:11]
.LBB130_125:                            ;   in Loop: Header=BB130_121 Depth=1
	s_and_b64 vcc, exec, s[2:3]
	s_cbranch_vccnz .LBB130_120
; %bb.126:                              ;   in Loop: Header=BB130_121 Depth=1
	s_lshl_b32 s16, s16, 3
	s_add_i32 s18, s16, 0
	s_mov_b64 s[16:17], s[6:7]
.LBB130_127:                            ;   Parent Loop BB130_121 Depth=1
                                        ; =>  This Inner Loop Header: Depth=2
	v_mov_b32_e32 v8, s18
	ds_read_b64 v[10:11], v8
	s_add_i32 s18, s18, 8
	s_add_u32 s16, s16, -1
	v_mov_b32_e32 v9, s7
	s_addc_u32 s17, s17, -1
	s_waitcnt lgkmcnt(0)
	v_cmp_gt_i64_e32 vcc, v[4:5], v[10:11]
	s_cmp_lg_u64 s[16:17], 0
	s_nop 0
	v_cndmask_b32_e64 v8, 0, 1, vcc
	v_lshl_add_u64 v[6:7], v[6:7], 0, v[8:9]
	s_cbranch_scc1 .LBB130_127
	s_branch .LBB130_120
.LBB130_128:
	s_endpgm
	.section	.rodata,"a",@progbits
	.p2align	6, 0x0
	.amdhsa_kernel _ZN9rocsparseL41csrgemm_numeric_fill_block_per_row_kernelILj1024ELj64ELj4096ELj137ELj32Ell21rocsparse_complex_numIfEEEvT5_PKS3_S5_NS_24const_host_device_scalarIT6_EEPKT4_S5_PKS7_SB_S5_SD_S8_SB_S5_SD_SB_S5_PS7_21rocsparse_index_base_SF_SF_SF_bbb
		.amdhsa_group_segment_fixed_size 0
		.amdhsa_private_segment_fixed_size 0
		.amdhsa_kernarg_size 156
		.amdhsa_user_sgpr_count 2
		.amdhsa_user_sgpr_dispatch_ptr 0
		.amdhsa_user_sgpr_queue_ptr 0
		.amdhsa_user_sgpr_kernarg_segment_ptr 1
		.amdhsa_user_sgpr_dispatch_id 0
		.amdhsa_user_sgpr_kernarg_preload_length 0
		.amdhsa_user_sgpr_kernarg_preload_offset 0
		.amdhsa_user_sgpr_private_segment_size 0
		.amdhsa_uses_dynamic_stack 0
		.amdhsa_enable_private_segment 0
		.amdhsa_system_sgpr_workgroup_id_x 1
		.amdhsa_system_sgpr_workgroup_id_y 0
		.amdhsa_system_sgpr_workgroup_id_z 0
		.amdhsa_system_sgpr_workgroup_info 0
		.amdhsa_system_vgpr_workitem_id 0
		.amdhsa_next_free_vgpr 41
		.amdhsa_next_free_sgpr 100
		.amdhsa_accum_offset 44
		.amdhsa_reserve_vcc 1
		.amdhsa_float_round_mode_32 0
		.amdhsa_float_round_mode_16_64 0
		.amdhsa_float_denorm_mode_32 3
		.amdhsa_float_denorm_mode_16_64 3
		.amdhsa_dx10_clamp 1
		.amdhsa_ieee_mode 1
		.amdhsa_fp16_overflow 0
		.amdhsa_tg_split 0
		.amdhsa_exception_fp_ieee_invalid_op 0
		.amdhsa_exception_fp_denorm_src 0
		.amdhsa_exception_fp_ieee_div_zero 0
		.amdhsa_exception_fp_ieee_overflow 0
		.amdhsa_exception_fp_ieee_underflow 0
		.amdhsa_exception_fp_ieee_inexact 0
		.amdhsa_exception_int_div_zero 0
	.end_amdhsa_kernel
	.section	.text._ZN9rocsparseL41csrgemm_numeric_fill_block_per_row_kernelILj1024ELj64ELj4096ELj137ELj32Ell21rocsparse_complex_numIfEEEvT5_PKS3_S5_NS_24const_host_device_scalarIT6_EEPKT4_S5_PKS7_SB_S5_SD_S8_SB_S5_SD_SB_S5_PS7_21rocsparse_index_base_SF_SF_SF_bbb,"axG",@progbits,_ZN9rocsparseL41csrgemm_numeric_fill_block_per_row_kernelILj1024ELj64ELj4096ELj137ELj32Ell21rocsparse_complex_numIfEEEvT5_PKS3_S5_NS_24const_host_device_scalarIT6_EEPKT4_S5_PKS7_SB_S5_SD_S8_SB_S5_SD_SB_S5_PS7_21rocsparse_index_base_SF_SF_SF_bbb,comdat
.Lfunc_end130:
	.size	_ZN9rocsparseL41csrgemm_numeric_fill_block_per_row_kernelILj1024ELj64ELj4096ELj137ELj32Ell21rocsparse_complex_numIfEEEvT5_PKS3_S5_NS_24const_host_device_scalarIT6_EEPKT4_S5_PKS7_SB_S5_SD_S8_SB_S5_SD_SB_S5_PS7_21rocsparse_index_base_SF_SF_SF_bbb, .Lfunc_end130-_ZN9rocsparseL41csrgemm_numeric_fill_block_per_row_kernelILj1024ELj64ELj4096ELj137ELj32Ell21rocsparse_complex_numIfEEEvT5_PKS3_S5_NS_24const_host_device_scalarIT6_EEPKT4_S5_PKS7_SB_S5_SD_S8_SB_S5_SD_SB_S5_PS7_21rocsparse_index_base_SF_SF_SF_bbb
                                        ; -- End function
	.set _ZN9rocsparseL41csrgemm_numeric_fill_block_per_row_kernelILj1024ELj64ELj4096ELj137ELj32Ell21rocsparse_complex_numIfEEEvT5_PKS3_S5_NS_24const_host_device_scalarIT6_EEPKT4_S5_PKS7_SB_S5_SD_S8_SB_S5_SD_SB_S5_PS7_21rocsparse_index_base_SF_SF_SF_bbb.num_vgpr, 41
	.set _ZN9rocsparseL41csrgemm_numeric_fill_block_per_row_kernelILj1024ELj64ELj4096ELj137ELj32Ell21rocsparse_complex_numIfEEEvT5_PKS3_S5_NS_24const_host_device_scalarIT6_EEPKT4_S5_PKS7_SB_S5_SD_S8_SB_S5_SD_SB_S5_PS7_21rocsparse_index_base_SF_SF_SF_bbb.num_agpr, 0
	.set _ZN9rocsparseL41csrgemm_numeric_fill_block_per_row_kernelILj1024ELj64ELj4096ELj137ELj32Ell21rocsparse_complex_numIfEEEvT5_PKS3_S5_NS_24const_host_device_scalarIT6_EEPKT4_S5_PKS7_SB_S5_SD_S8_SB_S5_SD_SB_S5_PS7_21rocsparse_index_base_SF_SF_SF_bbb.numbered_sgpr, 100
	.set _ZN9rocsparseL41csrgemm_numeric_fill_block_per_row_kernelILj1024ELj64ELj4096ELj137ELj32Ell21rocsparse_complex_numIfEEEvT5_PKS3_S5_NS_24const_host_device_scalarIT6_EEPKT4_S5_PKS7_SB_S5_SD_S8_SB_S5_SD_SB_S5_PS7_21rocsparse_index_base_SF_SF_SF_bbb.num_named_barrier, 0
	.set _ZN9rocsparseL41csrgemm_numeric_fill_block_per_row_kernelILj1024ELj64ELj4096ELj137ELj32Ell21rocsparse_complex_numIfEEEvT5_PKS3_S5_NS_24const_host_device_scalarIT6_EEPKT4_S5_PKS7_SB_S5_SD_S8_SB_S5_SD_SB_S5_PS7_21rocsparse_index_base_SF_SF_SF_bbb.private_seg_size, 0
	.set _ZN9rocsparseL41csrgemm_numeric_fill_block_per_row_kernelILj1024ELj64ELj4096ELj137ELj32Ell21rocsparse_complex_numIfEEEvT5_PKS3_S5_NS_24const_host_device_scalarIT6_EEPKT4_S5_PKS7_SB_S5_SD_S8_SB_S5_SD_SB_S5_PS7_21rocsparse_index_base_SF_SF_SF_bbb.uses_vcc, 1
	.set _ZN9rocsparseL41csrgemm_numeric_fill_block_per_row_kernelILj1024ELj64ELj4096ELj137ELj32Ell21rocsparse_complex_numIfEEEvT5_PKS3_S5_NS_24const_host_device_scalarIT6_EEPKT4_S5_PKS7_SB_S5_SD_S8_SB_S5_SD_SB_S5_PS7_21rocsparse_index_base_SF_SF_SF_bbb.uses_flat_scratch, 0
	.set _ZN9rocsparseL41csrgemm_numeric_fill_block_per_row_kernelILj1024ELj64ELj4096ELj137ELj32Ell21rocsparse_complex_numIfEEEvT5_PKS3_S5_NS_24const_host_device_scalarIT6_EEPKT4_S5_PKS7_SB_S5_SD_S8_SB_S5_SD_SB_S5_PS7_21rocsparse_index_base_SF_SF_SF_bbb.has_dyn_sized_stack, 0
	.set _ZN9rocsparseL41csrgemm_numeric_fill_block_per_row_kernelILj1024ELj64ELj4096ELj137ELj32Ell21rocsparse_complex_numIfEEEvT5_PKS3_S5_NS_24const_host_device_scalarIT6_EEPKT4_S5_PKS7_SB_S5_SD_S8_SB_S5_SD_SB_S5_PS7_21rocsparse_index_base_SF_SF_SF_bbb.has_recursion, 0
	.set _ZN9rocsparseL41csrgemm_numeric_fill_block_per_row_kernelILj1024ELj64ELj4096ELj137ELj32Ell21rocsparse_complex_numIfEEEvT5_PKS3_S5_NS_24const_host_device_scalarIT6_EEPKT4_S5_PKS7_SB_S5_SD_S8_SB_S5_SD_SB_S5_PS7_21rocsparse_index_base_SF_SF_SF_bbb.has_indirect_call, 0
	.section	.AMDGPU.csdata,"",@progbits
; Kernel info:
; codeLenInByte = 4788
; TotalNumSgprs: 106
; NumVgprs: 41
; NumAgprs: 0
; TotalNumVgprs: 41
; ScratchSize: 0
; MemoryBound: 0
; FloatMode: 240
; IeeeMode: 1
; LDSByteSize: 0 bytes/workgroup (compile time only)
; SGPRBlocks: 13
; VGPRBlocks: 5
; NumSGPRsForWavesPerEU: 106
; NumVGPRsForWavesPerEU: 41
; AccumOffset: 44
; Occupancy: 7
; WaveLimiterHint : 1
; COMPUTE_PGM_RSRC2:SCRATCH_EN: 0
; COMPUTE_PGM_RSRC2:USER_SGPR: 2
; COMPUTE_PGM_RSRC2:TRAP_HANDLER: 0
; COMPUTE_PGM_RSRC2:TGID_X_EN: 1
; COMPUTE_PGM_RSRC2:TGID_Y_EN: 0
; COMPUTE_PGM_RSRC2:TGID_Z_EN: 0
; COMPUTE_PGM_RSRC2:TIDIG_COMP_CNT: 0
; COMPUTE_PGM_RSRC3_GFX90A:ACCUM_OFFSET: 10
; COMPUTE_PGM_RSRC3_GFX90A:TG_SPLIT: 0
	.section	.text._ZN9rocsparseL41csrgemm_numeric_fill_block_per_row_kernelILj1024ELj64ELj4096ELj137ELj64Ell21rocsparse_complex_numIfEEEvT5_PKS3_S5_NS_24const_host_device_scalarIT6_EEPKT4_S5_PKS7_SB_S5_SD_S8_SB_S5_SD_SB_S5_PS7_21rocsparse_index_base_SF_SF_SF_bbb,"axG",@progbits,_ZN9rocsparseL41csrgemm_numeric_fill_block_per_row_kernelILj1024ELj64ELj4096ELj137ELj64Ell21rocsparse_complex_numIfEEEvT5_PKS3_S5_NS_24const_host_device_scalarIT6_EEPKT4_S5_PKS7_SB_S5_SD_S8_SB_S5_SD_SB_S5_PS7_21rocsparse_index_base_SF_SF_SF_bbb,comdat
	.globl	_ZN9rocsparseL41csrgemm_numeric_fill_block_per_row_kernelILj1024ELj64ELj4096ELj137ELj64Ell21rocsparse_complex_numIfEEEvT5_PKS3_S5_NS_24const_host_device_scalarIT6_EEPKT4_S5_PKS7_SB_S5_SD_S8_SB_S5_SD_SB_S5_PS7_21rocsparse_index_base_SF_SF_SF_bbb ; -- Begin function _ZN9rocsparseL41csrgemm_numeric_fill_block_per_row_kernelILj1024ELj64ELj4096ELj137ELj64Ell21rocsparse_complex_numIfEEEvT5_PKS3_S5_NS_24const_host_device_scalarIT6_EEPKT4_S5_PKS7_SB_S5_SD_S8_SB_S5_SD_SB_S5_PS7_21rocsparse_index_base_SF_SF_SF_bbb
	.p2align	8
	.type	_ZN9rocsparseL41csrgemm_numeric_fill_block_per_row_kernelILj1024ELj64ELj4096ELj137ELj64Ell21rocsparse_complex_numIfEEEvT5_PKS3_S5_NS_24const_host_device_scalarIT6_EEPKT4_S5_PKS7_SB_S5_SD_S8_SB_S5_SD_SB_S5_PS7_21rocsparse_index_base_SF_SF_SF_bbb,@function
_ZN9rocsparseL41csrgemm_numeric_fill_block_per_row_kernelILj1024ELj64ELj4096ELj137ELj64Ell21rocsparse_complex_numIfEEEvT5_PKS3_S5_NS_24const_host_device_scalarIT6_EEPKT4_S5_PKS7_SB_S5_SD_S8_SB_S5_SD_SB_S5_PS7_21rocsparse_index_base_SF_SF_SF_bbb: ; @_ZN9rocsparseL41csrgemm_numeric_fill_block_per_row_kernelILj1024ELj64ELj4096ELj137ELj64Ell21rocsparse_complex_numIfEEEvT5_PKS3_S5_NS_24const_host_device_scalarIT6_EEPKT4_S5_PKS7_SB_S5_SD_S8_SB_S5_SD_SB_S5_PS7_21rocsparse_index_base_SF_SF_SF_bbb
; %bb.0:
	s_load_dwordx2 s[40:41], s[0:1], 0x70
	s_load_dwordx4 s[20:23], s[0:1], 0x50
	s_load_dword s3, s[0:1], 0x98
	s_load_dwordx4 s[28:31], s[0:1], 0x8
	s_load_dwordx8 s[8:15], s[0:1], 0x20
	s_load_dwordx2 s[34:35], s[0:1], 0x80
	s_load_dwordx4 s[36:39], s[0:1], 0x88
	s_waitcnt lgkmcnt(0)
	s_bitcmp1_b32 s3, 0
	s_cselect_b64 s[48:49], -1, 0
	s_bitcmp1_b32 s3, 16
	s_cselect_b64 s[4:5], -1, 0
	s_xor_b64 s[4:5], s[4:5], -1
	v_cndmask_b32_e64 v1, 0, 1, s[4:5]
	s_mov_b32 s7, 0
	s_bitcmp0_b32 s3, 0
	v_cmp_ne_u32_e64 s[4:5], 1, v1
	s_mov_b32 s59, 0
	s_cbranch_scc1 .LBB131_5
; %bb.1:
	s_load_dwordx2 s[6:7], s[0:1], 0x18
	s_and_b64 vcc, exec, s[4:5]
	s_waitcnt lgkmcnt(0)
	s_mov_b32 s59, s6
	s_cbranch_vccnz .LBB131_3
; %bb.2:
	s_load_dword s59, s[6:7], 0x0
.LBB131_3:
	s_and_b64 vcc, exec, s[4:5]
	s_cbranch_vccnz .LBB131_5
; %bb.4:
	s_load_dword s7, s[6:7], 0x4
.LBB131_5:
	s_nop 0
	s_load_dwordx4 s[16:19], s[0:1], 0x60
	s_load_dwordx4 s[24:27], s[0:1], 0x40
	s_bitcmp1_b32 s3, 8
	s_cselect_b64 s[46:47], -1, 0
	s_bfe_u32 s3, s3, 0x10008
	s_mov_b32 s33, 0
	s_cmp_eq_u32 s3, 0
	s_mov_b32 s58, 0
	s_cbranch_scc1 .LBB131_11
; %bb.6:
	s_and_b64 vcc, exec, s[4:5]
	s_mov_b32 s33, s20
	s_cbranch_vccnz .LBB131_8
; %bb.7:
	s_load_dword s33, s[20:21], 0x0
.LBB131_8:
	s_and_b64 vcc, exec, s[4:5]
	s_cbranch_vccnz .LBB131_10
; %bb.9:
	s_load_dword s21, s[20:21], 0x4
.LBB131_10:
	s_waitcnt lgkmcnt(0)
	s_mov_b32 s58, s21
.LBB131_11:
	s_load_dwordx2 s[42:43], s[0:1], 0x0
	v_or_b32_e32 v1, 0xfffffc00, v0
	v_lshl_add_u32 v20, v0, 3, 0
	s_mov_b64 s[0:1], 0
	v_mov_b32_e32 v2, 0
	s_waitcnt lgkmcnt(0)
	v_mov_b64_e32 v[6:7], s[42:43]
	s_movk_i32 s3, 0xbff
	v_mov_b32_e32 v3, v20
	v_mov_b32_e32 v4, v1
.LBB131_12:                             ; =>This Inner Loop Header: Depth=1
	v_add_u32_e32 v4, 0x400, v4
	v_cmp_lt_u32_e32 vcc, s3, v4
	ds_write_b64 v3, v[6:7]
	v_add_u32_e32 v5, 0x8000, v3
	v_add_u32_e32 v3, 0x2000, v3
	s_or_b64 s[0:1], vcc, s[0:1]
	ds_write2_b32 v5, v2, v2 offset1:1
	s_andn2_b64 exec, exec, s[0:1]
	s_cbranch_execnz .LBB131_12
; %bb.13:
	s_or_b64 exec, exec, s[0:1]
	s_waitcnt lgkmcnt(0)
	s_barrier
	s_load_dwordx2 s[0:1], s[28:29], 0x0
	s_mov_b32 s3, 0
	v_lshrrev_b32_e32 v21, 6, v0
	s_waitcnt lgkmcnt(0)
	s_lshl_b64 s[0:1], s[0:1], 3
	s_add_u32 s4, s30, s0
	s_addc_u32 s5, s31, s1
	s_lshl_b64 s[0:1], s[2:3], 3
	s_add_u32 s0, s4, s0
	s_addc_u32 s1, s5, s1
	s_load_dwordx2 s[44:45], s[0:1], 0x0
	s_and_b64 vcc, exec, s[48:49]
	s_cbranch_vccz .LBB131_33
; %bb.14:
	s_waitcnt lgkmcnt(0)
	s_lshl_b64 s[0:1], s[44:45], 3
	s_add_u32 s0, s8, s0
	s_addc_u32 s1, s9, s1
	s_load_dwordx4 s[28:31], s[0:1], 0x0
	v_subrev_co_u32_e32 v2, vcc, s36, v21
	s_nop 1
	v_subb_co_u32_e64 v3, s[0:1], 0, 0, vcc
	s_waitcnt lgkmcnt(0)
	s_sub_u32 s0, s30, s36
	s_subb_u32 s1, s31, 0
	v_lshl_add_u64 v[2:3], s[28:29], 0, v[2:3]
	v_cmp_gt_i64_e32 vcc, s[0:1], v[2:3]
	s_and_saveexec_b64 s[2:3], vcc
	s_cbranch_execz .LBB131_32
; %bb.15:
	v_and_b32_e32 v4, 63, v0
	v_subrev_co_u32_e32 v4, vcc, s37, v4
	s_mov_b32 s6, s37
	s_nop 0
	v_subb_co_u32_e64 v5, s[4:5], 0, 0, vcc
	s_mov_b64 s[4:5], 0
	s_movk_i32 s37, 0x89
	s_branch .LBB131_17
.LBB131_16:                             ;   in Loop: Header=BB131_17 Depth=1
	s_or_b64 exec, exec, s[8:9]
	v_lshl_add_u64 v[2:3], v[2:3], 0, 16
	v_cmp_le_i64_e32 vcc, s[0:1], v[2:3]
	s_or_b64 s[4:5], vcc, s[4:5]
	s_andn2_b64 exec, exec, s[4:5]
	s_cbranch_execz .LBB131_32
.LBB131_17:                             ; =>This Loop Header: Depth=1
                                        ;     Child Loop BB131_21 Depth 2
                                        ;       Child Loop BB131_24 Depth 3
	v_lshl_add_u64 v[6:7], v[2:3], 3, s[10:11]
	global_load_dwordx2 v[6:7], v[6:7], off
	s_waitcnt vmcnt(0)
	v_subrev_co_u32_e32 v6, vcc, s36, v6
	s_nop 1
	v_subbrev_co_u32_e32 v7, vcc, 0, v7, vcc
	v_lshl_add_u64 v[6:7], v[6:7], 3, s[14:15]
	global_load_dwordx4 v[8:11], v[6:7], off
	s_waitcnt vmcnt(0)
	v_subrev_co_u32_e32 v6, vcc, s6, v10
	s_nop 1
	v_subbrev_co_u32_e32 v7, vcc, 0, v11, vcc
	v_lshl_add_u64 v[8:9], v[8:9], 0, v[4:5]
	v_cmp_lt_i64_e32 vcc, v[8:9], v[6:7]
	s_and_saveexec_b64 s[8:9], vcc
	s_cbranch_execz .LBB131_16
; %bb.18:                               ;   in Loop: Header=BB131_17 Depth=1
	v_lshl_add_u64 v[10:11], v[2:3], 3, s[12:13]
	global_load_dwordx2 v[10:11], v[10:11], off
	s_mov_b64 s[20:21], 0
	s_waitcnt vmcnt(0)
	v_mul_f32_e64 v22, v11, -s7
	v_mul_f32_e32 v23, s59, v11
	v_fmac_f32_e32 v22, s59, v10
	v_fmac_f32_e32 v23, s7, v10
	s_branch .LBB131_21
.LBB131_19:                             ;   in Loop: Header=BB131_21 Depth=2
	s_or_b64 exec, exec, s[30:31]
.LBB131_20:                             ;   in Loop: Header=BB131_21 Depth=2
	s_or_b64 exec, exec, s[28:29]
	s_waitcnt vmcnt(0)
	v_mul_f32_e64 v13, v11, -v23
	v_mul_f32_e32 v11, v22, v11
	v_fmac_f32_e32 v13, v22, v10
	v_fmac_f32_e32 v11, v23, v10
	v_lshl_add_u32 v10, v12, 3, 0
	ds_add_f32 v10, v13 offset:32768
	ds_add_f32 v10, v11 offset:32772
	v_lshl_add_u64 v[8:9], v[8:9], 0, 64
	v_cmp_ge_i64_e32 vcc, v[8:9], v[6:7]
	s_or_b64 s[20:21], vcc, s[20:21]
	s_andn2_b64 exec, exec, s[20:21]
	s_cbranch_execz .LBB131_16
.LBB131_21:                             ;   Parent Loop BB131_17 Depth=1
                                        ; =>  This Loop Header: Depth=2
                                        ;       Child Loop BB131_24 Depth 3
	v_lshlrev_b64 v[10:11], 3, v[8:9]
	v_lshl_add_u64 v[12:13], s[24:25], 0, v[10:11]
	global_load_dwordx2 v[12:13], v[12:13], off
	v_lshl_add_u64 v[10:11], s[26:27], 0, v[10:11]
	global_load_dwordx2 v[10:11], v[10:11], off
	s_waitcnt vmcnt(1)
	v_subrev_co_u32_e32 v14, vcc, s6, v12
	v_mul_lo_u32 v12, v14, s37
	v_and_b32_e32 v12, 0xfff, v12
	v_lshl_add_u32 v24, v12, 3, 0
	ds_read_b64 v[18:19], v24
	v_subbrev_co_u32_e32 v15, vcc, 0, v13, vcc
	s_waitcnt lgkmcnt(0)
	v_cmp_ne_u64_e32 vcc, v[18:19], v[14:15]
	s_and_saveexec_b64 s[28:29], vcc
	s_cbranch_execz .LBB131_20
; %bb.22:                               ;   in Loop: Header=BB131_21 Depth=2
	s_mov_b64 s[30:31], 0
                                        ; implicit-def: $sgpr48_sgpr49
                                        ; implicit-def: $sgpr50_sgpr51
	s_branch .LBB131_24
.LBB131_23:                             ;   in Loop: Header=BB131_24 Depth=3
	s_or_b64 exec, exec, s[56:57]
	s_and_b64 s[52:53], exec, s[54:55]
	s_or_b64 s[30:31], s[52:53], s[30:31]
	s_andn2_b64 s[48:49], s[48:49], exec
	s_and_b64 s[52:53], s[50:51], exec
	s_or_b64 s[48:49], s[48:49], s[52:53]
	s_andn2_b64 exec, exec, s[30:31]
	s_cbranch_execz .LBB131_30
.LBB131_24:                             ;   Parent Loop BB131_17 Depth=1
                                        ;     Parent Loop BB131_21 Depth=2
                                        ; =>    This Inner Loop Header: Depth=3
	v_mov_b64_e32 v[16:17], v[12:13]
	v_cmp_ne_u64_e32 vcc, s[42:43], v[18:19]
	s_mov_b64 s[52:53], 0
                                        ; implicit-def: $vgpr12_vgpr13
	s_and_saveexec_b64 s[54:55], vcc
	s_xor_b64 s[54:55], exec, s[54:55]
; %bb.25:                               ;   in Loop: Header=BB131_24 Depth=3
	v_add_u32_e32 v12, 1, v16
	s_mov_b64 s[52:53], exec
	v_and_b32_e32 v12, 0xfff, v12
                                        ; implicit-def: $vgpr24
; %bb.26:                               ;   in Loop: Header=BB131_24 Depth=3
	s_andn2_saveexec_b64 s[54:55], s[54:55]
	s_cbranch_execz .LBB131_28
; %bb.27:                               ;   in Loop: Header=BB131_24 Depth=3
	v_mov_b64_e32 v[12:13], s[42:43]
	ds_cmpst_rtn_b64 v[12:13], v24, v[12:13], v[14:15]
	s_andn2_b64 s[52:53], s[52:53], exec
	s_waitcnt lgkmcnt(0)
	v_cmp_ne_u64_e32 vcc, s[42:43], v[12:13]
	s_and_b64 s[56:57], vcc, exec
	s_or_b64 s[52:53], s[52:53], s[56:57]
	v_mov_b64_e32 v[12:13], v[16:17]
.LBB131_28:                             ;   in Loop: Header=BB131_24 Depth=3
	s_or_b64 exec, exec, s[54:55]
	s_mov_b64 s[54:55], -1
	s_or_b64 s[50:51], s[50:51], exec
                                        ; implicit-def: $vgpr24
                                        ; implicit-def: $vgpr18_vgpr19
	s_and_saveexec_b64 s[56:57], s[52:53]
	s_cbranch_execz .LBB131_23
; %bb.29:                               ;   in Loop: Header=BB131_24 Depth=3
	v_lshl_add_u32 v24, v12, 3, 0
	ds_read_b64 v[18:19], v24
	s_andn2_b64 s[50:51], s[50:51], exec
	s_waitcnt lgkmcnt(0)
	v_cmp_eq_u64_e32 vcc, v[18:19], v[14:15]
	s_orn2_b64 s[54:55], vcc, exec
	s_branch .LBB131_23
.LBB131_30:                             ;   in Loop: Header=BB131_21 Depth=2
	s_or_b64 exec, exec, s[30:31]
	s_and_saveexec_b64 s[30:31], s[48:49]
	s_xor_b64 s[30:31], exec, s[30:31]
	s_cbranch_execz .LBB131_19
; %bb.31:                               ;   in Loop: Header=BB131_21 Depth=2
	v_mov_b32_e32 v12, v16
	s_branch .LBB131_19
.LBB131_32:
	s_or_b64 exec, exec, s[2:3]
.LBB131_33:
	s_andn2_b64 vcc, exec, s[46:47]
	s_cbranch_vccnz .LBB131_50
; %bb.34:
	s_waitcnt lgkmcnt(0)
	s_lshl_b64 s[0:1], s[44:45], 3
	s_add_u32 s0, s22, s0
	s_addc_u32 s1, s23, s1
	s_load_dwordx4 s[4:7], s[0:1], 0x0
	v_subrev_co_u32_e32 v2, vcc, s39, v0
	s_waitcnt lgkmcnt(0)
	s_sub_u32 s0, s6, s39
	v_subb_co_u32_e64 v3, s[2:3], 0, 0, vcc
	s_subb_u32 s1, s7, 0
	v_lshl_add_u64 v[2:3], s[4:5], 0, v[2:3]
	v_cmp_gt_i64_e32 vcc, s[0:1], v[2:3]
	s_and_saveexec_b64 s[2:3], vcc
	s_cbranch_execz .LBB131_49
; %bb.35:
	s_mov_b32 s26, s39
	s_mov_b64 s[4:5], 0
	s_movk_i32 s27, 0x89
	s_mov_b64 s[6:7], 0x400
	s_branch .LBB131_38
.LBB131_36:                             ;   in Loop: Header=BB131_38 Depth=1
	s_or_b64 exec, exec, s[10:11]
.LBB131_37:                             ;   in Loop: Header=BB131_38 Depth=1
	s_or_b64 exec, exec, s[8:9]
	s_waitcnt vmcnt(0)
	v_mul_f32_e64 v7, v5, -s58
	v_mul_f32_e32 v5, s33, v5
	v_fmac_f32_e32 v7, s33, v4
	v_fmac_f32_e32 v5, s58, v4
	v_lshl_add_u32 v4, v6, 3, 0
	ds_add_f32 v4, v7 offset:32768
	ds_add_f32 v4, v5 offset:32772
	v_lshl_add_u64 v[2:3], v[2:3], 0, s[6:7]
	v_cmp_le_i64_e32 vcc, s[0:1], v[2:3]
	s_or_b64 s[4:5], vcc, s[4:5]
	s_andn2_b64 exec, exec, s[4:5]
	s_cbranch_execz .LBB131_49
.LBB131_38:                             ; =>This Loop Header: Depth=1
                                        ;     Child Loop BB131_41 Depth 2
	v_lshlrev_b64 v[4:5], 3, v[2:3]
	v_lshl_add_u64 v[6:7], s[16:17], 0, v[4:5]
	global_load_dwordx2 v[6:7], v[6:7], off
	v_lshl_add_u64 v[4:5], s[18:19], 0, v[4:5]
	global_load_dwordx2 v[4:5], v[4:5], off
	s_waitcnt vmcnt(1)
	v_subrev_co_u32_e32 v8, vcc, s26, v6
	v_mul_lo_u32 v6, v8, s27
	v_and_b32_e32 v6, 0xfff, v6
	v_lshl_add_u32 v14, v6, 3, 0
	ds_read_b64 v[12:13], v14
	v_subbrev_co_u32_e32 v9, vcc, 0, v7, vcc
	s_waitcnt lgkmcnt(0)
	v_cmp_ne_u64_e32 vcc, v[12:13], v[8:9]
	s_and_saveexec_b64 s[8:9], vcc
	s_cbranch_execz .LBB131_37
; %bb.39:                               ;   in Loop: Header=BB131_38 Depth=1
	s_mov_b64 s[10:11], 0
                                        ; implicit-def: $sgpr12_sgpr13
                                        ; implicit-def: $sgpr14_sgpr15
	s_branch .LBB131_41
.LBB131_40:                             ;   in Loop: Header=BB131_41 Depth=2
	s_or_b64 exec, exec, s[24:25]
	s_and_b64 s[20:21], exec, s[22:23]
	s_or_b64 s[10:11], s[20:21], s[10:11]
	s_andn2_b64 s[12:13], s[12:13], exec
	s_and_b64 s[20:21], s[14:15], exec
	s_or_b64 s[12:13], s[12:13], s[20:21]
	s_andn2_b64 exec, exec, s[10:11]
	s_cbranch_execz .LBB131_47
.LBB131_41:                             ;   Parent Loop BB131_38 Depth=1
                                        ; =>  This Inner Loop Header: Depth=2
	v_mov_b64_e32 v[10:11], v[6:7]
	v_cmp_ne_u64_e32 vcc, s[42:43], v[12:13]
	s_mov_b64 s[20:21], 0
                                        ; implicit-def: $vgpr6_vgpr7
	s_and_saveexec_b64 s[22:23], vcc
	s_xor_b64 s[22:23], exec, s[22:23]
; %bb.42:                               ;   in Loop: Header=BB131_41 Depth=2
	v_add_u32_e32 v6, 1, v10
	s_mov_b64 s[20:21], exec
	v_and_b32_e32 v6, 0xfff, v6
                                        ; implicit-def: $vgpr14
; %bb.43:                               ;   in Loop: Header=BB131_41 Depth=2
	s_andn2_saveexec_b64 s[22:23], s[22:23]
	s_cbranch_execz .LBB131_45
; %bb.44:                               ;   in Loop: Header=BB131_41 Depth=2
	v_mov_b64_e32 v[6:7], s[42:43]
	ds_cmpst_rtn_b64 v[6:7], v14, v[6:7], v[8:9]
	s_andn2_b64 s[20:21], s[20:21], exec
	s_waitcnt lgkmcnt(0)
	v_cmp_ne_u64_e32 vcc, s[42:43], v[6:7]
	s_and_b64 s[24:25], vcc, exec
	s_or_b64 s[20:21], s[20:21], s[24:25]
	v_mov_b64_e32 v[6:7], v[10:11]
.LBB131_45:                             ;   in Loop: Header=BB131_41 Depth=2
	s_or_b64 exec, exec, s[22:23]
	s_mov_b64 s[22:23], -1
	s_or_b64 s[14:15], s[14:15], exec
                                        ; implicit-def: $vgpr14
                                        ; implicit-def: $vgpr12_vgpr13
	s_and_saveexec_b64 s[24:25], s[20:21]
	s_cbranch_execz .LBB131_40
; %bb.46:                               ;   in Loop: Header=BB131_41 Depth=2
	v_lshl_add_u32 v14, v6, 3, 0
	ds_read_b64 v[12:13], v14
	s_andn2_b64 s[14:15], s[14:15], exec
	s_waitcnt lgkmcnt(0)
	v_cmp_eq_u64_e32 vcc, v[12:13], v[8:9]
	s_orn2_b64 s[22:23], vcc, exec
	s_branch .LBB131_40
.LBB131_47:                             ;   in Loop: Header=BB131_38 Depth=1
	s_or_b64 exec, exec, s[10:11]
	s_and_saveexec_b64 s[10:11], s[12:13]
	s_xor_b64 s[10:11], exec, s[10:11]
	s_cbranch_execz .LBB131_36
; %bb.48:                               ;   in Loop: Header=BB131_38 Depth=1
	v_mov_b32_e32 v6, v10
	s_branch .LBB131_36
.LBB131_49:
	s_or_b64 exec, exec, s[2:3]
.LBB131_50:
	v_mbcnt_lo_u32_b32 v2, -1, 0
	v_mbcnt_hi_u32_b32 v2, -1, v2
	v_sub_u32_e32 v2, 63, v2
	s_add_i32 s33, 0, 0x10000
	s_movk_i32 s0, 0x3ff
	s_movk_i32 s2, 0x7f
	;; [unrolled: 1-line block ×15, first 2 shown]
	s_add_i32 s61, 0, 0x10078
	v_mov_b32_e32 v3, 0
	v_lshrrev_b64 v[4:5], v2, -1
	v_lshl_add_u32 v14, v21, 3, s33
	v_cmp_eq_u32_e32 vcc, s0, v0
	v_cmp_lt_u32_e64 s[0:1], 63, v0
	v_cmp_lt_u32_e64 s[2:3], s2, v0
	;; [unrolled: 1-line block ×15, first 2 shown]
	s_mov_b64 s[36:37], 0
	v_mov_b64_e32 v[6:7], 0
	s_add_i32 s39, 0, 0x10008
	s_add_i32 s48, 0, 0x10010
	;; [unrolled: 1-line block ×14, first 2 shown]
	v_mov_b32_e32 v15, s61
	s_movk_i32 s62, 0xbff
	s_waitcnt lgkmcnt(0)
	s_barrier
	s_branch .LBB131_52
.LBB131_51:                             ;   in Loop: Header=BB131_52 Depth=1
	s_or_b64 exec, exec, s[30:31]
	s_waitcnt lgkmcnt(0)
	s_barrier
	ds_read_b64 v[8:9], v15
	v_add_u32_e32 v1, 0x400, v1
	v_cmp_lt_u32_e64 s[30:31], s62, v1
	s_or_b64 s[36:37], s[30:31], s[36:37]
	v_add_u32_e32 v20, 0x2000, v20
	s_waitcnt lgkmcnt(0)
	v_lshl_add_u64 v[6:7], v[8:9], 0, v[6:7]
	s_andn2_b64 exec, exec, s[36:37]
	s_cbranch_execz .LBB131_86
.LBB131_52:                             ; =>This Inner Loop Header: Depth=1
	ds_read_b64 v[8:9], v20
	v_add_u32_e32 v2, 0x8000, v20
	ds_read2_b32 v[10:11], v2 offset1:1
	s_waitcnt lgkmcnt(0)
	s_barrier
	v_cmp_gt_i64_e64 s[30:31], s[42:43], v[8:9]
	s_bcnt1_i32_b64 s46, s[30:31]
	v_mov_b32_e32 v2, s46
	v_and_b32_e32 v13, s30, v4
	v_and_b32_e32 v12, s31, v5
	v_bcnt_u32_b32 v13, v13, 0
	v_bcnt_u32_b32 v12, v12, v13
	ds_write_b64 v14, v[2:3]
	s_waitcnt lgkmcnt(0)
	s_barrier
	s_and_saveexec_b64 s[46:47], s[0:1]
	s_cbranch_execnz .LBB131_69
; %bb.53:                               ;   in Loop: Header=BB131_52 Depth=1
	s_or_b64 exec, exec, s[46:47]
	s_and_saveexec_b64 s[46:47], s[2:3]
	s_cbranch_execnz .LBB131_70
.LBB131_54:                             ;   in Loop: Header=BB131_52 Depth=1
	s_or_b64 exec, exec, s[46:47]
	s_and_saveexec_b64 s[46:47], s[4:5]
	s_cbranch_execnz .LBB131_71
.LBB131_55:                             ;   in Loop: Header=BB131_52 Depth=1
	s_or_b64 exec, exec, s[46:47]
	s_and_saveexec_b64 s[46:47], s[6:7]
	s_cbranch_execnz .LBB131_72
.LBB131_56:                             ;   in Loop: Header=BB131_52 Depth=1
	s_or_b64 exec, exec, s[46:47]
	s_and_saveexec_b64 s[46:47], s[8:9]
	s_cbranch_execnz .LBB131_73
.LBB131_57:                             ;   in Loop: Header=BB131_52 Depth=1
	s_or_b64 exec, exec, s[46:47]
	s_and_saveexec_b64 s[46:47], s[10:11]
	s_cbranch_execnz .LBB131_74
.LBB131_58:                             ;   in Loop: Header=BB131_52 Depth=1
	s_or_b64 exec, exec, s[46:47]
	s_and_saveexec_b64 s[46:47], s[12:13]
	s_cbranch_execnz .LBB131_75
.LBB131_59:                             ;   in Loop: Header=BB131_52 Depth=1
	s_or_b64 exec, exec, s[46:47]
	s_and_saveexec_b64 s[46:47], s[14:15]
	s_cbranch_execnz .LBB131_76
.LBB131_60:                             ;   in Loop: Header=BB131_52 Depth=1
	s_or_b64 exec, exec, s[46:47]
	s_and_saveexec_b64 s[46:47], s[16:17]
	s_cbranch_execnz .LBB131_77
.LBB131_61:                             ;   in Loop: Header=BB131_52 Depth=1
	s_or_b64 exec, exec, s[46:47]
	s_and_saveexec_b64 s[46:47], s[18:19]
	s_cbranch_execnz .LBB131_78
.LBB131_62:                             ;   in Loop: Header=BB131_52 Depth=1
	s_or_b64 exec, exec, s[46:47]
	s_and_saveexec_b64 s[46:47], s[20:21]
	s_cbranch_execnz .LBB131_79
.LBB131_63:                             ;   in Loop: Header=BB131_52 Depth=1
	s_or_b64 exec, exec, s[46:47]
	s_and_saveexec_b64 s[46:47], s[22:23]
	s_cbranch_execnz .LBB131_80
.LBB131_64:                             ;   in Loop: Header=BB131_52 Depth=1
	s_or_b64 exec, exec, s[46:47]
	s_and_saveexec_b64 s[46:47], s[24:25]
	s_cbranch_execnz .LBB131_81
.LBB131_65:                             ;   in Loop: Header=BB131_52 Depth=1
	s_or_b64 exec, exec, s[46:47]
	s_and_saveexec_b64 s[46:47], s[26:27]
	s_cbranch_execnz .LBB131_82
.LBB131_66:                             ;   in Loop: Header=BB131_52 Depth=1
	s_or_b64 exec, exec, s[46:47]
	s_and_saveexec_b64 s[46:47], s[28:29]
	s_cbranch_execnz .LBB131_83
.LBB131_67:                             ;   in Loop: Header=BB131_52 Depth=1
	s_or_b64 exec, exec, s[46:47]
	v_ashrrev_i32_e32 v13, 31, v12
	s_and_saveexec_b64 s[46:47], s[30:31]
	s_cbranch_execnz .LBB131_84
.LBB131_68:                             ;   in Loop: Header=BB131_52 Depth=1
	s_or_b64 exec, exec, s[46:47]
	s_and_saveexec_b64 s[30:31], vcc
	s_cbranch_execz .LBB131_51
	s_branch .LBB131_85
.LBB131_69:                             ;   in Loop: Header=BB131_52 Depth=1
	v_mov_b32_e32 v2, s33
	ds_read_b32 v2, v2
	s_waitcnt lgkmcnt(0)
	v_add_u32_e32 v12, v2, v12
	s_or_b64 exec, exec, s[46:47]
	s_and_saveexec_b64 s[46:47], s[2:3]
	s_cbranch_execz .LBB131_54
.LBB131_70:                             ;   in Loop: Header=BB131_52 Depth=1
	v_mov_b32_e32 v2, s39
	ds_read_b32 v2, v2
	s_waitcnt lgkmcnt(0)
	v_add_u32_e32 v12, v12, v2
	s_or_b64 exec, exec, s[46:47]
	s_and_saveexec_b64 s[46:47], s[4:5]
	s_cbranch_execz .LBB131_55
.LBB131_71:                             ;   in Loop: Header=BB131_52 Depth=1
	v_mov_b32_e32 v2, s48
	ds_read_b32 v2, v2
	s_waitcnt lgkmcnt(0)
	v_add_u32_e32 v12, v12, v2
	s_or_b64 exec, exec, s[46:47]
	s_and_saveexec_b64 s[46:47], s[6:7]
	s_cbranch_execz .LBB131_56
.LBB131_72:                             ;   in Loop: Header=BB131_52 Depth=1
	v_mov_b32_e32 v2, s49
	ds_read_b32 v2, v2
	s_waitcnt lgkmcnt(0)
	v_add_u32_e32 v12, v12, v2
	s_or_b64 exec, exec, s[46:47]
	s_and_saveexec_b64 s[46:47], s[8:9]
	s_cbranch_execz .LBB131_57
.LBB131_73:                             ;   in Loop: Header=BB131_52 Depth=1
	v_mov_b32_e32 v2, s50
	ds_read_b32 v2, v2
	s_waitcnt lgkmcnt(0)
	v_add_u32_e32 v12, v12, v2
	s_or_b64 exec, exec, s[46:47]
	s_and_saveexec_b64 s[46:47], s[10:11]
	s_cbranch_execz .LBB131_58
.LBB131_74:                             ;   in Loop: Header=BB131_52 Depth=1
	v_mov_b32_e32 v2, s51
	ds_read_b32 v2, v2
	s_waitcnt lgkmcnt(0)
	v_add_u32_e32 v12, v12, v2
	s_or_b64 exec, exec, s[46:47]
	s_and_saveexec_b64 s[46:47], s[12:13]
	s_cbranch_execz .LBB131_59
.LBB131_75:                             ;   in Loop: Header=BB131_52 Depth=1
	v_mov_b32_e32 v2, s52
	ds_read_b32 v2, v2
	s_waitcnt lgkmcnt(0)
	v_add_u32_e32 v12, v12, v2
	s_or_b64 exec, exec, s[46:47]
	s_and_saveexec_b64 s[46:47], s[14:15]
	s_cbranch_execz .LBB131_60
.LBB131_76:                             ;   in Loop: Header=BB131_52 Depth=1
	v_mov_b32_e32 v2, s53
	ds_read_b32 v2, v2
	s_waitcnt lgkmcnt(0)
	v_add_u32_e32 v12, v12, v2
	s_or_b64 exec, exec, s[46:47]
	s_and_saveexec_b64 s[46:47], s[16:17]
	s_cbranch_execz .LBB131_61
.LBB131_77:                             ;   in Loop: Header=BB131_52 Depth=1
	v_mov_b32_e32 v2, s54
	ds_read_b32 v2, v2
	s_waitcnt lgkmcnt(0)
	v_add_u32_e32 v12, v12, v2
	s_or_b64 exec, exec, s[46:47]
	s_and_saveexec_b64 s[46:47], s[18:19]
	s_cbranch_execz .LBB131_62
.LBB131_78:                             ;   in Loop: Header=BB131_52 Depth=1
	v_mov_b32_e32 v2, s55
	ds_read_b32 v2, v2
	s_waitcnt lgkmcnt(0)
	v_add_u32_e32 v12, v12, v2
	s_or_b64 exec, exec, s[46:47]
	s_and_saveexec_b64 s[46:47], s[20:21]
	s_cbranch_execz .LBB131_63
.LBB131_79:                             ;   in Loop: Header=BB131_52 Depth=1
	v_mov_b32_e32 v2, s56
	ds_read_b32 v2, v2
	s_waitcnt lgkmcnt(0)
	v_add_u32_e32 v12, v12, v2
	s_or_b64 exec, exec, s[46:47]
	s_and_saveexec_b64 s[46:47], s[22:23]
	s_cbranch_execz .LBB131_64
.LBB131_80:                             ;   in Loop: Header=BB131_52 Depth=1
	v_mov_b32_e32 v2, s57
	ds_read_b32 v2, v2
	s_waitcnt lgkmcnt(0)
	v_add_u32_e32 v12, v12, v2
	s_or_b64 exec, exec, s[46:47]
	s_and_saveexec_b64 s[46:47], s[24:25]
	s_cbranch_execz .LBB131_65
.LBB131_81:                             ;   in Loop: Header=BB131_52 Depth=1
	v_mov_b32_e32 v2, s58
	ds_read_b32 v2, v2
	s_waitcnt lgkmcnt(0)
	v_add_u32_e32 v12, v12, v2
	s_or_b64 exec, exec, s[46:47]
	s_and_saveexec_b64 s[46:47], s[26:27]
	s_cbranch_execz .LBB131_66
.LBB131_82:                             ;   in Loop: Header=BB131_52 Depth=1
	v_mov_b32_e32 v2, s59
	ds_read_b32 v2, v2
	s_waitcnt lgkmcnt(0)
	v_add_u32_e32 v12, v12, v2
	s_or_b64 exec, exec, s[46:47]
	s_and_saveexec_b64 s[46:47], s[28:29]
	s_cbranch_execz .LBB131_67
.LBB131_83:                             ;   in Loop: Header=BB131_52 Depth=1
	v_mov_b32_e32 v2, s60
	ds_read_b32 v2, v2
	s_waitcnt lgkmcnt(0)
	v_add_u32_e32 v12, v12, v2
	s_or_b64 exec, exec, s[46:47]
	v_ashrrev_i32_e32 v13, 31, v12
	s_and_saveexec_b64 s[46:47], s[30:31]
	s_cbranch_execz .LBB131_68
.LBB131_84:                             ;   in Loop: Header=BB131_52 Depth=1
	v_add3_u32 v2, v6, -1, v12
	v_add_u32_e32 v16, v6, v12
	v_lshl_add_u32 v2, v2, 3, 0
	v_lshl_add_u32 v16, v16, 3, 0
	v_add_u32_e32 v16, 0x7ff8, v16
	ds_write_b64 v2, v[8:9]
	ds_write2_b32 v16, v10, v11 offset1:1
	s_or_b64 exec, exec, s[46:47]
	s_and_saveexec_b64 s[30:31], vcc
	s_cbranch_execz .LBB131_51
.LBB131_85:                             ;   in Loop: Header=BB131_52 Depth=1
	v_mov_b32_e32 v2, s61
	ds_write_b64 v2, v[12:13]
	s_branch .LBB131_51
.LBB131_86:
	s_or_b64 exec, exec, s[36:37]
	s_lshl_b64 s[0:1], s[44:45], 3
	s_add_u32 s4, s40, s0
	s_addc_u32 s5, s41, s1
	s_load_dwordx4 s[0:3], s[4:5], 0x0
	v_mov_b32_e32 v1, 0
	s_waitcnt lgkmcnt(0)
	s_sub_u32 s4, s2, s0
	s_subb_u32 s5, s3, s1
	v_cmp_gt_i64_e32 vcc, s[4:5], v[0:1]
	s_and_saveexec_b64 s[6:7], vcc
	s_cbranch_execz .LBB131_96
; %bb.87:
	s_sub_u32 s8, s0, s38
	s_subb_u32 s9, s1, 0
	s_and_b32 s6, s4, 7
	s_sub_u32 s0, s0, s2
	s_mov_b32 s7, 0
	s_subb_u32 s1, s1, s3
	s_and_b32 s10, s4, -8
	s_cmp_lg_u64 s[6:7], 0
	v_cmp_lt_u64_e64 s[0:1], s[0:1], -7
	s_cselect_b64 s[2:3], -1, 0
	s_mov_b32 s11, s5
	v_cndmask_b32_e64 v2, 0, 1, s[0:1]
	v_cmp_ne_u32_e64 s[0:1], 1, v2
	v_cndmask_b32_e64 v2, 0, 1, s[2:3]
	s_mov_b64 s[12:13], 0
	v_cmp_ne_u32_e64 s[2:3], 1, v2
	s_mov_b64 s[14:15], 0x400
	s_branch .LBB131_89
.LBB131_88:                             ;   in Loop: Header=BB131_89 Depth=1
	v_lshl_add_u64 v[0:1], v[0:1], 0, s[14:15]
	v_cmp_le_i64_e32 vcc, s[4:5], v[0:1]
	s_waitcnt lgkmcnt(1)
	v_lshl_add_u64 v[4:5], v[6:7], 3, s[34:35]
	s_or_b64 s[12:13], vcc, s[12:13]
	s_waitcnt lgkmcnt(0)
	global_store_dwordx2 v[4:5], v[2:3], off
	s_andn2_b64 exec, exec, s[12:13]
	s_cbranch_execz .LBB131_96
.LBB131_89:                             ; =>This Loop Header: Depth=1
                                        ;     Child Loop BB131_91 Depth 2
                                        ;     Child Loop BB131_95 Depth 2
	v_lshl_add_u32 v2, v0, 3, 0
	v_add_u32_e32 v3, 0x8000, v2
	ds_read_b64 v[4:5], v2
	ds_read2_b32 v[2:3], v3 offset1:1
	s_and_b64 vcc, exec, s[0:1]
	v_mov_b64_e32 v[6:7], s[8:9]
	s_mov_b64 s[16:17], 0
	s_cbranch_vccnz .LBB131_93
; %bb.90:                               ;   in Loop: Header=BB131_89 Depth=1
	s_mov_b32 s18, 0
	v_mov_b64_e32 v[6:7], s[8:9]
.LBB131_91:                             ;   Parent Loop BB131_89 Depth=1
                                        ; =>  This Inner Loop Header: Depth=2
	v_mov_b32_e32 v20, s18
	ds_read2_b64 v[8:11], v20 offset1:1
	ds_read2_b64 v[12:15], v20 offset0:2 offset1:3
	ds_read2_b64 v[16:19], v20 offset0:4 offset1:5
	;; [unrolled: 1-line block ×3, first 2 shown]
	v_mov_b32_e32 v25, s7
	s_waitcnt lgkmcnt(3)
	v_cmp_gt_i64_e32 vcc, v[4:5], v[8:9]
	v_mov_b32_e32 v27, s7
	v_mov_b32_e32 v29, s7
	v_cndmask_b32_e64 v24, 0, 1, vcc
	v_cmp_gt_i64_e32 vcc, v[4:5], v[10:11]
	v_lshl_add_u64 v[6:7], v[6:7], 0, v[24:25]
	v_mov_b32_e32 v31, s7
	v_cndmask_b32_e64 v26, 0, 1, vcc
	s_waitcnt lgkmcnt(2)
	v_cmp_gt_i64_e32 vcc, v[4:5], v[12:13]
	v_lshl_add_u64 v[6:7], v[6:7], 0, v[26:27]
	v_mov_b32_e32 v33, s7
	v_cndmask_b32_e64 v28, 0, 1, vcc
	v_cmp_gt_i64_e32 vcc, v[4:5], v[14:15]
	v_lshl_add_u64 v[6:7], v[6:7], 0, v[28:29]
	v_mov_b32_e32 v35, s7
	v_cndmask_b32_e64 v30, 0, 1, vcc
	s_waitcnt lgkmcnt(1)
	v_cmp_gt_i64_e32 vcc, v[4:5], v[16:17]
	v_lshl_add_u64 v[6:7], v[6:7], 0, v[30:31]
	v_mov_b32_e32 v37, s7
	v_cndmask_b32_e64 v32, 0, 1, vcc
	v_cmp_gt_i64_e32 vcc, v[4:5], v[18:19]
	v_lshl_add_u64 v[6:7], v[6:7], 0, v[32:33]
	s_add_u32 s16, s16, 8
	v_cndmask_b32_e64 v34, 0, 1, vcc
	s_waitcnt lgkmcnt(0)
	v_cmp_gt_i64_e32 vcc, v[4:5], v[20:21]
	v_lshl_add_u64 v[6:7], v[6:7], 0, v[34:35]
	v_mov_b32_e32 v39, s7
	v_cndmask_b32_e64 v36, 0, 1, vcc
	v_cmp_gt_i64_e32 vcc, v[4:5], v[22:23]
	s_addc_u32 s17, s17, 0
	s_add_i32 s18, s18, 64
	v_cndmask_b32_e64 v38, 0, 1, vcc
	v_lshl_add_u64 v[6:7], v[6:7], 0, v[36:37]
	s_cmp_eq_u64 s[10:11], s[16:17]
	v_lshl_add_u64 v[6:7], v[6:7], 0, v[38:39]
	s_cbranch_scc0 .LBB131_91
; %bb.92:                               ;   in Loop: Header=BB131_89 Depth=1
	s_mov_b64 s[16:17], s[10:11]
.LBB131_93:                             ;   in Loop: Header=BB131_89 Depth=1
	s_and_b64 vcc, exec, s[2:3]
	s_cbranch_vccnz .LBB131_88
; %bb.94:                               ;   in Loop: Header=BB131_89 Depth=1
	s_lshl_b32 s16, s16, 3
	s_add_i32 s18, s16, 0
	s_mov_b64 s[16:17], s[6:7]
.LBB131_95:                             ;   Parent Loop BB131_89 Depth=1
                                        ; =>  This Inner Loop Header: Depth=2
	v_mov_b32_e32 v8, s18
	ds_read_b64 v[10:11], v8
	s_add_i32 s18, s18, 8
	s_add_u32 s16, s16, -1
	v_mov_b32_e32 v9, s7
	s_addc_u32 s17, s17, -1
	s_waitcnt lgkmcnt(0)
	v_cmp_gt_i64_e32 vcc, v[4:5], v[10:11]
	s_cmp_lg_u64 s[16:17], 0
	s_nop 0
	v_cndmask_b32_e64 v8, 0, 1, vcc
	v_lshl_add_u64 v[6:7], v[6:7], 0, v[8:9]
	s_cbranch_scc1 .LBB131_95
	s_branch .LBB131_88
.LBB131_96:
	s_endpgm
	.section	.rodata,"a",@progbits
	.p2align	6, 0x0
	.amdhsa_kernel _ZN9rocsparseL41csrgemm_numeric_fill_block_per_row_kernelILj1024ELj64ELj4096ELj137ELj64Ell21rocsparse_complex_numIfEEEvT5_PKS3_S5_NS_24const_host_device_scalarIT6_EEPKT4_S5_PKS7_SB_S5_SD_S8_SB_S5_SD_SB_S5_PS7_21rocsparse_index_base_SF_SF_SF_bbb
		.amdhsa_group_segment_fixed_size 0
		.amdhsa_private_segment_fixed_size 0
		.amdhsa_kernarg_size 156
		.amdhsa_user_sgpr_count 2
		.amdhsa_user_sgpr_dispatch_ptr 0
		.amdhsa_user_sgpr_queue_ptr 0
		.amdhsa_user_sgpr_kernarg_segment_ptr 1
		.amdhsa_user_sgpr_dispatch_id 0
		.amdhsa_user_sgpr_kernarg_preload_length 0
		.amdhsa_user_sgpr_kernarg_preload_offset 0
		.amdhsa_user_sgpr_private_segment_size 0
		.amdhsa_uses_dynamic_stack 0
		.amdhsa_enable_private_segment 0
		.amdhsa_system_sgpr_workgroup_id_x 1
		.amdhsa_system_sgpr_workgroup_id_y 0
		.amdhsa_system_sgpr_workgroup_id_z 0
		.amdhsa_system_sgpr_workgroup_info 0
		.amdhsa_system_vgpr_workitem_id 0
		.amdhsa_next_free_vgpr 40
		.amdhsa_next_free_sgpr 63
		.amdhsa_accum_offset 40
		.amdhsa_reserve_vcc 1
		.amdhsa_float_round_mode_32 0
		.amdhsa_float_round_mode_16_64 0
		.amdhsa_float_denorm_mode_32 3
		.amdhsa_float_denorm_mode_16_64 3
		.amdhsa_dx10_clamp 1
		.amdhsa_ieee_mode 1
		.amdhsa_fp16_overflow 0
		.amdhsa_tg_split 0
		.amdhsa_exception_fp_ieee_invalid_op 0
		.amdhsa_exception_fp_denorm_src 0
		.amdhsa_exception_fp_ieee_div_zero 0
		.amdhsa_exception_fp_ieee_overflow 0
		.amdhsa_exception_fp_ieee_underflow 0
		.amdhsa_exception_fp_ieee_inexact 0
		.amdhsa_exception_int_div_zero 0
	.end_amdhsa_kernel
	.section	.text._ZN9rocsparseL41csrgemm_numeric_fill_block_per_row_kernelILj1024ELj64ELj4096ELj137ELj64Ell21rocsparse_complex_numIfEEEvT5_PKS3_S5_NS_24const_host_device_scalarIT6_EEPKT4_S5_PKS7_SB_S5_SD_S8_SB_S5_SD_SB_S5_PS7_21rocsparse_index_base_SF_SF_SF_bbb,"axG",@progbits,_ZN9rocsparseL41csrgemm_numeric_fill_block_per_row_kernelILj1024ELj64ELj4096ELj137ELj64Ell21rocsparse_complex_numIfEEEvT5_PKS3_S5_NS_24const_host_device_scalarIT6_EEPKT4_S5_PKS7_SB_S5_SD_S8_SB_S5_SD_SB_S5_PS7_21rocsparse_index_base_SF_SF_SF_bbb,comdat
.Lfunc_end131:
	.size	_ZN9rocsparseL41csrgemm_numeric_fill_block_per_row_kernelILj1024ELj64ELj4096ELj137ELj64Ell21rocsparse_complex_numIfEEEvT5_PKS3_S5_NS_24const_host_device_scalarIT6_EEPKT4_S5_PKS7_SB_S5_SD_S8_SB_S5_SD_SB_S5_PS7_21rocsparse_index_base_SF_SF_SF_bbb, .Lfunc_end131-_ZN9rocsparseL41csrgemm_numeric_fill_block_per_row_kernelILj1024ELj64ELj4096ELj137ELj64Ell21rocsparse_complex_numIfEEEvT5_PKS3_S5_NS_24const_host_device_scalarIT6_EEPKT4_S5_PKS7_SB_S5_SD_S8_SB_S5_SD_SB_S5_PS7_21rocsparse_index_base_SF_SF_SF_bbb
                                        ; -- End function
	.set _ZN9rocsparseL41csrgemm_numeric_fill_block_per_row_kernelILj1024ELj64ELj4096ELj137ELj64Ell21rocsparse_complex_numIfEEEvT5_PKS3_S5_NS_24const_host_device_scalarIT6_EEPKT4_S5_PKS7_SB_S5_SD_S8_SB_S5_SD_SB_S5_PS7_21rocsparse_index_base_SF_SF_SF_bbb.num_vgpr, 40
	.set _ZN9rocsparseL41csrgemm_numeric_fill_block_per_row_kernelILj1024ELj64ELj4096ELj137ELj64Ell21rocsparse_complex_numIfEEEvT5_PKS3_S5_NS_24const_host_device_scalarIT6_EEPKT4_S5_PKS7_SB_S5_SD_S8_SB_S5_SD_SB_S5_PS7_21rocsparse_index_base_SF_SF_SF_bbb.num_agpr, 0
	.set _ZN9rocsparseL41csrgemm_numeric_fill_block_per_row_kernelILj1024ELj64ELj4096ELj137ELj64Ell21rocsparse_complex_numIfEEEvT5_PKS3_S5_NS_24const_host_device_scalarIT6_EEPKT4_S5_PKS7_SB_S5_SD_S8_SB_S5_SD_SB_S5_PS7_21rocsparse_index_base_SF_SF_SF_bbb.numbered_sgpr, 63
	.set _ZN9rocsparseL41csrgemm_numeric_fill_block_per_row_kernelILj1024ELj64ELj4096ELj137ELj64Ell21rocsparse_complex_numIfEEEvT5_PKS3_S5_NS_24const_host_device_scalarIT6_EEPKT4_S5_PKS7_SB_S5_SD_S8_SB_S5_SD_SB_S5_PS7_21rocsparse_index_base_SF_SF_SF_bbb.num_named_barrier, 0
	.set _ZN9rocsparseL41csrgemm_numeric_fill_block_per_row_kernelILj1024ELj64ELj4096ELj137ELj64Ell21rocsparse_complex_numIfEEEvT5_PKS3_S5_NS_24const_host_device_scalarIT6_EEPKT4_S5_PKS7_SB_S5_SD_S8_SB_S5_SD_SB_S5_PS7_21rocsparse_index_base_SF_SF_SF_bbb.private_seg_size, 0
	.set _ZN9rocsparseL41csrgemm_numeric_fill_block_per_row_kernelILj1024ELj64ELj4096ELj137ELj64Ell21rocsparse_complex_numIfEEEvT5_PKS3_S5_NS_24const_host_device_scalarIT6_EEPKT4_S5_PKS7_SB_S5_SD_S8_SB_S5_SD_SB_S5_PS7_21rocsparse_index_base_SF_SF_SF_bbb.uses_vcc, 1
	.set _ZN9rocsparseL41csrgemm_numeric_fill_block_per_row_kernelILj1024ELj64ELj4096ELj137ELj64Ell21rocsparse_complex_numIfEEEvT5_PKS3_S5_NS_24const_host_device_scalarIT6_EEPKT4_S5_PKS7_SB_S5_SD_S8_SB_S5_SD_SB_S5_PS7_21rocsparse_index_base_SF_SF_SF_bbb.uses_flat_scratch, 0
	.set _ZN9rocsparseL41csrgemm_numeric_fill_block_per_row_kernelILj1024ELj64ELj4096ELj137ELj64Ell21rocsparse_complex_numIfEEEvT5_PKS3_S5_NS_24const_host_device_scalarIT6_EEPKT4_S5_PKS7_SB_S5_SD_S8_SB_S5_SD_SB_S5_PS7_21rocsparse_index_base_SF_SF_SF_bbb.has_dyn_sized_stack, 0
	.set _ZN9rocsparseL41csrgemm_numeric_fill_block_per_row_kernelILj1024ELj64ELj4096ELj137ELj64Ell21rocsparse_complex_numIfEEEvT5_PKS3_S5_NS_24const_host_device_scalarIT6_EEPKT4_S5_PKS7_SB_S5_SD_S8_SB_S5_SD_SB_S5_PS7_21rocsparse_index_base_SF_SF_SF_bbb.has_recursion, 0
	.set _ZN9rocsparseL41csrgemm_numeric_fill_block_per_row_kernelILj1024ELj64ELj4096ELj137ELj64Ell21rocsparse_complex_numIfEEEvT5_PKS3_S5_NS_24const_host_device_scalarIT6_EEPKT4_S5_PKS7_SB_S5_SD_S8_SB_S5_SD_SB_S5_PS7_21rocsparse_index_base_SF_SF_SF_bbb.has_indirect_call, 0
	.section	.AMDGPU.csdata,"",@progbits
; Kernel info:
; codeLenInByte = 3492
; TotalNumSgprs: 69
; NumVgprs: 40
; NumAgprs: 0
; TotalNumVgprs: 40
; ScratchSize: 0
; MemoryBound: 0
; FloatMode: 240
; IeeeMode: 1
; LDSByteSize: 0 bytes/workgroup (compile time only)
; SGPRBlocks: 8
; VGPRBlocks: 4
; NumSGPRsForWavesPerEU: 69
; NumVGPRsForWavesPerEU: 40
; AccumOffset: 40
; Occupancy: 8
; WaveLimiterHint : 1
; COMPUTE_PGM_RSRC2:SCRATCH_EN: 0
; COMPUTE_PGM_RSRC2:USER_SGPR: 2
; COMPUTE_PGM_RSRC2:TRAP_HANDLER: 0
; COMPUTE_PGM_RSRC2:TGID_X_EN: 1
; COMPUTE_PGM_RSRC2:TGID_Y_EN: 0
; COMPUTE_PGM_RSRC2:TGID_Z_EN: 0
; COMPUTE_PGM_RSRC2:TIDIG_COMP_CNT: 0
; COMPUTE_PGM_RSRC3_GFX90A:ACCUM_OFFSET: 9
; COMPUTE_PGM_RSRC3_GFX90A:TG_SPLIT: 0
	.section	.text._ZN9rocsparseL41csrgemm_numeric_fill_block_per_row_kernelILj1024ELj64ELj8192ELj137ELj32Ell21rocsparse_complex_numIfEEEvT5_PKS3_S5_NS_24const_host_device_scalarIT6_EEPKT4_S5_PKS7_SB_S5_SD_S8_SB_S5_SD_SB_S5_PS7_21rocsparse_index_base_SF_SF_SF_bbb,"axG",@progbits,_ZN9rocsparseL41csrgemm_numeric_fill_block_per_row_kernelILj1024ELj64ELj8192ELj137ELj32Ell21rocsparse_complex_numIfEEEvT5_PKS3_S5_NS_24const_host_device_scalarIT6_EEPKT4_S5_PKS7_SB_S5_SD_S8_SB_S5_SD_SB_S5_PS7_21rocsparse_index_base_SF_SF_SF_bbb,comdat
	.globl	_ZN9rocsparseL41csrgemm_numeric_fill_block_per_row_kernelILj1024ELj64ELj8192ELj137ELj32Ell21rocsparse_complex_numIfEEEvT5_PKS3_S5_NS_24const_host_device_scalarIT6_EEPKT4_S5_PKS7_SB_S5_SD_S8_SB_S5_SD_SB_S5_PS7_21rocsparse_index_base_SF_SF_SF_bbb ; -- Begin function _ZN9rocsparseL41csrgemm_numeric_fill_block_per_row_kernelILj1024ELj64ELj8192ELj137ELj32Ell21rocsparse_complex_numIfEEEvT5_PKS3_S5_NS_24const_host_device_scalarIT6_EEPKT4_S5_PKS7_SB_S5_SD_S8_SB_S5_SD_SB_S5_PS7_21rocsparse_index_base_SF_SF_SF_bbb
	.p2align	8
	.type	_ZN9rocsparseL41csrgemm_numeric_fill_block_per_row_kernelILj1024ELj64ELj8192ELj137ELj32Ell21rocsparse_complex_numIfEEEvT5_PKS3_S5_NS_24const_host_device_scalarIT6_EEPKT4_S5_PKS7_SB_S5_SD_S8_SB_S5_SD_SB_S5_PS7_21rocsparse_index_base_SF_SF_SF_bbb,@function
_ZN9rocsparseL41csrgemm_numeric_fill_block_per_row_kernelILj1024ELj64ELj8192ELj137ELj32Ell21rocsparse_complex_numIfEEEvT5_PKS3_S5_NS_24const_host_device_scalarIT6_EEPKT4_S5_PKS7_SB_S5_SD_S8_SB_S5_SD_SB_S5_PS7_21rocsparse_index_base_SF_SF_SF_bbb: ; @_ZN9rocsparseL41csrgemm_numeric_fill_block_per_row_kernelILj1024ELj64ELj8192ELj137ELj32Ell21rocsparse_complex_numIfEEEvT5_PKS3_S5_NS_24const_host_device_scalarIT6_EEPKT4_S5_PKS7_SB_S5_SD_S8_SB_S5_SD_SB_S5_PS7_21rocsparse_index_base_SF_SF_SF_bbb
; %bb.0:
	s_load_dwordx2 s[4:5], s[0:1], 0x70
	s_load_dwordx4 s[52:55], s[0:1], 0x88
                                        ; implicit-def: $vgpr40 : SGPR spill to VGPR lane
	s_mov_b32 s7, 0
	s_mov_b32 s47, 0
	s_waitcnt lgkmcnt(0)
	v_writelane_b32 v40, s4, 0
	s_nop 1
	v_writelane_b32 v40, s5, 1
	s_load_dwordx4 s[20:23], s[0:1], 0x50
	s_load_dword s3, s[0:1], 0x98
	s_load_dwordx4 s[28:31], s[0:1], 0x8
	s_load_dwordx8 s[8:15], s[0:1], 0x20
	s_load_dwordx2 s[4:5], s[0:1], 0x80
	s_waitcnt lgkmcnt(0)
	s_bitcmp1_b32 s3, 0
	s_cselect_b64 s[36:37], -1, 0
	s_bitcmp1_b32 s3, 16
	v_writelane_b32 v40, s4, 2
	s_nop 1
	v_writelane_b32 v40, s5, 3
	s_cselect_b64 s[4:5], -1, 0
	s_xor_b64 s[4:5], s[4:5], -1
	v_cndmask_b32_e64 v1, 0, 1, s[4:5]
	s_bitcmp0_b32 s3, 0
	v_cmp_ne_u32_e64 s[4:5], 1, v1
	s_cbranch_scc1 .LBB132_5
; %bb.1:
	s_load_dwordx2 s[6:7], s[0:1], 0x18
	s_and_b64 vcc, exec, s[4:5]
	s_waitcnt lgkmcnt(0)
	s_mov_b32 s47, s6
	s_cbranch_vccnz .LBB132_3
; %bb.2:
	s_load_dword s47, s[6:7], 0x0
.LBB132_3:
	s_and_b64 vcc, exec, s[4:5]
	s_cbranch_vccnz .LBB132_5
; %bb.4:
	s_load_dword s7, s[6:7], 0x4
.LBB132_5:
	s_nop 0
	s_load_dwordx4 s[16:19], s[0:1], 0x60
	s_load_dwordx4 s[24:27], s[0:1], 0x40
	s_bitcmp1_b32 s3, 8
	s_cselect_b64 s[34:35], -1, 0
	s_bfe_u32 s3, s3, 0x10008
	s_mov_b32 s33, 0
	s_cmp_eq_u32 s3, 0
	s_mov_b32 s46, 0
	s_cbranch_scc1 .LBB132_11
; %bb.6:
	s_and_b64 vcc, exec, s[4:5]
	s_mov_b32 s33, s20
	s_cbranch_vccnz .LBB132_8
; %bb.7:
	s_load_dword s33, s[20:21], 0x0
.LBB132_8:
	s_and_b64 vcc, exec, s[4:5]
	s_cbranch_vccnz .LBB132_10
; %bb.9:
	s_load_dword s21, s[20:21], 0x4
.LBB132_10:
	s_waitcnt lgkmcnt(0)
	s_mov_b32 s46, s21
.LBB132_11:
	s_load_dwordx2 s[72:73], s[0:1], 0x0
	v_lshl_add_u32 v1, v0, 3, 0
	v_add_u32_e32 v7, 0x10000, v1
	v_mov_b32_e32 v6, 0
	ds_write2_b32 v7, v6, v6 offset1:1
	s_waitcnt lgkmcnt(0)
	v_mov_b64_e32 v[2:3], s[72:73]
	v_mov_b64_e32 v[4:5], s[72:73]
	ds_write2st64_b64 v1, v[2:3], v[4:5] offset1:16
	v_add_u32_e32 v2, 0x2000, v7
	v_add_u32_e32 v4, 0x4000, v7
	ds_write2_b32 v2, v6, v6 offset1:1
	v_mov_b64_e32 v[2:3], s[72:73]
	ds_write2_b32 v4, v6, v6 offset1:1
	v_mov_b64_e32 v[4:5], s[72:73]
	ds_write2st64_b64 v1, v[2:3], v[4:5] offset0:32 offset1:48
	v_add_u32_e32 v2, 0x6000, v7
	v_add_u32_e32 v4, 0x8000, v7
	ds_write2_b32 v2, v6, v6 offset1:1
	v_mov_b64_e32 v[2:3], s[72:73]
	ds_write2_b32 v4, v6, v6 offset1:1
	v_mov_b64_e32 v[4:5], s[72:73]
	ds_write2st64_b64 v1, v[2:3], v[4:5] offset0:64 offset1:80
	;; [unrolled: 7-line block ×3, first 2 shown]
	v_add_u32_e32 v2, 0xe000, v7
	ds_write2_b32 v2, v6, v6 offset1:1
	s_waitcnt lgkmcnt(0)
	s_barrier
	s_load_dwordx2 s[0:1], s[28:29], 0x0
	s_mov_b32 s3, 0
	s_waitcnt lgkmcnt(0)
	s_lshl_b64 s[0:1], s[0:1], 3
	s_add_u32 s4, s30, s0
	s_addc_u32 s5, s31, s1
	s_lshl_b64 s[0:1], s[2:3], 3
	s_add_u32 s0, s4, s0
	s_addc_u32 s1, s5, s1
	s_load_dwordx2 s[50:51], s[0:1], 0x0
	s_andn2_b64 vcc, exec, s[36:37]
	s_cbranch_vccnz .LBB132_31
; %bb.12:
	s_waitcnt lgkmcnt(0)
	s_lshl_b64 s[0:1], s[50:51], 3
	s_add_u32 s0, s8, s0
	s_addc_u32 s1, s9, s1
	s_load_dwordx4 s[28:31], s[0:1], 0x0
	v_lshrrev_b32_e32 v2, 6, v0
	v_subrev_co_u32_e32 v2, vcc, s52, v2
	s_waitcnt lgkmcnt(0)
	s_sub_u32 s0, s30, s52
	v_subb_co_u32_e64 v3, s[2:3], 0, 0, vcc
	s_subb_u32 s1, s31, 0
	v_lshl_add_u64 v[2:3], s[28:29], 0, v[2:3]
	v_cmp_gt_i64_e32 vcc, s[0:1], v[2:3]
	s_and_saveexec_b64 s[2:3], vcc
	s_cbranch_execz .LBB132_30
; %bb.13:
	v_and_b32_e32 v4, 63, v0
	v_subrev_co_u32_e32 v4, vcc, s53, v4
	s_mov_b32 s6, s53
	s_nop 0
	v_subb_co_u32_e64 v5, s[4:5], 0, 0, vcc
	s_mov_b64 s[4:5], 0
	s_movk_i32 s48, 0x89
	s_branch .LBB132_15
.LBB132_14:                             ;   in Loop: Header=BB132_15 Depth=1
	s_or_b64 exec, exec, s[8:9]
	v_lshl_add_u64 v[2:3], v[2:3], 0, 16
	v_cmp_le_i64_e32 vcc, s[0:1], v[2:3]
	s_or_b64 s[4:5], vcc, s[4:5]
	s_andn2_b64 exec, exec, s[4:5]
	s_cbranch_execz .LBB132_30
.LBB132_15:                             ; =>This Loop Header: Depth=1
                                        ;     Child Loop BB132_19 Depth 2
                                        ;       Child Loop BB132_22 Depth 3
	v_lshl_add_u64 v[6:7], v[2:3], 3, s[10:11]
	global_load_dwordx2 v[6:7], v[6:7], off
	s_waitcnt vmcnt(0)
	v_subrev_co_u32_e32 v6, vcc, s52, v6
	s_nop 1
	v_subbrev_co_u32_e32 v7, vcc, 0, v7, vcc
	v_lshl_add_u64 v[6:7], v[6:7], 3, s[14:15]
	global_load_dwordx4 v[8:11], v[6:7], off
	s_waitcnt vmcnt(0)
	v_subrev_co_u32_e32 v6, vcc, s6, v10
	s_nop 1
	v_subbrev_co_u32_e32 v7, vcc, 0, v11, vcc
	v_lshl_add_u64 v[8:9], v[8:9], 0, v[4:5]
	v_cmp_lt_i64_e32 vcc, v[8:9], v[6:7]
	s_and_saveexec_b64 s[8:9], vcc
	s_cbranch_execz .LBB132_14
; %bb.16:                               ;   in Loop: Header=BB132_15 Depth=1
	v_lshl_add_u64 v[10:11], v[2:3], 3, s[12:13]
	global_load_dwordx2 v[10:11], v[10:11], off
	s_mov_b64 s[20:21], 0
	s_waitcnt vmcnt(0)
	v_mul_f32_e64 v20, v11, -s7
	v_mul_f32_e32 v21, s47, v11
	v_fmac_f32_e32 v20, s47, v10
	v_fmac_f32_e32 v21, s7, v10
	s_branch .LBB132_19
.LBB132_17:                             ;   in Loop: Header=BB132_19 Depth=2
	s_or_b64 exec, exec, s[30:31]
.LBB132_18:                             ;   in Loop: Header=BB132_19 Depth=2
	s_or_b64 exec, exec, s[28:29]
	s_waitcnt vmcnt(0)
	v_mul_f32_e64 v13, v11, -v21
	v_mul_f32_e32 v11, v20, v11
	v_fmac_f32_e32 v13, v20, v10
	v_fmac_f32_e32 v11, v21, v10
	v_lshl_add_u32 v10, v12, 3, 0
	v_add_u32_e32 v10, 0x10000, v10
	ds_add_f32 v10, v13
	ds_add_f32 v10, v11 offset:4
	v_lshl_add_u64 v[8:9], v[8:9], 0, 64
	v_cmp_ge_i64_e32 vcc, v[8:9], v[6:7]
	s_or_b64 s[20:21], vcc, s[20:21]
	s_andn2_b64 exec, exec, s[20:21]
	s_cbranch_execz .LBB132_14
.LBB132_19:                             ;   Parent Loop BB132_15 Depth=1
                                        ; =>  This Loop Header: Depth=2
                                        ;       Child Loop BB132_22 Depth 3
	v_lshlrev_b64 v[10:11], 3, v[8:9]
	v_lshl_add_u64 v[12:13], s[24:25], 0, v[10:11]
	global_load_dwordx2 v[12:13], v[12:13], off
	v_lshl_add_u64 v[10:11], s[26:27], 0, v[10:11]
	global_load_dwordx2 v[10:11], v[10:11], off
	s_waitcnt vmcnt(1)
	v_subrev_co_u32_e32 v14, vcc, s6, v12
	v_mul_lo_u32 v12, v14, s48
	v_and_b32_e32 v12, 0x1fff, v12
	v_lshl_add_u32 v22, v12, 3, 0
	ds_read_b64 v[18:19], v22
	v_subbrev_co_u32_e32 v15, vcc, 0, v13, vcc
	s_waitcnt lgkmcnt(0)
	v_cmp_ne_u64_e32 vcc, v[18:19], v[14:15]
	s_and_saveexec_b64 s[28:29], vcc
	s_cbranch_execz .LBB132_18
; %bb.20:                               ;   in Loop: Header=BB132_19 Depth=2
	s_mov_b64 s[30:31], 0
                                        ; implicit-def: $sgpr36_sgpr37
                                        ; implicit-def: $sgpr38_sgpr39
	s_branch .LBB132_22
.LBB132_21:                             ;   in Loop: Header=BB132_22 Depth=3
	s_or_b64 exec, exec, s[44:45]
	s_and_b64 s[40:41], exec, s[42:43]
	s_or_b64 s[30:31], s[40:41], s[30:31]
	s_andn2_b64 s[36:37], s[36:37], exec
	s_and_b64 s[40:41], s[38:39], exec
	s_or_b64 s[36:37], s[36:37], s[40:41]
	s_andn2_b64 exec, exec, s[30:31]
	s_cbranch_execz .LBB132_28
.LBB132_22:                             ;   Parent Loop BB132_15 Depth=1
                                        ;     Parent Loop BB132_19 Depth=2
                                        ; =>    This Inner Loop Header: Depth=3
	v_mov_b64_e32 v[16:17], v[12:13]
	v_cmp_ne_u64_e32 vcc, s[72:73], v[18:19]
	s_mov_b64 s[40:41], 0
                                        ; implicit-def: $vgpr12_vgpr13
	s_and_saveexec_b64 s[42:43], vcc
	s_xor_b64 s[42:43], exec, s[42:43]
; %bb.23:                               ;   in Loop: Header=BB132_22 Depth=3
	v_add_u32_e32 v12, 1, v16
	s_mov_b64 s[40:41], exec
	v_and_b32_e32 v12, 0x1fff, v12
                                        ; implicit-def: $vgpr22
; %bb.24:                               ;   in Loop: Header=BB132_22 Depth=3
	s_andn2_saveexec_b64 s[42:43], s[42:43]
	s_cbranch_execz .LBB132_26
; %bb.25:                               ;   in Loop: Header=BB132_22 Depth=3
	v_mov_b64_e32 v[12:13], s[72:73]
	ds_cmpst_rtn_b64 v[12:13], v22, v[12:13], v[14:15]
	s_andn2_b64 s[40:41], s[40:41], exec
	s_waitcnt lgkmcnt(0)
	v_cmp_ne_u64_e32 vcc, s[72:73], v[12:13]
	s_and_b64 s[44:45], vcc, exec
	s_or_b64 s[40:41], s[40:41], s[44:45]
	v_mov_b64_e32 v[12:13], v[16:17]
.LBB132_26:                             ;   in Loop: Header=BB132_22 Depth=3
	s_or_b64 exec, exec, s[42:43]
	s_mov_b64 s[42:43], -1
	s_or_b64 s[38:39], s[38:39], exec
                                        ; implicit-def: $vgpr22
                                        ; implicit-def: $vgpr18_vgpr19
	s_and_saveexec_b64 s[44:45], s[40:41]
	s_cbranch_execz .LBB132_21
; %bb.27:                               ;   in Loop: Header=BB132_22 Depth=3
	v_lshl_add_u32 v22, v12, 3, 0
	ds_read_b64 v[18:19], v22
	s_andn2_b64 s[38:39], s[38:39], exec
	s_waitcnt lgkmcnt(0)
	v_cmp_eq_u64_e32 vcc, v[18:19], v[14:15]
	s_orn2_b64 s[42:43], vcc, exec
	s_branch .LBB132_21
.LBB132_28:                             ;   in Loop: Header=BB132_19 Depth=2
	s_or_b64 exec, exec, s[30:31]
	s_and_saveexec_b64 s[30:31], s[36:37]
	s_xor_b64 s[30:31], exec, s[30:31]
	s_cbranch_execz .LBB132_17
; %bb.29:                               ;   in Loop: Header=BB132_19 Depth=2
	v_mov_b32_e32 v12, v16
	s_branch .LBB132_17
.LBB132_30:
	s_or_b64 exec, exec, s[2:3]
.LBB132_31:
	s_andn2_b64 vcc, exec, s[34:35]
	s_cbranch_vccnz .LBB132_48
; %bb.32:
	s_waitcnt lgkmcnt(0)
	s_lshl_b64 s[0:1], s[50:51], 3
	s_add_u32 s0, s22, s0
	s_addc_u32 s1, s23, s1
	s_load_dwordx4 s[4:7], s[0:1], 0x0
	v_subrev_co_u32_e32 v2, vcc, s55, v0
	s_waitcnt lgkmcnt(0)
	s_sub_u32 s0, s6, s55
	v_subb_co_u32_e64 v3, s[2:3], 0, 0, vcc
	s_subb_u32 s1, s7, 0
	v_lshl_add_u64 v[2:3], s[4:5], 0, v[2:3]
	v_cmp_gt_i64_e32 vcc, s[0:1], v[2:3]
	s_and_saveexec_b64 s[2:3], vcc
	s_cbranch_execz .LBB132_47
; %bb.33:
	s_mov_b32 s26, s55
	s_mov_b64 s[4:5], 0
	s_movk_i32 s27, 0x89
	s_mov_b64 s[6:7], 0x400
	s_branch .LBB132_36
.LBB132_34:                             ;   in Loop: Header=BB132_36 Depth=1
	s_or_b64 exec, exec, s[10:11]
.LBB132_35:                             ;   in Loop: Header=BB132_36 Depth=1
	s_or_b64 exec, exec, s[8:9]
	s_waitcnt vmcnt(0)
	v_mul_f32_e64 v7, v5, -s46
	v_mul_f32_e32 v5, s33, v5
	v_fmac_f32_e32 v7, s33, v4
	v_fmac_f32_e32 v5, s46, v4
	v_lshl_add_u32 v4, v6, 3, 0
	v_add_u32_e32 v4, 0x10000, v4
	ds_add_f32 v4, v7
	ds_add_f32 v4, v5 offset:4
	v_lshl_add_u64 v[2:3], v[2:3], 0, s[6:7]
	v_cmp_le_i64_e32 vcc, s[0:1], v[2:3]
	s_or_b64 s[4:5], vcc, s[4:5]
	s_andn2_b64 exec, exec, s[4:5]
	s_cbranch_execz .LBB132_47
.LBB132_36:                             ; =>This Loop Header: Depth=1
                                        ;     Child Loop BB132_39 Depth 2
	v_lshlrev_b64 v[4:5], 3, v[2:3]
	v_lshl_add_u64 v[6:7], s[16:17], 0, v[4:5]
	global_load_dwordx2 v[6:7], v[6:7], off
	v_lshl_add_u64 v[4:5], s[18:19], 0, v[4:5]
	global_load_dwordx2 v[4:5], v[4:5], off
	s_waitcnt vmcnt(1)
	v_subrev_co_u32_e32 v8, vcc, s26, v6
	v_mul_lo_u32 v6, v8, s27
	v_and_b32_e32 v6, 0x1fff, v6
	v_lshl_add_u32 v14, v6, 3, 0
	ds_read_b64 v[12:13], v14
	v_subbrev_co_u32_e32 v9, vcc, 0, v7, vcc
	s_waitcnt lgkmcnt(0)
	v_cmp_ne_u64_e32 vcc, v[12:13], v[8:9]
	s_and_saveexec_b64 s[8:9], vcc
	s_cbranch_execz .LBB132_35
; %bb.37:                               ;   in Loop: Header=BB132_36 Depth=1
	s_mov_b64 s[10:11], 0
                                        ; implicit-def: $sgpr12_sgpr13
                                        ; implicit-def: $sgpr14_sgpr15
	s_branch .LBB132_39
.LBB132_38:                             ;   in Loop: Header=BB132_39 Depth=2
	s_or_b64 exec, exec, s[24:25]
	s_and_b64 s[20:21], exec, s[22:23]
	s_or_b64 s[10:11], s[20:21], s[10:11]
	s_andn2_b64 s[12:13], s[12:13], exec
	s_and_b64 s[20:21], s[14:15], exec
	s_or_b64 s[12:13], s[12:13], s[20:21]
	s_andn2_b64 exec, exec, s[10:11]
	s_cbranch_execz .LBB132_45
.LBB132_39:                             ;   Parent Loop BB132_36 Depth=1
                                        ; =>  This Inner Loop Header: Depth=2
	v_mov_b64_e32 v[10:11], v[6:7]
	v_cmp_ne_u64_e32 vcc, s[72:73], v[12:13]
	s_mov_b64 s[20:21], 0
                                        ; implicit-def: $vgpr6_vgpr7
	s_and_saveexec_b64 s[22:23], vcc
	s_xor_b64 s[22:23], exec, s[22:23]
; %bb.40:                               ;   in Loop: Header=BB132_39 Depth=2
	v_add_u32_e32 v6, 1, v10
	s_mov_b64 s[20:21], exec
	v_and_b32_e32 v6, 0x1fff, v6
                                        ; implicit-def: $vgpr14
; %bb.41:                               ;   in Loop: Header=BB132_39 Depth=2
	s_andn2_saveexec_b64 s[22:23], s[22:23]
	s_cbranch_execz .LBB132_43
; %bb.42:                               ;   in Loop: Header=BB132_39 Depth=2
	v_mov_b64_e32 v[6:7], s[72:73]
	ds_cmpst_rtn_b64 v[6:7], v14, v[6:7], v[8:9]
	s_andn2_b64 s[20:21], s[20:21], exec
	s_waitcnt lgkmcnt(0)
	v_cmp_ne_u64_e32 vcc, s[72:73], v[6:7]
	s_and_b64 s[24:25], vcc, exec
	s_or_b64 s[20:21], s[20:21], s[24:25]
	v_mov_b64_e32 v[6:7], v[10:11]
.LBB132_43:                             ;   in Loop: Header=BB132_39 Depth=2
	s_or_b64 exec, exec, s[22:23]
	s_mov_b64 s[22:23], -1
	s_or_b64 s[14:15], s[14:15], exec
                                        ; implicit-def: $vgpr14
                                        ; implicit-def: $vgpr12_vgpr13
	s_and_saveexec_b64 s[24:25], s[20:21]
	s_cbranch_execz .LBB132_38
; %bb.44:                               ;   in Loop: Header=BB132_39 Depth=2
	v_lshl_add_u32 v14, v6, 3, 0
	ds_read_b64 v[12:13], v14
	s_andn2_b64 s[14:15], s[14:15], exec
	s_waitcnt lgkmcnt(0)
	v_cmp_eq_u64_e32 vcc, v[12:13], v[8:9]
	s_orn2_b64 s[22:23], vcc, exec
	s_branch .LBB132_38
.LBB132_45:                             ;   in Loop: Header=BB132_36 Depth=1
	s_or_b64 exec, exec, s[10:11]
	s_and_saveexec_b64 s[10:11], s[12:13]
	s_xor_b64 s[10:11], exec, s[10:11]
	s_cbranch_execz .LBB132_34
; %bb.46:                               ;   in Loop: Header=BB132_36 Depth=1
	v_mov_b32_e32 v6, v10
	s_branch .LBB132_34
.LBB132_47:
	s_or_b64 exec, exec, s[2:3]
.LBB132_48:
	s_movk_i32 s33, 0x25f
	v_cmp_lt_u32_e64 s[34:35], s33, v0
	s_movk_i32 s33, 0x27f
	v_cmp_lt_u32_e64 s[36:37], s33, v0
	;; [unrolled: 2-line block ×4, first 2 shown]
	s_movk_i32 s33, 0x2df
	s_waitcnt lgkmcnt(0)
	v_writelane_b32 v40, s50, 4
	v_cmp_lt_u32_e64 s[42:43], s33, v0
	s_movk_i32 s33, 0x2ff
	v_writelane_b32 v40, s51, 5
	v_cmp_lt_u32_e64 s[44:45], s33, v0
	s_movk_i32 s33, 0x31f
	;; [unrolled: 3-line block ×5, first 2 shown]
	v_writelane_b32 v40, s55, 9
	v_mbcnt_lo_u32_b32 v2, -1, 0
	v_cmp_lt_u32_e64 s[52:53], s33, v0
	s_movk_i32 s33, 0x39f
	v_mbcnt_hi_u32_b32 v2, -1, v2
	v_cmp_lt_u32_e64 s[54:55], s33, v0
	s_movk_i32 s33, 0x3bf
	v_sub_u32_e32 v2, 63, v2
	s_add_i32 s0, 0, 0x20000
	v_cmp_lt_u32_e64 s[56:57], s33, v0
	s_movk_i32 s33, 0x3df
	v_lshrrev_b64 v[4:5], v2, -1
	v_lshrrev_b32_e32 v2, 2, v0
	v_writelane_b32 v40, s0, 10
	v_cmp_lt_u32_e64 s[58:59], s33, v0
	s_add_i32 s33, 0, 0x20008
	v_and_b32_e32 v2, 0xf8, v2
	v_writelane_b32 v40, s33, 11
	s_add_i32 s33, 0, 0x20010
	v_add_u32_e32 v14, s0, v2
	s_movk_i32 s0, 0x3ff
	v_writelane_b32 v40, s33, 12
	s_add_i32 s33, 0, 0x20018
	v_cmp_eq_u32_e32 vcc, s0, v0
	s_movk_i32 s0, 0x5f
	s_movk_i32 s2, 0x7f
	;; [unrolled: 1-line block ×16, first 2 shown]
	v_writelane_b32 v40, s33, 13
	s_add_i32 s33, 0, 0x20028
	v_mov_b32_e32 v3, 0
	v_cmp_lt_u32_e64 s[0:1], s0, v0
	v_cmp_lt_u32_e64 s[2:3], s2, v0
	;; [unrolled: 1-line block ×16, first 2 shown]
	v_or_b32_e32 v15, 0xfffffc00, v0
	v_mov_b64_e32 v[6:7], 0
	s_add_i32 s81, 0, 0x20020
	v_writelane_b32 v40, s33, 14
	s_add_i32 s84, 0, 0x20030
	s_add_i32 s85, 0, 0x20038
	;; [unrolled: 1-line block ×26, first 2 shown]
	v_cmp_lt_u32_e64 s[60:61], 31, v0
	v_cmp_lt_u32_e64 s[62:63], 63, v0
	s_mov_b64 s[76:77], 0
	s_barrier
	s_branch .LBB132_50
.LBB132_49:                             ;   in Loop: Header=BB132_50 Depth=1
	s_or_b64 exec, exec, s[64:65]
	v_mov_b32_e32 v2, s80
	s_waitcnt lgkmcnt(0)
	s_barrier
	ds_read_b64 v[8:9], v2
	v_add_u32_e32 v15, 0x400, v15
	s_movk_i32 s64, 0x1bff
	v_cmp_lt_u32_e64 s[64:65], s64, v15
	s_or_b64 s[76:77], s[64:65], s[76:77]
	s_waitcnt lgkmcnt(0)
	v_lshl_add_u64 v[6:7], v[8:9], 0, v[6:7]
	v_add_u32_e32 v1, 0x2000, v1
	s_andn2_b64 exec, exec, s[76:77]
	s_cbranch_execz .LBB132_116
.LBB132_50:                             ; =>This Inner Loop Header: Depth=1
	ds_read_b64 v[8:9], v1
	v_add_u32_e32 v2, 0x10000, v1
	ds_read2_b32 v[10:11], v2 offset1:1
	s_waitcnt lgkmcnt(0)
	s_barrier
	v_cmp_gt_i64_e64 s[64:65], s[72:73], v[8:9]
	s_bcnt1_i32_b64 s78, s[64:65]
	v_mov_b32_e32 v2, s78
	v_and_b32_e32 v13, s64, v4
	v_and_b32_e32 v12, s65, v5
	v_bcnt_u32_b32 v13, v13, 0
	v_bcnt_u32_b32 v12, v12, v13
	ds_write_b64 v14, v[2:3]
	s_waitcnt lgkmcnt(0)
	s_barrier
	s_and_saveexec_b64 s[78:79], s[60:61]
	s_cbranch_execnz .LBB132_83
; %bb.51:                               ;   in Loop: Header=BB132_50 Depth=1
	s_or_b64 exec, exec, s[78:79]
	s_and_saveexec_b64 s[78:79], s[62:63]
	s_cbranch_execnz .LBB132_84
.LBB132_52:                             ;   in Loop: Header=BB132_50 Depth=1
	s_or_b64 exec, exec, s[78:79]
	s_and_saveexec_b64 s[78:79], s[0:1]
	s_cbranch_execnz .LBB132_85
.LBB132_53:                             ;   in Loop: Header=BB132_50 Depth=1
	s_or_b64 exec, exec, s[78:79]
	s_and_saveexec_b64 s[78:79], s[2:3]
	s_cbranch_execnz .LBB132_86
.LBB132_54:                             ;   in Loop: Header=BB132_50 Depth=1
	s_or_b64 exec, exec, s[78:79]
	s_and_saveexec_b64 s[78:79], s[4:5]
	s_cbranch_execnz .LBB132_87
.LBB132_55:                             ;   in Loop: Header=BB132_50 Depth=1
	s_or_b64 exec, exec, s[78:79]
	s_and_saveexec_b64 s[78:79], s[6:7]
	s_cbranch_execnz .LBB132_88
.LBB132_56:                             ;   in Loop: Header=BB132_50 Depth=1
	s_or_b64 exec, exec, s[78:79]
	s_and_saveexec_b64 s[78:79], s[8:9]
	s_cbranch_execnz .LBB132_89
.LBB132_57:                             ;   in Loop: Header=BB132_50 Depth=1
	s_or_b64 exec, exec, s[78:79]
	s_and_saveexec_b64 s[78:79], s[10:11]
	s_cbranch_execnz .LBB132_90
.LBB132_58:                             ;   in Loop: Header=BB132_50 Depth=1
	s_or_b64 exec, exec, s[78:79]
	s_and_saveexec_b64 s[78:79], s[12:13]
	s_cbranch_execnz .LBB132_91
.LBB132_59:                             ;   in Loop: Header=BB132_50 Depth=1
	s_or_b64 exec, exec, s[78:79]
	s_and_saveexec_b64 s[78:79], s[14:15]
	s_cbranch_execnz .LBB132_92
.LBB132_60:                             ;   in Loop: Header=BB132_50 Depth=1
	s_or_b64 exec, exec, s[78:79]
	s_and_saveexec_b64 s[78:79], s[16:17]
	s_cbranch_execnz .LBB132_93
.LBB132_61:                             ;   in Loop: Header=BB132_50 Depth=1
	s_or_b64 exec, exec, s[78:79]
	s_and_saveexec_b64 s[78:79], s[18:19]
	s_cbranch_execnz .LBB132_94
.LBB132_62:                             ;   in Loop: Header=BB132_50 Depth=1
	s_or_b64 exec, exec, s[78:79]
	s_and_saveexec_b64 s[78:79], s[20:21]
	s_cbranch_execnz .LBB132_95
.LBB132_63:                             ;   in Loop: Header=BB132_50 Depth=1
	s_or_b64 exec, exec, s[78:79]
	s_and_saveexec_b64 s[78:79], s[22:23]
	s_cbranch_execnz .LBB132_96
.LBB132_64:                             ;   in Loop: Header=BB132_50 Depth=1
	s_or_b64 exec, exec, s[78:79]
	s_and_saveexec_b64 s[78:79], s[24:25]
	s_cbranch_execnz .LBB132_97
.LBB132_65:                             ;   in Loop: Header=BB132_50 Depth=1
	s_or_b64 exec, exec, s[78:79]
	s_and_saveexec_b64 s[78:79], s[26:27]
	s_cbranch_execnz .LBB132_98
.LBB132_66:                             ;   in Loop: Header=BB132_50 Depth=1
	s_or_b64 exec, exec, s[78:79]
	s_and_saveexec_b64 s[78:79], s[28:29]
	s_cbranch_execnz .LBB132_99
.LBB132_67:                             ;   in Loop: Header=BB132_50 Depth=1
	s_or_b64 exec, exec, s[78:79]
	s_and_saveexec_b64 s[78:79], s[30:31]
	s_cbranch_execnz .LBB132_100
.LBB132_68:                             ;   in Loop: Header=BB132_50 Depth=1
	s_or_b64 exec, exec, s[78:79]
	s_and_saveexec_b64 s[78:79], s[34:35]
	s_cbranch_execnz .LBB132_101
.LBB132_69:                             ;   in Loop: Header=BB132_50 Depth=1
	s_or_b64 exec, exec, s[78:79]
	s_and_saveexec_b64 s[78:79], s[36:37]
	s_cbranch_execnz .LBB132_102
.LBB132_70:                             ;   in Loop: Header=BB132_50 Depth=1
	s_or_b64 exec, exec, s[78:79]
	s_and_saveexec_b64 s[78:79], s[38:39]
	s_cbranch_execnz .LBB132_103
.LBB132_71:                             ;   in Loop: Header=BB132_50 Depth=1
	s_or_b64 exec, exec, s[78:79]
	s_and_saveexec_b64 s[78:79], s[40:41]
	s_cbranch_execnz .LBB132_104
.LBB132_72:                             ;   in Loop: Header=BB132_50 Depth=1
	s_or_b64 exec, exec, s[78:79]
	s_and_saveexec_b64 s[78:79], s[42:43]
	s_cbranch_execnz .LBB132_105
.LBB132_73:                             ;   in Loop: Header=BB132_50 Depth=1
	s_or_b64 exec, exec, s[78:79]
	s_and_saveexec_b64 s[78:79], s[44:45]
	s_cbranch_execnz .LBB132_106
.LBB132_74:                             ;   in Loop: Header=BB132_50 Depth=1
	s_or_b64 exec, exec, s[78:79]
	s_and_saveexec_b64 s[78:79], s[46:47]
	s_cbranch_execnz .LBB132_107
.LBB132_75:                             ;   in Loop: Header=BB132_50 Depth=1
	s_or_b64 exec, exec, s[78:79]
	s_and_saveexec_b64 s[78:79], s[48:49]
	s_cbranch_execnz .LBB132_108
.LBB132_76:                             ;   in Loop: Header=BB132_50 Depth=1
	s_or_b64 exec, exec, s[78:79]
	s_and_saveexec_b64 s[78:79], s[50:51]
	s_cbranch_execnz .LBB132_109
.LBB132_77:                             ;   in Loop: Header=BB132_50 Depth=1
	s_or_b64 exec, exec, s[78:79]
	s_and_saveexec_b64 s[78:79], s[52:53]
	s_cbranch_execnz .LBB132_110
.LBB132_78:                             ;   in Loop: Header=BB132_50 Depth=1
	s_or_b64 exec, exec, s[78:79]
	s_and_saveexec_b64 s[78:79], s[54:55]
	s_cbranch_execnz .LBB132_111
.LBB132_79:                             ;   in Loop: Header=BB132_50 Depth=1
	s_or_b64 exec, exec, s[78:79]
	s_and_saveexec_b64 s[78:79], s[56:57]
	s_cbranch_execnz .LBB132_112
.LBB132_80:                             ;   in Loop: Header=BB132_50 Depth=1
	s_or_b64 exec, exec, s[78:79]
	s_and_saveexec_b64 s[78:79], s[58:59]
	s_cbranch_execnz .LBB132_113
.LBB132_81:                             ;   in Loop: Header=BB132_50 Depth=1
	s_or_b64 exec, exec, s[78:79]
	v_ashrrev_i32_e32 v13, 31, v12
	s_and_saveexec_b64 s[78:79], s[64:65]
	s_cbranch_execnz .LBB132_114
.LBB132_82:                             ;   in Loop: Header=BB132_50 Depth=1
	s_or_b64 exec, exec, s[78:79]
	s_and_saveexec_b64 s[64:65], vcc
	s_cbranch_execz .LBB132_49
	s_branch .LBB132_115
.LBB132_83:                             ;   in Loop: Header=BB132_50 Depth=1
	v_readlane_b32 s82, v40, 10
	s_nop 1
	v_mov_b32_e32 v2, s82
	ds_read_b32 v2, v2
	s_waitcnt lgkmcnt(0)
	v_add_u32_e32 v12, v2, v12
	s_or_b64 exec, exec, s[78:79]
	s_and_saveexec_b64 s[78:79], s[62:63]
	s_cbranch_execz .LBB132_52
.LBB132_84:                             ;   in Loop: Header=BB132_50 Depth=1
	v_readlane_b32 s82, v40, 11
	s_nop 1
	v_mov_b32_e32 v2, s82
	ds_read_b32 v2, v2
	s_waitcnt lgkmcnt(0)
	v_add_u32_e32 v12, v12, v2
	s_or_b64 exec, exec, s[78:79]
	s_and_saveexec_b64 s[78:79], s[0:1]
	s_cbranch_execz .LBB132_53
.LBB132_85:                             ;   in Loop: Header=BB132_50 Depth=1
	v_readlane_b32 s82, v40, 12
	s_nop 1
	v_mov_b32_e32 v2, s82
	ds_read_b32 v2, v2
	s_waitcnt lgkmcnt(0)
	v_add_u32_e32 v12, v12, v2
	s_or_b64 exec, exec, s[78:79]
	s_and_saveexec_b64 s[78:79], s[2:3]
	s_cbranch_execz .LBB132_54
.LBB132_86:                             ;   in Loop: Header=BB132_50 Depth=1
	v_readlane_b32 s82, v40, 13
	s_nop 1
	v_mov_b32_e32 v2, s82
	ds_read_b32 v2, v2
	s_waitcnt lgkmcnt(0)
	v_add_u32_e32 v12, v12, v2
	s_or_b64 exec, exec, s[78:79]
	s_and_saveexec_b64 s[78:79], s[4:5]
	s_cbranch_execz .LBB132_55
.LBB132_87:                             ;   in Loop: Header=BB132_50 Depth=1
	v_mov_b32_e32 v2, s81
	ds_read_b32 v2, v2
	s_waitcnt lgkmcnt(0)
	v_add_u32_e32 v12, v12, v2
	s_or_b64 exec, exec, s[78:79]
	s_and_saveexec_b64 s[78:79], s[6:7]
	s_cbranch_execz .LBB132_56
.LBB132_88:                             ;   in Loop: Header=BB132_50 Depth=1
	v_readlane_b32 s82, v40, 14
	s_nop 1
	v_mov_b32_e32 v2, s82
	ds_read_b32 v2, v2
	s_waitcnt lgkmcnt(0)
	v_add_u32_e32 v12, v12, v2
	s_or_b64 exec, exec, s[78:79]
	s_and_saveexec_b64 s[78:79], s[8:9]
	s_cbranch_execz .LBB132_57
.LBB132_89:                             ;   in Loop: Header=BB132_50 Depth=1
	v_mov_b32_e32 v2, s84
	ds_read_b32 v2, v2
	s_waitcnt lgkmcnt(0)
	v_add_u32_e32 v12, v12, v2
	s_or_b64 exec, exec, s[78:79]
	s_and_saveexec_b64 s[78:79], s[10:11]
	s_cbranch_execz .LBB132_58
.LBB132_90:                             ;   in Loop: Header=BB132_50 Depth=1
	v_mov_b32_e32 v2, s85
	ds_read_b32 v2, v2
	s_waitcnt lgkmcnt(0)
	v_add_u32_e32 v12, v12, v2
	s_or_b64 exec, exec, s[78:79]
	s_and_saveexec_b64 s[78:79], s[12:13]
	s_cbranch_execz .LBB132_59
.LBB132_91:                             ;   in Loop: Header=BB132_50 Depth=1
	v_mov_b32_e32 v2, s86
	ds_read_b32 v2, v2
	s_waitcnt lgkmcnt(0)
	v_add_u32_e32 v12, v12, v2
	s_or_b64 exec, exec, s[78:79]
	s_and_saveexec_b64 s[78:79], s[14:15]
	s_cbranch_execz .LBB132_60
.LBB132_92:                             ;   in Loop: Header=BB132_50 Depth=1
	v_mov_b32_e32 v2, s87
	ds_read_b32 v2, v2
	s_waitcnt lgkmcnt(0)
	v_add_u32_e32 v12, v12, v2
	s_or_b64 exec, exec, s[78:79]
	s_and_saveexec_b64 s[78:79], s[16:17]
	s_cbranch_execz .LBB132_61
.LBB132_93:                             ;   in Loop: Header=BB132_50 Depth=1
	v_mov_b32_e32 v2, s88
	ds_read_b32 v2, v2
	s_waitcnt lgkmcnt(0)
	v_add_u32_e32 v12, v12, v2
	s_or_b64 exec, exec, s[78:79]
	s_and_saveexec_b64 s[78:79], s[18:19]
	s_cbranch_execz .LBB132_62
.LBB132_94:                             ;   in Loop: Header=BB132_50 Depth=1
	v_mov_b32_e32 v2, s89
	ds_read_b32 v2, v2
	s_waitcnt lgkmcnt(0)
	v_add_u32_e32 v12, v12, v2
	s_or_b64 exec, exec, s[78:79]
	s_and_saveexec_b64 s[78:79], s[20:21]
	s_cbranch_execz .LBB132_63
.LBB132_95:                             ;   in Loop: Header=BB132_50 Depth=1
	v_mov_b32_e32 v2, s90
	ds_read_b32 v2, v2
	s_waitcnt lgkmcnt(0)
	v_add_u32_e32 v12, v12, v2
	s_or_b64 exec, exec, s[78:79]
	s_and_saveexec_b64 s[78:79], s[22:23]
	s_cbranch_execz .LBB132_64
.LBB132_96:                             ;   in Loop: Header=BB132_50 Depth=1
	v_mov_b32_e32 v2, s91
	ds_read_b32 v2, v2
	s_waitcnt lgkmcnt(0)
	v_add_u32_e32 v12, v12, v2
	s_or_b64 exec, exec, s[78:79]
	s_and_saveexec_b64 s[78:79], s[24:25]
	s_cbranch_execz .LBB132_65
.LBB132_97:                             ;   in Loop: Header=BB132_50 Depth=1
	v_mov_b32_e32 v2, s92
	ds_read_b32 v2, v2
	s_waitcnt lgkmcnt(0)
	v_add_u32_e32 v12, v12, v2
	s_or_b64 exec, exec, s[78:79]
	s_and_saveexec_b64 s[78:79], s[26:27]
	s_cbranch_execz .LBB132_66
.LBB132_98:                             ;   in Loop: Header=BB132_50 Depth=1
	v_mov_b32_e32 v2, s93
	ds_read_b32 v2, v2
	s_waitcnt lgkmcnt(0)
	v_add_u32_e32 v12, v12, v2
	s_or_b64 exec, exec, s[78:79]
	s_and_saveexec_b64 s[78:79], s[28:29]
	s_cbranch_execz .LBB132_67
.LBB132_99:                             ;   in Loop: Header=BB132_50 Depth=1
	v_mov_b32_e32 v2, s94
	ds_read_b32 v2, v2
	s_waitcnt lgkmcnt(0)
	v_add_u32_e32 v12, v12, v2
	s_or_b64 exec, exec, s[78:79]
	s_and_saveexec_b64 s[78:79], s[30:31]
	s_cbranch_execz .LBB132_68
.LBB132_100:                            ;   in Loop: Header=BB132_50 Depth=1
	v_mov_b32_e32 v2, s95
	ds_read_b32 v2, v2
	s_waitcnt lgkmcnt(0)
	v_add_u32_e32 v12, v12, v2
	s_or_b64 exec, exec, s[78:79]
	s_and_saveexec_b64 s[78:79], s[34:35]
	s_cbranch_execz .LBB132_69
.LBB132_101:                            ;   in Loop: Header=BB132_50 Depth=1
	v_mov_b32_e32 v2, s96
	ds_read_b32 v2, v2
	s_waitcnt lgkmcnt(0)
	v_add_u32_e32 v12, v12, v2
	s_or_b64 exec, exec, s[78:79]
	s_and_saveexec_b64 s[78:79], s[36:37]
	s_cbranch_execz .LBB132_70
.LBB132_102:                            ;   in Loop: Header=BB132_50 Depth=1
	v_mov_b32_e32 v2, s97
	ds_read_b32 v2, v2
	s_waitcnt lgkmcnt(0)
	v_add_u32_e32 v12, v12, v2
	s_or_b64 exec, exec, s[78:79]
	s_and_saveexec_b64 s[78:79], s[38:39]
	s_cbranch_execz .LBB132_71
.LBB132_103:                            ;   in Loop: Header=BB132_50 Depth=1
	v_mov_b32_e32 v2, s98
	ds_read_b32 v2, v2
	s_waitcnt lgkmcnt(0)
	v_add_u32_e32 v12, v12, v2
	s_or_b64 exec, exec, s[78:79]
	s_and_saveexec_b64 s[78:79], s[40:41]
	s_cbranch_execz .LBB132_72
.LBB132_104:                            ;   in Loop: Header=BB132_50 Depth=1
	v_mov_b32_e32 v2, s99
	ds_read_b32 v2, v2
	s_waitcnt lgkmcnt(0)
	v_add_u32_e32 v12, v12, v2
	s_or_b64 exec, exec, s[78:79]
	s_and_saveexec_b64 s[78:79], s[42:43]
	s_cbranch_execz .LBB132_73
.LBB132_105:                            ;   in Loop: Header=BB132_50 Depth=1
	v_mov_b32_e32 v2, s70
	ds_read_b32 v2, v2
	s_waitcnt lgkmcnt(0)
	v_add_u32_e32 v12, v12, v2
	s_or_b64 exec, exec, s[78:79]
	s_and_saveexec_b64 s[78:79], s[44:45]
	s_cbranch_execz .LBB132_74
.LBB132_106:                            ;   in Loop: Header=BB132_50 Depth=1
	v_mov_b32_e32 v2, s71
	ds_read_b32 v2, v2
	s_waitcnt lgkmcnt(0)
	v_add_u32_e32 v12, v12, v2
	s_or_b64 exec, exec, s[78:79]
	s_and_saveexec_b64 s[78:79], s[46:47]
	s_cbranch_execz .LBB132_75
.LBB132_107:                            ;   in Loop: Header=BB132_50 Depth=1
	v_mov_b32_e32 v2, s74
	ds_read_b32 v2, v2
	s_waitcnt lgkmcnt(0)
	v_add_u32_e32 v12, v12, v2
	s_or_b64 exec, exec, s[78:79]
	s_and_saveexec_b64 s[78:79], s[48:49]
	s_cbranch_execz .LBB132_76
.LBB132_108:                            ;   in Loop: Header=BB132_50 Depth=1
	v_mov_b32_e32 v2, s75
	ds_read_b32 v2, v2
	s_waitcnt lgkmcnt(0)
	v_add_u32_e32 v12, v12, v2
	s_or_b64 exec, exec, s[78:79]
	s_and_saveexec_b64 s[78:79], s[50:51]
	s_cbranch_execz .LBB132_77
.LBB132_109:                            ;   in Loop: Header=BB132_50 Depth=1
	v_mov_b32_e32 v2, s66
	ds_read_b32 v2, v2
	s_waitcnt lgkmcnt(0)
	v_add_u32_e32 v12, v12, v2
	s_or_b64 exec, exec, s[78:79]
	s_and_saveexec_b64 s[78:79], s[52:53]
	s_cbranch_execz .LBB132_78
.LBB132_110:                            ;   in Loop: Header=BB132_50 Depth=1
	v_mov_b32_e32 v2, s68
	ds_read_b32 v2, v2
	s_waitcnt lgkmcnt(0)
	v_add_u32_e32 v12, v12, v2
	s_or_b64 exec, exec, s[78:79]
	s_and_saveexec_b64 s[78:79], s[54:55]
	s_cbranch_execz .LBB132_79
.LBB132_111:                            ;   in Loop: Header=BB132_50 Depth=1
	v_mov_b32_e32 v2, s69
	ds_read_b32 v2, v2
	s_waitcnt lgkmcnt(0)
	v_add_u32_e32 v12, v12, v2
	s_or_b64 exec, exec, s[78:79]
	s_and_saveexec_b64 s[78:79], s[56:57]
	s_cbranch_execz .LBB132_80
.LBB132_112:                            ;   in Loop: Header=BB132_50 Depth=1
	v_mov_b32_e32 v2, s33
	ds_read_b32 v2, v2
	s_waitcnt lgkmcnt(0)
	v_add_u32_e32 v12, v12, v2
	s_or_b64 exec, exec, s[78:79]
	s_and_saveexec_b64 s[78:79], s[58:59]
	s_cbranch_execz .LBB132_81
.LBB132_113:                            ;   in Loop: Header=BB132_50 Depth=1
	v_mov_b32_e32 v2, s67
	ds_read_b32 v2, v2
	s_waitcnt lgkmcnt(0)
	v_add_u32_e32 v12, v12, v2
	s_or_b64 exec, exec, s[78:79]
	v_ashrrev_i32_e32 v13, 31, v12
	s_and_saveexec_b64 s[78:79], s[64:65]
	s_cbranch_execz .LBB132_82
.LBB132_114:                            ;   in Loop: Header=BB132_50 Depth=1
	v_add3_u32 v2, v6, -1, v12
	v_add_u32_e32 v16, v6, v12
	v_lshl_add_u32 v2, v2, 3, 0
	v_lshl_add_u32 v16, v16, 3, 0
	v_add_u32_e32 v16, 0xfff8, v16
	ds_write_b64 v2, v[8:9]
	ds_write2_b32 v16, v10, v11 offset1:1
	s_or_b64 exec, exec, s[78:79]
	s_and_saveexec_b64 s[64:65], vcc
	s_cbranch_execz .LBB132_49
.LBB132_115:                            ;   in Loop: Header=BB132_50 Depth=1
	v_mov_b32_e32 v2, s80
	ds_write_b64 v2, v[12:13]
	s_branch .LBB132_49
.LBB132_116:
	s_or_b64 exec, exec, s[76:77]
	v_readlane_b32 s0, v40, 4
	v_readlane_b32 s1, v40, 5
	s_lshl_b64 s[0:1], s[0:1], 3
	v_readlane_b32 s2, v40, 0
	v_readlane_b32 s3, v40, 1
	s_add_u32 s4, s2, s0
	s_addc_u32 s5, s3, s1
	s_load_dwordx4 s[0:3], s[4:5], 0x0
	v_mov_b32_e32 v1, 0
	s_waitcnt lgkmcnt(0)
	s_sub_u32 s4, s2, s0
	s_subb_u32 s5, s3, s1
	v_cmp_gt_i64_e32 vcc, s[4:5], v[0:1]
	s_and_saveexec_b64 s[6:7], vcc
	s_cbranch_execz .LBB132_126
; %bb.117:
	v_readlane_b32 s8, v40, 6
	v_readlane_b32 s10, v40, 8
	;; [unrolled: 1-line block ×3, first 2 shown]
	s_sub_u32 s8, s0, s10
	s_subb_u32 s9, s1, 0
	s_and_b32 s6, s4, 7
	s_sub_u32 s0, s0, s2
	s_mov_b32 s7, 0
	s_subb_u32 s1, s1, s3
	s_and_b32 s10, s4, -8
	s_cmp_lg_u64 s[6:7], 0
	v_cmp_lt_u64_e64 s[0:1], s[0:1], -7
	s_cselect_b64 s[2:3], -1, 0
	v_readlane_b32 s11, v40, 9
	v_cndmask_b32_e64 v2, 0, 1, s[0:1]
	v_cmp_ne_u32_e64 s[0:1], 1, v2
	v_cndmask_b32_e64 v2, 0, 1, s[2:3]
	s_mov_b32 s11, s5
	s_mov_b64 s[12:13], 0
	v_cmp_ne_u32_e64 s[2:3], 1, v2
	s_mov_b64 s[14:15], 0x400
	s_branch .LBB132_119
.LBB132_118:                            ;   in Loop: Header=BB132_119 Depth=1
	v_readlane_b32 s16, v40, 2
	v_lshl_add_u64 v[0:1], v[0:1], 0, s[14:15]
	v_readlane_b32 s17, v40, 3
	v_cmp_le_i64_e32 vcc, s[4:5], v[0:1]
	s_or_b64 s[12:13], vcc, s[12:13]
	s_waitcnt lgkmcnt(1)
	v_lshl_add_u64 v[4:5], v[6:7], 3, s[16:17]
	s_waitcnt lgkmcnt(0)
	global_store_dwordx2 v[4:5], v[2:3], off
	s_andn2_b64 exec, exec, s[12:13]
	s_cbranch_execz .LBB132_126
.LBB132_119:                            ; =>This Loop Header: Depth=1
                                        ;     Child Loop BB132_121 Depth 2
                                        ;     Child Loop BB132_125 Depth 2
	v_lshl_add_u32 v2, v0, 3, 0
	v_add_u32_e32 v3, 0x10000, v2
	ds_read_b64 v[4:5], v2
	ds_read2_b32 v[2:3], v3 offset1:1
	s_and_b64 vcc, exec, s[0:1]
	v_mov_b64_e32 v[6:7], s[8:9]
	s_mov_b64 s[16:17], 0
	s_cbranch_vccnz .LBB132_123
; %bb.120:                              ;   in Loop: Header=BB132_119 Depth=1
	s_mov_b32 s18, 0
	v_mov_b64_e32 v[6:7], s[8:9]
.LBB132_121:                            ;   Parent Loop BB132_119 Depth=1
                                        ; =>  This Inner Loop Header: Depth=2
	v_mov_b32_e32 v20, s18
	ds_read2_b64 v[8:11], v20 offset1:1
	ds_read2_b64 v[12:15], v20 offset0:2 offset1:3
	ds_read2_b64 v[16:19], v20 offset0:4 offset1:5
	ds_read2_b64 v[20:23], v20 offset0:6 offset1:7
	v_mov_b32_e32 v25, s7
	s_waitcnt lgkmcnt(3)
	v_cmp_gt_i64_e32 vcc, v[4:5], v[8:9]
	v_mov_b32_e32 v27, s7
	v_mov_b32_e32 v29, s7
	v_cndmask_b32_e64 v24, 0, 1, vcc
	v_cmp_gt_i64_e32 vcc, v[4:5], v[10:11]
	v_lshl_add_u64 v[6:7], v[6:7], 0, v[24:25]
	v_mov_b32_e32 v31, s7
	v_cndmask_b32_e64 v26, 0, 1, vcc
	s_waitcnt lgkmcnt(2)
	v_cmp_gt_i64_e32 vcc, v[4:5], v[12:13]
	v_lshl_add_u64 v[6:7], v[6:7], 0, v[26:27]
	v_mov_b32_e32 v33, s7
	v_cndmask_b32_e64 v28, 0, 1, vcc
	v_cmp_gt_i64_e32 vcc, v[4:5], v[14:15]
	v_lshl_add_u64 v[6:7], v[6:7], 0, v[28:29]
	v_mov_b32_e32 v35, s7
	v_cndmask_b32_e64 v30, 0, 1, vcc
	s_waitcnt lgkmcnt(1)
	v_cmp_gt_i64_e32 vcc, v[4:5], v[16:17]
	v_lshl_add_u64 v[6:7], v[6:7], 0, v[30:31]
	v_mov_b32_e32 v37, s7
	v_cndmask_b32_e64 v32, 0, 1, vcc
	v_cmp_gt_i64_e32 vcc, v[4:5], v[18:19]
	v_lshl_add_u64 v[6:7], v[6:7], 0, v[32:33]
	s_add_u32 s16, s16, 8
	v_cndmask_b32_e64 v34, 0, 1, vcc
	s_waitcnt lgkmcnt(0)
	v_cmp_gt_i64_e32 vcc, v[4:5], v[20:21]
	v_lshl_add_u64 v[6:7], v[6:7], 0, v[34:35]
	v_mov_b32_e32 v39, s7
	v_cndmask_b32_e64 v36, 0, 1, vcc
	v_cmp_gt_i64_e32 vcc, v[4:5], v[22:23]
	s_addc_u32 s17, s17, 0
	s_add_i32 s18, s18, 64
	v_cndmask_b32_e64 v38, 0, 1, vcc
	v_lshl_add_u64 v[6:7], v[6:7], 0, v[36:37]
	s_cmp_eq_u64 s[10:11], s[16:17]
	v_lshl_add_u64 v[6:7], v[6:7], 0, v[38:39]
	s_cbranch_scc0 .LBB132_121
; %bb.122:                              ;   in Loop: Header=BB132_119 Depth=1
	s_mov_b64 s[16:17], s[10:11]
.LBB132_123:                            ;   in Loop: Header=BB132_119 Depth=1
	s_and_b64 vcc, exec, s[2:3]
	s_cbranch_vccnz .LBB132_118
; %bb.124:                              ;   in Loop: Header=BB132_119 Depth=1
	s_lshl_b32 s16, s16, 3
	s_add_i32 s18, s16, 0
	s_mov_b64 s[16:17], s[6:7]
.LBB132_125:                            ;   Parent Loop BB132_119 Depth=1
                                        ; =>  This Inner Loop Header: Depth=2
	v_mov_b32_e32 v8, s18
	ds_read_b64 v[10:11], v8
	s_add_i32 s18, s18, 8
	s_add_u32 s16, s16, -1
	v_mov_b32_e32 v9, s7
	s_addc_u32 s17, s17, -1
	s_waitcnt lgkmcnt(0)
	v_cmp_gt_i64_e32 vcc, v[4:5], v[10:11]
	s_cmp_lg_u64 s[16:17], 0
	s_nop 0
	v_cndmask_b32_e64 v8, 0, 1, vcc
	v_lshl_add_u64 v[6:7], v[6:7], 0, v[8:9]
	s_cbranch_scc1 .LBB132_125
	s_branch .LBB132_118
.LBB132_126:
	s_endpgm
	.section	.rodata,"a",@progbits
	.p2align	6, 0x0
	.amdhsa_kernel _ZN9rocsparseL41csrgemm_numeric_fill_block_per_row_kernelILj1024ELj64ELj8192ELj137ELj32Ell21rocsparse_complex_numIfEEEvT5_PKS3_S5_NS_24const_host_device_scalarIT6_EEPKT4_S5_PKS7_SB_S5_SD_S8_SB_S5_SD_SB_S5_PS7_21rocsparse_index_base_SF_SF_SF_bbb
		.amdhsa_group_segment_fixed_size 0
		.amdhsa_private_segment_fixed_size 0
		.amdhsa_kernarg_size 156
		.amdhsa_user_sgpr_count 2
		.amdhsa_user_sgpr_dispatch_ptr 0
		.amdhsa_user_sgpr_queue_ptr 0
		.amdhsa_user_sgpr_kernarg_segment_ptr 1
		.amdhsa_user_sgpr_dispatch_id 0
		.amdhsa_user_sgpr_kernarg_preload_length 0
		.amdhsa_user_sgpr_kernarg_preload_offset 0
		.amdhsa_user_sgpr_private_segment_size 0
		.amdhsa_uses_dynamic_stack 0
		.amdhsa_enable_private_segment 0
		.amdhsa_system_sgpr_workgroup_id_x 1
		.amdhsa_system_sgpr_workgroup_id_y 0
		.amdhsa_system_sgpr_workgroup_id_z 0
		.amdhsa_system_sgpr_workgroup_info 0
		.amdhsa_system_vgpr_workitem_id 0
		.amdhsa_next_free_vgpr 41
		.amdhsa_next_free_sgpr 100
		.amdhsa_accum_offset 44
		.amdhsa_reserve_vcc 1
		.amdhsa_float_round_mode_32 0
		.amdhsa_float_round_mode_16_64 0
		.amdhsa_float_denorm_mode_32 3
		.amdhsa_float_denorm_mode_16_64 3
		.amdhsa_dx10_clamp 1
		.amdhsa_ieee_mode 1
		.amdhsa_fp16_overflow 0
		.amdhsa_tg_split 0
		.amdhsa_exception_fp_ieee_invalid_op 0
		.amdhsa_exception_fp_denorm_src 0
		.amdhsa_exception_fp_ieee_div_zero 0
		.amdhsa_exception_fp_ieee_overflow 0
		.amdhsa_exception_fp_ieee_underflow 0
		.amdhsa_exception_fp_ieee_inexact 0
		.amdhsa_exception_int_div_zero 0
	.end_amdhsa_kernel
	.section	.text._ZN9rocsparseL41csrgemm_numeric_fill_block_per_row_kernelILj1024ELj64ELj8192ELj137ELj32Ell21rocsparse_complex_numIfEEEvT5_PKS3_S5_NS_24const_host_device_scalarIT6_EEPKT4_S5_PKS7_SB_S5_SD_S8_SB_S5_SD_SB_S5_PS7_21rocsparse_index_base_SF_SF_SF_bbb,"axG",@progbits,_ZN9rocsparseL41csrgemm_numeric_fill_block_per_row_kernelILj1024ELj64ELj8192ELj137ELj32Ell21rocsparse_complex_numIfEEEvT5_PKS3_S5_NS_24const_host_device_scalarIT6_EEPKT4_S5_PKS7_SB_S5_SD_S8_SB_S5_SD_SB_S5_PS7_21rocsparse_index_base_SF_SF_SF_bbb,comdat
.Lfunc_end132:
	.size	_ZN9rocsparseL41csrgemm_numeric_fill_block_per_row_kernelILj1024ELj64ELj8192ELj137ELj32Ell21rocsparse_complex_numIfEEEvT5_PKS3_S5_NS_24const_host_device_scalarIT6_EEPKT4_S5_PKS7_SB_S5_SD_S8_SB_S5_SD_SB_S5_PS7_21rocsparse_index_base_SF_SF_SF_bbb, .Lfunc_end132-_ZN9rocsparseL41csrgemm_numeric_fill_block_per_row_kernelILj1024ELj64ELj8192ELj137ELj32Ell21rocsparse_complex_numIfEEEvT5_PKS3_S5_NS_24const_host_device_scalarIT6_EEPKT4_S5_PKS7_SB_S5_SD_S8_SB_S5_SD_SB_S5_PS7_21rocsparse_index_base_SF_SF_SF_bbb
                                        ; -- End function
	.set _ZN9rocsparseL41csrgemm_numeric_fill_block_per_row_kernelILj1024ELj64ELj8192ELj137ELj32Ell21rocsparse_complex_numIfEEEvT5_PKS3_S5_NS_24const_host_device_scalarIT6_EEPKT4_S5_PKS7_SB_S5_SD_S8_SB_S5_SD_SB_S5_PS7_21rocsparse_index_base_SF_SF_SF_bbb.num_vgpr, 41
	.set _ZN9rocsparseL41csrgemm_numeric_fill_block_per_row_kernelILj1024ELj64ELj8192ELj137ELj32Ell21rocsparse_complex_numIfEEEvT5_PKS3_S5_NS_24const_host_device_scalarIT6_EEPKT4_S5_PKS7_SB_S5_SD_S8_SB_S5_SD_SB_S5_PS7_21rocsparse_index_base_SF_SF_SF_bbb.num_agpr, 0
	.set _ZN9rocsparseL41csrgemm_numeric_fill_block_per_row_kernelILj1024ELj64ELj8192ELj137ELj32Ell21rocsparse_complex_numIfEEEvT5_PKS3_S5_NS_24const_host_device_scalarIT6_EEPKT4_S5_PKS7_SB_S5_SD_S8_SB_S5_SD_SB_S5_PS7_21rocsparse_index_base_SF_SF_SF_bbb.numbered_sgpr, 100
	.set _ZN9rocsparseL41csrgemm_numeric_fill_block_per_row_kernelILj1024ELj64ELj8192ELj137ELj32Ell21rocsparse_complex_numIfEEEvT5_PKS3_S5_NS_24const_host_device_scalarIT6_EEPKT4_S5_PKS7_SB_S5_SD_S8_SB_S5_SD_SB_S5_PS7_21rocsparse_index_base_SF_SF_SF_bbb.num_named_barrier, 0
	.set _ZN9rocsparseL41csrgemm_numeric_fill_block_per_row_kernelILj1024ELj64ELj8192ELj137ELj32Ell21rocsparse_complex_numIfEEEvT5_PKS3_S5_NS_24const_host_device_scalarIT6_EEPKT4_S5_PKS7_SB_S5_SD_S8_SB_S5_SD_SB_S5_PS7_21rocsparse_index_base_SF_SF_SF_bbb.private_seg_size, 0
	.set _ZN9rocsparseL41csrgemm_numeric_fill_block_per_row_kernelILj1024ELj64ELj8192ELj137ELj32Ell21rocsparse_complex_numIfEEEvT5_PKS3_S5_NS_24const_host_device_scalarIT6_EEPKT4_S5_PKS7_SB_S5_SD_S8_SB_S5_SD_SB_S5_PS7_21rocsparse_index_base_SF_SF_SF_bbb.uses_vcc, 1
	.set _ZN9rocsparseL41csrgemm_numeric_fill_block_per_row_kernelILj1024ELj64ELj8192ELj137ELj32Ell21rocsparse_complex_numIfEEEvT5_PKS3_S5_NS_24const_host_device_scalarIT6_EEPKT4_S5_PKS7_SB_S5_SD_S8_SB_S5_SD_SB_S5_PS7_21rocsparse_index_base_SF_SF_SF_bbb.uses_flat_scratch, 0
	.set _ZN9rocsparseL41csrgemm_numeric_fill_block_per_row_kernelILj1024ELj64ELj8192ELj137ELj32Ell21rocsparse_complex_numIfEEEvT5_PKS3_S5_NS_24const_host_device_scalarIT6_EEPKT4_S5_PKS7_SB_S5_SD_S8_SB_S5_SD_SB_S5_PS7_21rocsparse_index_base_SF_SF_SF_bbb.has_dyn_sized_stack, 0
	.set _ZN9rocsparseL41csrgemm_numeric_fill_block_per_row_kernelILj1024ELj64ELj8192ELj137ELj32Ell21rocsparse_complex_numIfEEEvT5_PKS3_S5_NS_24const_host_device_scalarIT6_EEPKT4_S5_PKS7_SB_S5_SD_S8_SB_S5_SD_SB_S5_PS7_21rocsparse_index_base_SF_SF_SF_bbb.has_recursion, 0
	.set _ZN9rocsparseL41csrgemm_numeric_fill_block_per_row_kernelILj1024ELj64ELj8192ELj137ELj32Ell21rocsparse_complex_numIfEEEvT5_PKS3_S5_NS_24const_host_device_scalarIT6_EEPKT4_S5_PKS7_SB_S5_SD_S8_SB_S5_SD_SB_S5_PS7_21rocsparse_index_base_SF_SF_SF_bbb.has_indirect_call, 0
	.section	.AMDGPU.csdata,"",@progbits
; Kernel info:
; codeLenInByte = 4916
; TotalNumSgprs: 106
; NumVgprs: 41
; NumAgprs: 0
; TotalNumVgprs: 41
; ScratchSize: 0
; MemoryBound: 0
; FloatMode: 240
; IeeeMode: 1
; LDSByteSize: 0 bytes/workgroup (compile time only)
; SGPRBlocks: 13
; VGPRBlocks: 5
; NumSGPRsForWavesPerEU: 106
; NumVGPRsForWavesPerEU: 41
; AccumOffset: 44
; Occupancy: 7
; WaveLimiterHint : 1
; COMPUTE_PGM_RSRC2:SCRATCH_EN: 0
; COMPUTE_PGM_RSRC2:USER_SGPR: 2
; COMPUTE_PGM_RSRC2:TRAP_HANDLER: 0
; COMPUTE_PGM_RSRC2:TGID_X_EN: 1
; COMPUTE_PGM_RSRC2:TGID_Y_EN: 0
; COMPUTE_PGM_RSRC2:TGID_Z_EN: 0
; COMPUTE_PGM_RSRC2:TIDIG_COMP_CNT: 0
; COMPUTE_PGM_RSRC3_GFX90A:ACCUM_OFFSET: 10
; COMPUTE_PGM_RSRC3_GFX90A:TG_SPLIT: 0
	.section	.text._ZN9rocsparseL41csrgemm_numeric_fill_block_per_row_kernelILj1024ELj64ELj8192ELj137ELj64Ell21rocsparse_complex_numIfEEEvT5_PKS3_S5_NS_24const_host_device_scalarIT6_EEPKT4_S5_PKS7_SB_S5_SD_S8_SB_S5_SD_SB_S5_PS7_21rocsparse_index_base_SF_SF_SF_bbb,"axG",@progbits,_ZN9rocsparseL41csrgemm_numeric_fill_block_per_row_kernelILj1024ELj64ELj8192ELj137ELj64Ell21rocsparse_complex_numIfEEEvT5_PKS3_S5_NS_24const_host_device_scalarIT6_EEPKT4_S5_PKS7_SB_S5_SD_S8_SB_S5_SD_SB_S5_PS7_21rocsparse_index_base_SF_SF_SF_bbb,comdat
	.globl	_ZN9rocsparseL41csrgemm_numeric_fill_block_per_row_kernelILj1024ELj64ELj8192ELj137ELj64Ell21rocsparse_complex_numIfEEEvT5_PKS3_S5_NS_24const_host_device_scalarIT6_EEPKT4_S5_PKS7_SB_S5_SD_S8_SB_S5_SD_SB_S5_PS7_21rocsparse_index_base_SF_SF_SF_bbb ; -- Begin function _ZN9rocsparseL41csrgemm_numeric_fill_block_per_row_kernelILj1024ELj64ELj8192ELj137ELj64Ell21rocsparse_complex_numIfEEEvT5_PKS3_S5_NS_24const_host_device_scalarIT6_EEPKT4_S5_PKS7_SB_S5_SD_S8_SB_S5_SD_SB_S5_PS7_21rocsparse_index_base_SF_SF_SF_bbb
	.p2align	8
	.type	_ZN9rocsparseL41csrgemm_numeric_fill_block_per_row_kernelILj1024ELj64ELj8192ELj137ELj64Ell21rocsparse_complex_numIfEEEvT5_PKS3_S5_NS_24const_host_device_scalarIT6_EEPKT4_S5_PKS7_SB_S5_SD_S8_SB_S5_SD_SB_S5_PS7_21rocsparse_index_base_SF_SF_SF_bbb,@function
_ZN9rocsparseL41csrgemm_numeric_fill_block_per_row_kernelILj1024ELj64ELj8192ELj137ELj64Ell21rocsparse_complex_numIfEEEvT5_PKS3_S5_NS_24const_host_device_scalarIT6_EEPKT4_S5_PKS7_SB_S5_SD_S8_SB_S5_SD_SB_S5_PS7_21rocsparse_index_base_SF_SF_SF_bbb: ; @_ZN9rocsparseL41csrgemm_numeric_fill_block_per_row_kernelILj1024ELj64ELj8192ELj137ELj64Ell21rocsparse_complex_numIfEEEvT5_PKS3_S5_NS_24const_host_device_scalarIT6_EEPKT4_S5_PKS7_SB_S5_SD_S8_SB_S5_SD_SB_S5_PS7_21rocsparse_index_base_SF_SF_SF_bbb
; %bb.0:
	s_load_dwordx2 s[40:41], s[0:1], 0x70
	s_load_dwordx4 s[20:23], s[0:1], 0x50
	s_load_dword s3, s[0:1], 0x98
	s_load_dwordx4 s[28:31], s[0:1], 0x8
	s_load_dwordx8 s[8:15], s[0:1], 0x20
	s_load_dwordx2 s[34:35], s[0:1], 0x80
	s_load_dwordx4 s[36:39], s[0:1], 0x88
	s_waitcnt lgkmcnt(0)
	s_bitcmp1_b32 s3, 0
	s_cselect_b64 s[48:49], -1, 0
	s_bitcmp1_b32 s3, 16
	s_cselect_b64 s[4:5], -1, 0
	s_xor_b64 s[4:5], s[4:5], -1
	v_cndmask_b32_e64 v1, 0, 1, s[4:5]
	s_mov_b32 s7, 0
	s_bitcmp0_b32 s3, 0
	v_cmp_ne_u32_e64 s[4:5], 1, v1
	s_mov_b32 s59, 0
	s_cbranch_scc1 .LBB133_5
; %bb.1:
	s_load_dwordx2 s[6:7], s[0:1], 0x18
	s_and_b64 vcc, exec, s[4:5]
	s_waitcnt lgkmcnt(0)
	s_mov_b32 s59, s6
	s_cbranch_vccnz .LBB133_3
; %bb.2:
	s_load_dword s59, s[6:7], 0x0
.LBB133_3:
	s_and_b64 vcc, exec, s[4:5]
	s_cbranch_vccnz .LBB133_5
; %bb.4:
	s_load_dword s7, s[6:7], 0x4
.LBB133_5:
	s_nop 0
	s_load_dwordx4 s[16:19], s[0:1], 0x60
	s_load_dwordx4 s[24:27], s[0:1], 0x40
	s_bitcmp1_b32 s3, 8
	s_cselect_b64 s[46:47], -1, 0
	s_bfe_u32 s3, s3, 0x10008
	s_mov_b32 s33, 0
	s_cmp_eq_u32 s3, 0
	s_mov_b32 s58, 0
	s_cbranch_scc1 .LBB133_11
; %bb.6:
	s_and_b64 vcc, exec, s[4:5]
	s_mov_b32 s33, s20
	s_cbranch_vccnz .LBB133_8
; %bb.7:
	s_load_dword s33, s[20:21], 0x0
.LBB133_8:
	s_and_b64 vcc, exec, s[4:5]
	s_cbranch_vccnz .LBB133_10
; %bb.9:
	s_load_dword s21, s[20:21], 0x4
.LBB133_10:
	s_waitcnt lgkmcnt(0)
	s_mov_b32 s58, s21
.LBB133_11:
	s_load_dwordx2 s[42:43], s[0:1], 0x0
	v_lshl_add_u32 v1, v0, 3, 0
	v_add_u32_e32 v7, 0x10000, v1
	v_mov_b32_e32 v6, 0
	ds_write2_b32 v7, v6, v6 offset1:1
	s_waitcnt lgkmcnt(0)
	v_mov_b64_e32 v[2:3], s[42:43]
	v_mov_b64_e32 v[4:5], s[42:43]
	ds_write2st64_b64 v1, v[2:3], v[4:5] offset1:16
	v_add_u32_e32 v2, 0x2000, v7
	v_add_u32_e32 v4, 0x4000, v7
	ds_write2_b32 v2, v6, v6 offset1:1
	v_mov_b64_e32 v[2:3], s[42:43]
	ds_write2_b32 v4, v6, v6 offset1:1
	v_mov_b64_e32 v[4:5], s[42:43]
	ds_write2st64_b64 v1, v[2:3], v[4:5] offset0:32 offset1:48
	v_add_u32_e32 v2, 0x6000, v7
	v_add_u32_e32 v4, 0x8000, v7
	ds_write2_b32 v2, v6, v6 offset1:1
	v_mov_b64_e32 v[2:3], s[42:43]
	ds_write2_b32 v4, v6, v6 offset1:1
	v_mov_b64_e32 v[4:5], s[42:43]
	ds_write2st64_b64 v1, v[2:3], v[4:5] offset0:64 offset1:80
	;; [unrolled: 7-line block ×3, first 2 shown]
	v_add_u32_e32 v2, 0xe000, v7
	ds_write2_b32 v2, v6, v6 offset1:1
	s_waitcnt lgkmcnt(0)
	s_barrier
	s_load_dwordx2 s[0:1], s[28:29], 0x0
	s_mov_b32 s3, 0
	v_lshrrev_b32_e32 v20, 6, v0
	s_waitcnt lgkmcnt(0)
	s_lshl_b64 s[0:1], s[0:1], 3
	s_add_u32 s4, s30, s0
	s_addc_u32 s5, s31, s1
	s_lshl_b64 s[0:1], s[2:3], 3
	s_add_u32 s0, s4, s0
	s_addc_u32 s1, s5, s1
	s_load_dwordx2 s[44:45], s[0:1], 0x0
	s_andn2_b64 vcc, exec, s[48:49]
	s_cbranch_vccnz .LBB133_31
; %bb.12:
	s_waitcnt lgkmcnt(0)
	s_lshl_b64 s[0:1], s[44:45], 3
	s_add_u32 s0, s8, s0
	s_addc_u32 s1, s9, s1
	s_load_dwordx4 s[28:31], s[0:1], 0x0
	v_subrev_co_u32_e32 v2, vcc, s36, v20
	s_nop 1
	v_subb_co_u32_e64 v3, s[0:1], 0, 0, vcc
	s_waitcnt lgkmcnt(0)
	s_sub_u32 s0, s30, s36
	s_subb_u32 s1, s31, 0
	v_lshl_add_u64 v[2:3], s[28:29], 0, v[2:3]
	v_cmp_gt_i64_e32 vcc, s[0:1], v[2:3]
	s_and_saveexec_b64 s[2:3], vcc
	s_cbranch_execz .LBB133_30
; %bb.13:
	v_and_b32_e32 v4, 63, v0
	v_subrev_co_u32_e32 v4, vcc, s37, v4
	s_mov_b32 s6, s37
	s_nop 0
	v_subb_co_u32_e64 v5, s[4:5], 0, 0, vcc
	s_mov_b64 s[4:5], 0
	s_movk_i32 s37, 0x89
	s_branch .LBB133_15
.LBB133_14:                             ;   in Loop: Header=BB133_15 Depth=1
	s_or_b64 exec, exec, s[8:9]
	v_lshl_add_u64 v[2:3], v[2:3], 0, 16
	v_cmp_le_i64_e32 vcc, s[0:1], v[2:3]
	s_or_b64 s[4:5], vcc, s[4:5]
	s_andn2_b64 exec, exec, s[4:5]
	s_cbranch_execz .LBB133_30
.LBB133_15:                             ; =>This Loop Header: Depth=1
                                        ;     Child Loop BB133_19 Depth 2
                                        ;       Child Loop BB133_22 Depth 3
	v_lshl_add_u64 v[6:7], v[2:3], 3, s[10:11]
	global_load_dwordx2 v[6:7], v[6:7], off
	s_waitcnt vmcnt(0)
	v_subrev_co_u32_e32 v6, vcc, s36, v6
	s_nop 1
	v_subbrev_co_u32_e32 v7, vcc, 0, v7, vcc
	v_lshl_add_u64 v[6:7], v[6:7], 3, s[14:15]
	global_load_dwordx4 v[8:11], v[6:7], off
	s_waitcnt vmcnt(0)
	v_subrev_co_u32_e32 v6, vcc, s6, v10
	s_nop 1
	v_subbrev_co_u32_e32 v7, vcc, 0, v11, vcc
	v_lshl_add_u64 v[8:9], v[8:9], 0, v[4:5]
	v_cmp_lt_i64_e32 vcc, v[8:9], v[6:7]
	s_and_saveexec_b64 s[8:9], vcc
	s_cbranch_execz .LBB133_14
; %bb.16:                               ;   in Loop: Header=BB133_15 Depth=1
	v_lshl_add_u64 v[10:11], v[2:3], 3, s[12:13]
	global_load_dwordx2 v[10:11], v[10:11], off
	s_mov_b64 s[20:21], 0
	s_waitcnt vmcnt(0)
	v_mul_f32_e64 v21, v11, -s7
	v_mul_f32_e32 v22, s59, v11
	v_fmac_f32_e32 v21, s59, v10
	v_fmac_f32_e32 v22, s7, v10
	s_branch .LBB133_19
.LBB133_17:                             ;   in Loop: Header=BB133_19 Depth=2
	s_or_b64 exec, exec, s[30:31]
.LBB133_18:                             ;   in Loop: Header=BB133_19 Depth=2
	s_or_b64 exec, exec, s[28:29]
	s_waitcnt vmcnt(0)
	v_mul_f32_e64 v13, v11, -v22
	v_mul_f32_e32 v11, v21, v11
	v_fmac_f32_e32 v13, v21, v10
	v_fmac_f32_e32 v11, v22, v10
	v_lshl_add_u32 v10, v12, 3, 0
	v_add_u32_e32 v10, 0x10000, v10
	ds_add_f32 v10, v13
	ds_add_f32 v10, v11 offset:4
	v_lshl_add_u64 v[8:9], v[8:9], 0, 64
	v_cmp_ge_i64_e32 vcc, v[8:9], v[6:7]
	s_or_b64 s[20:21], vcc, s[20:21]
	s_andn2_b64 exec, exec, s[20:21]
	s_cbranch_execz .LBB133_14
.LBB133_19:                             ;   Parent Loop BB133_15 Depth=1
                                        ; =>  This Loop Header: Depth=2
                                        ;       Child Loop BB133_22 Depth 3
	v_lshlrev_b64 v[10:11], 3, v[8:9]
	v_lshl_add_u64 v[12:13], s[24:25], 0, v[10:11]
	global_load_dwordx2 v[12:13], v[12:13], off
	v_lshl_add_u64 v[10:11], s[26:27], 0, v[10:11]
	global_load_dwordx2 v[10:11], v[10:11], off
	s_waitcnt vmcnt(1)
	v_subrev_co_u32_e32 v14, vcc, s6, v12
	v_mul_lo_u32 v12, v14, s37
	v_and_b32_e32 v12, 0x1fff, v12
	v_lshl_add_u32 v23, v12, 3, 0
	ds_read_b64 v[18:19], v23
	v_subbrev_co_u32_e32 v15, vcc, 0, v13, vcc
	s_waitcnt lgkmcnt(0)
	v_cmp_ne_u64_e32 vcc, v[18:19], v[14:15]
	s_and_saveexec_b64 s[28:29], vcc
	s_cbranch_execz .LBB133_18
; %bb.20:                               ;   in Loop: Header=BB133_19 Depth=2
	s_mov_b64 s[30:31], 0
                                        ; implicit-def: $sgpr48_sgpr49
                                        ; implicit-def: $sgpr50_sgpr51
	s_branch .LBB133_22
.LBB133_21:                             ;   in Loop: Header=BB133_22 Depth=3
	s_or_b64 exec, exec, s[56:57]
	s_and_b64 s[52:53], exec, s[54:55]
	s_or_b64 s[30:31], s[52:53], s[30:31]
	s_andn2_b64 s[48:49], s[48:49], exec
	s_and_b64 s[52:53], s[50:51], exec
	s_or_b64 s[48:49], s[48:49], s[52:53]
	s_andn2_b64 exec, exec, s[30:31]
	s_cbranch_execz .LBB133_28
.LBB133_22:                             ;   Parent Loop BB133_15 Depth=1
                                        ;     Parent Loop BB133_19 Depth=2
                                        ; =>    This Inner Loop Header: Depth=3
	v_mov_b64_e32 v[16:17], v[12:13]
	v_cmp_ne_u64_e32 vcc, s[42:43], v[18:19]
	s_mov_b64 s[52:53], 0
                                        ; implicit-def: $vgpr12_vgpr13
	s_and_saveexec_b64 s[54:55], vcc
	s_xor_b64 s[54:55], exec, s[54:55]
; %bb.23:                               ;   in Loop: Header=BB133_22 Depth=3
	v_add_u32_e32 v12, 1, v16
	s_mov_b64 s[52:53], exec
	v_and_b32_e32 v12, 0x1fff, v12
                                        ; implicit-def: $vgpr23
; %bb.24:                               ;   in Loop: Header=BB133_22 Depth=3
	s_andn2_saveexec_b64 s[54:55], s[54:55]
	s_cbranch_execz .LBB133_26
; %bb.25:                               ;   in Loop: Header=BB133_22 Depth=3
	v_mov_b64_e32 v[12:13], s[42:43]
	ds_cmpst_rtn_b64 v[12:13], v23, v[12:13], v[14:15]
	s_andn2_b64 s[52:53], s[52:53], exec
	s_waitcnt lgkmcnt(0)
	v_cmp_ne_u64_e32 vcc, s[42:43], v[12:13]
	s_and_b64 s[56:57], vcc, exec
	s_or_b64 s[52:53], s[52:53], s[56:57]
	v_mov_b64_e32 v[12:13], v[16:17]
.LBB133_26:                             ;   in Loop: Header=BB133_22 Depth=3
	s_or_b64 exec, exec, s[54:55]
	s_mov_b64 s[54:55], -1
	s_or_b64 s[50:51], s[50:51], exec
                                        ; implicit-def: $vgpr23
                                        ; implicit-def: $vgpr18_vgpr19
	s_and_saveexec_b64 s[56:57], s[52:53]
	s_cbranch_execz .LBB133_21
; %bb.27:                               ;   in Loop: Header=BB133_22 Depth=3
	v_lshl_add_u32 v23, v12, 3, 0
	ds_read_b64 v[18:19], v23
	s_andn2_b64 s[50:51], s[50:51], exec
	s_waitcnt lgkmcnt(0)
	v_cmp_eq_u64_e32 vcc, v[18:19], v[14:15]
	s_orn2_b64 s[54:55], vcc, exec
	s_branch .LBB133_21
.LBB133_28:                             ;   in Loop: Header=BB133_19 Depth=2
	s_or_b64 exec, exec, s[30:31]
	s_and_saveexec_b64 s[30:31], s[48:49]
	s_xor_b64 s[30:31], exec, s[30:31]
	s_cbranch_execz .LBB133_17
; %bb.29:                               ;   in Loop: Header=BB133_19 Depth=2
	v_mov_b32_e32 v12, v16
	s_branch .LBB133_17
.LBB133_30:
	s_or_b64 exec, exec, s[2:3]
.LBB133_31:
	s_andn2_b64 vcc, exec, s[46:47]
	s_cbranch_vccnz .LBB133_48
; %bb.32:
	s_waitcnt lgkmcnt(0)
	s_lshl_b64 s[0:1], s[44:45], 3
	s_add_u32 s0, s22, s0
	s_addc_u32 s1, s23, s1
	s_load_dwordx4 s[4:7], s[0:1], 0x0
	v_subrev_co_u32_e32 v2, vcc, s39, v0
	s_waitcnt lgkmcnt(0)
	s_sub_u32 s0, s6, s39
	v_subb_co_u32_e64 v3, s[2:3], 0, 0, vcc
	s_subb_u32 s1, s7, 0
	v_lshl_add_u64 v[2:3], s[4:5], 0, v[2:3]
	v_cmp_gt_i64_e32 vcc, s[0:1], v[2:3]
	s_and_saveexec_b64 s[2:3], vcc
	s_cbranch_execz .LBB133_47
; %bb.33:
	s_mov_b32 s26, s39
	s_mov_b64 s[4:5], 0
	s_movk_i32 s27, 0x89
	s_mov_b64 s[6:7], 0x400
	s_branch .LBB133_36
.LBB133_34:                             ;   in Loop: Header=BB133_36 Depth=1
	s_or_b64 exec, exec, s[10:11]
.LBB133_35:                             ;   in Loop: Header=BB133_36 Depth=1
	s_or_b64 exec, exec, s[8:9]
	s_waitcnt vmcnt(0)
	v_mul_f32_e64 v7, v5, -s58
	v_mul_f32_e32 v5, s33, v5
	v_fmac_f32_e32 v7, s33, v4
	v_fmac_f32_e32 v5, s58, v4
	v_lshl_add_u32 v4, v6, 3, 0
	v_add_u32_e32 v4, 0x10000, v4
	ds_add_f32 v4, v7
	ds_add_f32 v4, v5 offset:4
	v_lshl_add_u64 v[2:3], v[2:3], 0, s[6:7]
	v_cmp_le_i64_e32 vcc, s[0:1], v[2:3]
	s_or_b64 s[4:5], vcc, s[4:5]
	s_andn2_b64 exec, exec, s[4:5]
	s_cbranch_execz .LBB133_47
.LBB133_36:                             ; =>This Loop Header: Depth=1
                                        ;     Child Loop BB133_39 Depth 2
	v_lshlrev_b64 v[4:5], 3, v[2:3]
	v_lshl_add_u64 v[6:7], s[16:17], 0, v[4:5]
	global_load_dwordx2 v[6:7], v[6:7], off
	v_lshl_add_u64 v[4:5], s[18:19], 0, v[4:5]
	global_load_dwordx2 v[4:5], v[4:5], off
	s_waitcnt vmcnt(1)
	v_subrev_co_u32_e32 v8, vcc, s26, v6
	v_mul_lo_u32 v6, v8, s27
	v_and_b32_e32 v6, 0x1fff, v6
	v_lshl_add_u32 v14, v6, 3, 0
	ds_read_b64 v[12:13], v14
	v_subbrev_co_u32_e32 v9, vcc, 0, v7, vcc
	s_waitcnt lgkmcnt(0)
	v_cmp_ne_u64_e32 vcc, v[12:13], v[8:9]
	s_and_saveexec_b64 s[8:9], vcc
	s_cbranch_execz .LBB133_35
; %bb.37:                               ;   in Loop: Header=BB133_36 Depth=1
	s_mov_b64 s[10:11], 0
                                        ; implicit-def: $sgpr12_sgpr13
                                        ; implicit-def: $sgpr14_sgpr15
	s_branch .LBB133_39
.LBB133_38:                             ;   in Loop: Header=BB133_39 Depth=2
	s_or_b64 exec, exec, s[24:25]
	s_and_b64 s[20:21], exec, s[22:23]
	s_or_b64 s[10:11], s[20:21], s[10:11]
	s_andn2_b64 s[12:13], s[12:13], exec
	s_and_b64 s[20:21], s[14:15], exec
	s_or_b64 s[12:13], s[12:13], s[20:21]
	s_andn2_b64 exec, exec, s[10:11]
	s_cbranch_execz .LBB133_45
.LBB133_39:                             ;   Parent Loop BB133_36 Depth=1
                                        ; =>  This Inner Loop Header: Depth=2
	v_mov_b64_e32 v[10:11], v[6:7]
	v_cmp_ne_u64_e32 vcc, s[42:43], v[12:13]
	s_mov_b64 s[20:21], 0
                                        ; implicit-def: $vgpr6_vgpr7
	s_and_saveexec_b64 s[22:23], vcc
	s_xor_b64 s[22:23], exec, s[22:23]
; %bb.40:                               ;   in Loop: Header=BB133_39 Depth=2
	v_add_u32_e32 v6, 1, v10
	s_mov_b64 s[20:21], exec
	v_and_b32_e32 v6, 0x1fff, v6
                                        ; implicit-def: $vgpr14
; %bb.41:                               ;   in Loop: Header=BB133_39 Depth=2
	s_andn2_saveexec_b64 s[22:23], s[22:23]
	s_cbranch_execz .LBB133_43
; %bb.42:                               ;   in Loop: Header=BB133_39 Depth=2
	v_mov_b64_e32 v[6:7], s[42:43]
	ds_cmpst_rtn_b64 v[6:7], v14, v[6:7], v[8:9]
	s_andn2_b64 s[20:21], s[20:21], exec
	s_waitcnt lgkmcnt(0)
	v_cmp_ne_u64_e32 vcc, s[42:43], v[6:7]
	s_and_b64 s[24:25], vcc, exec
	s_or_b64 s[20:21], s[20:21], s[24:25]
	v_mov_b64_e32 v[6:7], v[10:11]
.LBB133_43:                             ;   in Loop: Header=BB133_39 Depth=2
	s_or_b64 exec, exec, s[22:23]
	s_mov_b64 s[22:23], -1
	s_or_b64 s[14:15], s[14:15], exec
                                        ; implicit-def: $vgpr14
                                        ; implicit-def: $vgpr12_vgpr13
	s_and_saveexec_b64 s[24:25], s[20:21]
	s_cbranch_execz .LBB133_38
; %bb.44:                               ;   in Loop: Header=BB133_39 Depth=2
	v_lshl_add_u32 v14, v6, 3, 0
	ds_read_b64 v[12:13], v14
	s_andn2_b64 s[14:15], s[14:15], exec
	s_waitcnt lgkmcnt(0)
	v_cmp_eq_u64_e32 vcc, v[12:13], v[8:9]
	s_orn2_b64 s[22:23], vcc, exec
	s_branch .LBB133_38
.LBB133_45:                             ;   in Loop: Header=BB133_36 Depth=1
	s_or_b64 exec, exec, s[10:11]
	s_and_saveexec_b64 s[10:11], s[12:13]
	s_xor_b64 s[10:11], exec, s[10:11]
	s_cbranch_execz .LBB133_34
; %bb.46:                               ;   in Loop: Header=BB133_36 Depth=1
	v_mov_b32_e32 v6, v10
	s_branch .LBB133_34
.LBB133_47:
	s_or_b64 exec, exec, s[2:3]
.LBB133_48:
	v_mbcnt_lo_u32_b32 v2, -1, 0
	v_mbcnt_hi_u32_b32 v2, -1, v2
	v_sub_u32_e32 v2, 63, v2
	s_add_i32 s33, 0, 0x20000
	s_movk_i32 s0, 0x3ff
	s_movk_i32 s2, 0x7f
	;; [unrolled: 1-line block ×15, first 2 shown]
	s_add_i32 s61, 0, 0x20078
	v_mov_b32_e32 v3, 0
	v_lshrrev_b64 v[4:5], v2, -1
	v_lshl_add_u32 v14, v20, 3, s33
	v_cmp_eq_u32_e32 vcc, s0, v0
	v_cmp_lt_u32_e64 s[0:1], 63, v0
	v_cmp_lt_u32_e64 s[2:3], s2, v0
	;; [unrolled: 1-line block ×15, first 2 shown]
	v_or_b32_e32 v15, 0xfffffc00, v0
	s_mov_b64 s[36:37], 0
	v_mov_b64_e32 v[6:7], 0
	s_add_i32 s39, 0, 0x20008
	s_add_i32 s48, 0, 0x20010
	;; [unrolled: 1-line block ×14, first 2 shown]
	v_mov_b32_e32 v16, s61
	s_movk_i32 s62, 0x1bff
	s_waitcnt lgkmcnt(0)
	s_barrier
	s_branch .LBB133_50
.LBB133_49:                             ;   in Loop: Header=BB133_50 Depth=1
	s_or_b64 exec, exec, s[30:31]
	s_waitcnt lgkmcnt(0)
	s_barrier
	ds_read_b64 v[8:9], v16
	v_add_u32_e32 v15, 0x400, v15
	v_cmp_lt_u32_e64 s[30:31], s62, v15
	s_or_b64 s[36:37], s[30:31], s[36:37]
	v_add_u32_e32 v1, 0x2000, v1
	s_waitcnt lgkmcnt(0)
	v_lshl_add_u64 v[6:7], v[8:9], 0, v[6:7]
	s_andn2_b64 exec, exec, s[36:37]
	s_cbranch_execz .LBB133_84
.LBB133_50:                             ; =>This Inner Loop Header: Depth=1
	ds_read_b64 v[8:9], v1
	v_add_u32_e32 v2, 0x10000, v1
	ds_read2_b32 v[10:11], v2 offset1:1
	s_waitcnt lgkmcnt(0)
	s_barrier
	v_cmp_gt_i64_e64 s[30:31], s[42:43], v[8:9]
	s_bcnt1_i32_b64 s46, s[30:31]
	v_mov_b32_e32 v2, s46
	v_and_b32_e32 v13, s30, v4
	v_and_b32_e32 v12, s31, v5
	v_bcnt_u32_b32 v13, v13, 0
	v_bcnt_u32_b32 v12, v12, v13
	ds_write_b64 v14, v[2:3]
	s_waitcnt lgkmcnt(0)
	s_barrier
	s_and_saveexec_b64 s[46:47], s[0:1]
	s_cbranch_execnz .LBB133_67
; %bb.51:                               ;   in Loop: Header=BB133_50 Depth=1
	s_or_b64 exec, exec, s[46:47]
	s_and_saveexec_b64 s[46:47], s[2:3]
	s_cbranch_execnz .LBB133_68
.LBB133_52:                             ;   in Loop: Header=BB133_50 Depth=1
	s_or_b64 exec, exec, s[46:47]
	s_and_saveexec_b64 s[46:47], s[4:5]
	s_cbranch_execnz .LBB133_69
.LBB133_53:                             ;   in Loop: Header=BB133_50 Depth=1
	s_or_b64 exec, exec, s[46:47]
	s_and_saveexec_b64 s[46:47], s[6:7]
	s_cbranch_execnz .LBB133_70
.LBB133_54:                             ;   in Loop: Header=BB133_50 Depth=1
	s_or_b64 exec, exec, s[46:47]
	s_and_saveexec_b64 s[46:47], s[8:9]
	s_cbranch_execnz .LBB133_71
.LBB133_55:                             ;   in Loop: Header=BB133_50 Depth=1
	s_or_b64 exec, exec, s[46:47]
	s_and_saveexec_b64 s[46:47], s[10:11]
	s_cbranch_execnz .LBB133_72
.LBB133_56:                             ;   in Loop: Header=BB133_50 Depth=1
	s_or_b64 exec, exec, s[46:47]
	s_and_saveexec_b64 s[46:47], s[12:13]
	s_cbranch_execnz .LBB133_73
.LBB133_57:                             ;   in Loop: Header=BB133_50 Depth=1
	s_or_b64 exec, exec, s[46:47]
	s_and_saveexec_b64 s[46:47], s[14:15]
	s_cbranch_execnz .LBB133_74
.LBB133_58:                             ;   in Loop: Header=BB133_50 Depth=1
	s_or_b64 exec, exec, s[46:47]
	s_and_saveexec_b64 s[46:47], s[16:17]
	s_cbranch_execnz .LBB133_75
.LBB133_59:                             ;   in Loop: Header=BB133_50 Depth=1
	s_or_b64 exec, exec, s[46:47]
	s_and_saveexec_b64 s[46:47], s[18:19]
	s_cbranch_execnz .LBB133_76
.LBB133_60:                             ;   in Loop: Header=BB133_50 Depth=1
	s_or_b64 exec, exec, s[46:47]
	s_and_saveexec_b64 s[46:47], s[20:21]
	s_cbranch_execnz .LBB133_77
.LBB133_61:                             ;   in Loop: Header=BB133_50 Depth=1
	s_or_b64 exec, exec, s[46:47]
	s_and_saveexec_b64 s[46:47], s[22:23]
	s_cbranch_execnz .LBB133_78
.LBB133_62:                             ;   in Loop: Header=BB133_50 Depth=1
	s_or_b64 exec, exec, s[46:47]
	s_and_saveexec_b64 s[46:47], s[24:25]
	s_cbranch_execnz .LBB133_79
.LBB133_63:                             ;   in Loop: Header=BB133_50 Depth=1
	s_or_b64 exec, exec, s[46:47]
	s_and_saveexec_b64 s[46:47], s[26:27]
	s_cbranch_execnz .LBB133_80
.LBB133_64:                             ;   in Loop: Header=BB133_50 Depth=1
	s_or_b64 exec, exec, s[46:47]
	s_and_saveexec_b64 s[46:47], s[28:29]
	s_cbranch_execnz .LBB133_81
.LBB133_65:                             ;   in Loop: Header=BB133_50 Depth=1
	s_or_b64 exec, exec, s[46:47]
	v_ashrrev_i32_e32 v13, 31, v12
	s_and_saveexec_b64 s[46:47], s[30:31]
	s_cbranch_execnz .LBB133_82
.LBB133_66:                             ;   in Loop: Header=BB133_50 Depth=1
	s_or_b64 exec, exec, s[46:47]
	s_and_saveexec_b64 s[30:31], vcc
	s_cbranch_execz .LBB133_49
	s_branch .LBB133_83
.LBB133_67:                             ;   in Loop: Header=BB133_50 Depth=1
	v_mov_b32_e32 v2, s33
	ds_read_b32 v2, v2
	s_waitcnt lgkmcnt(0)
	v_add_u32_e32 v12, v2, v12
	s_or_b64 exec, exec, s[46:47]
	s_and_saveexec_b64 s[46:47], s[2:3]
	s_cbranch_execz .LBB133_52
.LBB133_68:                             ;   in Loop: Header=BB133_50 Depth=1
	v_mov_b32_e32 v2, s39
	ds_read_b32 v2, v2
	s_waitcnt lgkmcnt(0)
	v_add_u32_e32 v12, v12, v2
	s_or_b64 exec, exec, s[46:47]
	s_and_saveexec_b64 s[46:47], s[4:5]
	s_cbranch_execz .LBB133_53
.LBB133_69:                             ;   in Loop: Header=BB133_50 Depth=1
	v_mov_b32_e32 v2, s48
	ds_read_b32 v2, v2
	s_waitcnt lgkmcnt(0)
	v_add_u32_e32 v12, v12, v2
	s_or_b64 exec, exec, s[46:47]
	s_and_saveexec_b64 s[46:47], s[6:7]
	s_cbranch_execz .LBB133_54
.LBB133_70:                             ;   in Loop: Header=BB133_50 Depth=1
	v_mov_b32_e32 v2, s49
	ds_read_b32 v2, v2
	s_waitcnt lgkmcnt(0)
	v_add_u32_e32 v12, v12, v2
	s_or_b64 exec, exec, s[46:47]
	s_and_saveexec_b64 s[46:47], s[8:9]
	s_cbranch_execz .LBB133_55
.LBB133_71:                             ;   in Loop: Header=BB133_50 Depth=1
	v_mov_b32_e32 v2, s50
	ds_read_b32 v2, v2
	s_waitcnt lgkmcnt(0)
	v_add_u32_e32 v12, v12, v2
	s_or_b64 exec, exec, s[46:47]
	s_and_saveexec_b64 s[46:47], s[10:11]
	s_cbranch_execz .LBB133_56
.LBB133_72:                             ;   in Loop: Header=BB133_50 Depth=1
	v_mov_b32_e32 v2, s51
	ds_read_b32 v2, v2
	s_waitcnt lgkmcnt(0)
	v_add_u32_e32 v12, v12, v2
	s_or_b64 exec, exec, s[46:47]
	s_and_saveexec_b64 s[46:47], s[12:13]
	s_cbranch_execz .LBB133_57
.LBB133_73:                             ;   in Loop: Header=BB133_50 Depth=1
	v_mov_b32_e32 v2, s52
	ds_read_b32 v2, v2
	s_waitcnt lgkmcnt(0)
	v_add_u32_e32 v12, v12, v2
	s_or_b64 exec, exec, s[46:47]
	s_and_saveexec_b64 s[46:47], s[14:15]
	s_cbranch_execz .LBB133_58
.LBB133_74:                             ;   in Loop: Header=BB133_50 Depth=1
	v_mov_b32_e32 v2, s53
	ds_read_b32 v2, v2
	s_waitcnt lgkmcnt(0)
	v_add_u32_e32 v12, v12, v2
	s_or_b64 exec, exec, s[46:47]
	s_and_saveexec_b64 s[46:47], s[16:17]
	s_cbranch_execz .LBB133_59
.LBB133_75:                             ;   in Loop: Header=BB133_50 Depth=1
	v_mov_b32_e32 v2, s54
	ds_read_b32 v2, v2
	s_waitcnt lgkmcnt(0)
	v_add_u32_e32 v12, v12, v2
	s_or_b64 exec, exec, s[46:47]
	s_and_saveexec_b64 s[46:47], s[18:19]
	s_cbranch_execz .LBB133_60
.LBB133_76:                             ;   in Loop: Header=BB133_50 Depth=1
	v_mov_b32_e32 v2, s55
	ds_read_b32 v2, v2
	s_waitcnt lgkmcnt(0)
	v_add_u32_e32 v12, v12, v2
	s_or_b64 exec, exec, s[46:47]
	s_and_saveexec_b64 s[46:47], s[20:21]
	s_cbranch_execz .LBB133_61
.LBB133_77:                             ;   in Loop: Header=BB133_50 Depth=1
	v_mov_b32_e32 v2, s56
	ds_read_b32 v2, v2
	s_waitcnt lgkmcnt(0)
	v_add_u32_e32 v12, v12, v2
	s_or_b64 exec, exec, s[46:47]
	s_and_saveexec_b64 s[46:47], s[22:23]
	s_cbranch_execz .LBB133_62
.LBB133_78:                             ;   in Loop: Header=BB133_50 Depth=1
	v_mov_b32_e32 v2, s57
	ds_read_b32 v2, v2
	s_waitcnt lgkmcnt(0)
	v_add_u32_e32 v12, v12, v2
	s_or_b64 exec, exec, s[46:47]
	s_and_saveexec_b64 s[46:47], s[24:25]
	s_cbranch_execz .LBB133_63
.LBB133_79:                             ;   in Loop: Header=BB133_50 Depth=1
	v_mov_b32_e32 v2, s58
	ds_read_b32 v2, v2
	s_waitcnt lgkmcnt(0)
	v_add_u32_e32 v12, v12, v2
	s_or_b64 exec, exec, s[46:47]
	s_and_saveexec_b64 s[46:47], s[26:27]
	s_cbranch_execz .LBB133_64
.LBB133_80:                             ;   in Loop: Header=BB133_50 Depth=1
	v_mov_b32_e32 v2, s59
	ds_read_b32 v2, v2
	s_waitcnt lgkmcnt(0)
	v_add_u32_e32 v12, v12, v2
	s_or_b64 exec, exec, s[46:47]
	s_and_saveexec_b64 s[46:47], s[28:29]
	s_cbranch_execz .LBB133_65
.LBB133_81:                             ;   in Loop: Header=BB133_50 Depth=1
	v_mov_b32_e32 v2, s60
	ds_read_b32 v2, v2
	s_waitcnt lgkmcnt(0)
	v_add_u32_e32 v12, v12, v2
	s_or_b64 exec, exec, s[46:47]
	v_ashrrev_i32_e32 v13, 31, v12
	s_and_saveexec_b64 s[46:47], s[30:31]
	s_cbranch_execz .LBB133_66
.LBB133_82:                             ;   in Loop: Header=BB133_50 Depth=1
	v_add3_u32 v2, v6, -1, v12
	v_add_u32_e32 v17, v6, v12
	v_lshl_add_u32 v2, v2, 3, 0
	v_lshl_add_u32 v17, v17, 3, 0
	v_add_u32_e32 v17, 0xfff8, v17
	ds_write_b64 v2, v[8:9]
	ds_write2_b32 v17, v10, v11 offset1:1
	s_or_b64 exec, exec, s[46:47]
	s_and_saveexec_b64 s[30:31], vcc
	s_cbranch_execz .LBB133_49
.LBB133_83:                             ;   in Loop: Header=BB133_50 Depth=1
	v_mov_b32_e32 v2, s61
	ds_write_b64 v2, v[12:13]
	s_branch .LBB133_49
.LBB133_84:
	s_or_b64 exec, exec, s[36:37]
	s_lshl_b64 s[0:1], s[44:45], 3
	s_add_u32 s4, s40, s0
	s_addc_u32 s5, s41, s1
	s_load_dwordx4 s[0:3], s[4:5], 0x0
	v_mov_b32_e32 v1, 0
	s_waitcnt lgkmcnt(0)
	s_sub_u32 s4, s2, s0
	s_subb_u32 s5, s3, s1
	v_cmp_gt_i64_e32 vcc, s[4:5], v[0:1]
	s_and_saveexec_b64 s[6:7], vcc
	s_cbranch_execz .LBB133_94
; %bb.85:
	s_sub_u32 s8, s0, s38
	s_subb_u32 s9, s1, 0
	s_and_b32 s6, s4, 7
	s_sub_u32 s0, s0, s2
	s_mov_b32 s7, 0
	s_subb_u32 s1, s1, s3
	s_and_b32 s10, s4, -8
	s_cmp_lg_u64 s[6:7], 0
	v_cmp_lt_u64_e64 s[0:1], s[0:1], -7
	s_cselect_b64 s[2:3], -1, 0
	s_mov_b32 s11, s5
	v_cndmask_b32_e64 v2, 0, 1, s[0:1]
	v_cmp_ne_u32_e64 s[0:1], 1, v2
	v_cndmask_b32_e64 v2, 0, 1, s[2:3]
	s_mov_b64 s[12:13], 0
	v_cmp_ne_u32_e64 s[2:3], 1, v2
	s_mov_b64 s[14:15], 0x400
	s_branch .LBB133_87
.LBB133_86:                             ;   in Loop: Header=BB133_87 Depth=1
	v_lshl_add_u64 v[0:1], v[0:1], 0, s[14:15]
	v_cmp_le_i64_e32 vcc, s[4:5], v[0:1]
	s_waitcnt lgkmcnt(1)
	v_lshl_add_u64 v[4:5], v[6:7], 3, s[34:35]
	s_or_b64 s[12:13], vcc, s[12:13]
	s_waitcnt lgkmcnt(0)
	global_store_dwordx2 v[4:5], v[2:3], off
	s_andn2_b64 exec, exec, s[12:13]
	s_cbranch_execz .LBB133_94
.LBB133_87:                             ; =>This Loop Header: Depth=1
                                        ;     Child Loop BB133_89 Depth 2
                                        ;     Child Loop BB133_93 Depth 2
	v_lshl_add_u32 v2, v0, 3, 0
	v_add_u32_e32 v3, 0x10000, v2
	ds_read_b64 v[4:5], v2
	ds_read2_b32 v[2:3], v3 offset1:1
	s_and_b64 vcc, exec, s[0:1]
	v_mov_b64_e32 v[6:7], s[8:9]
	s_mov_b64 s[16:17], 0
	s_cbranch_vccnz .LBB133_91
; %bb.88:                               ;   in Loop: Header=BB133_87 Depth=1
	s_mov_b32 s18, 0
	v_mov_b64_e32 v[6:7], s[8:9]
.LBB133_89:                             ;   Parent Loop BB133_87 Depth=1
                                        ; =>  This Inner Loop Header: Depth=2
	v_mov_b32_e32 v20, s18
	ds_read2_b64 v[8:11], v20 offset1:1
	ds_read2_b64 v[12:15], v20 offset0:2 offset1:3
	ds_read2_b64 v[16:19], v20 offset0:4 offset1:5
	;; [unrolled: 1-line block ×3, first 2 shown]
	v_mov_b32_e32 v25, s7
	s_waitcnt lgkmcnt(3)
	v_cmp_gt_i64_e32 vcc, v[4:5], v[8:9]
	v_mov_b32_e32 v27, s7
	v_mov_b32_e32 v29, s7
	v_cndmask_b32_e64 v24, 0, 1, vcc
	v_cmp_gt_i64_e32 vcc, v[4:5], v[10:11]
	v_lshl_add_u64 v[6:7], v[6:7], 0, v[24:25]
	v_mov_b32_e32 v31, s7
	v_cndmask_b32_e64 v26, 0, 1, vcc
	s_waitcnt lgkmcnt(2)
	v_cmp_gt_i64_e32 vcc, v[4:5], v[12:13]
	v_lshl_add_u64 v[6:7], v[6:7], 0, v[26:27]
	v_mov_b32_e32 v33, s7
	v_cndmask_b32_e64 v28, 0, 1, vcc
	v_cmp_gt_i64_e32 vcc, v[4:5], v[14:15]
	v_lshl_add_u64 v[6:7], v[6:7], 0, v[28:29]
	v_mov_b32_e32 v35, s7
	v_cndmask_b32_e64 v30, 0, 1, vcc
	s_waitcnt lgkmcnt(1)
	v_cmp_gt_i64_e32 vcc, v[4:5], v[16:17]
	v_lshl_add_u64 v[6:7], v[6:7], 0, v[30:31]
	v_mov_b32_e32 v37, s7
	v_cndmask_b32_e64 v32, 0, 1, vcc
	v_cmp_gt_i64_e32 vcc, v[4:5], v[18:19]
	v_lshl_add_u64 v[6:7], v[6:7], 0, v[32:33]
	s_add_u32 s16, s16, 8
	v_cndmask_b32_e64 v34, 0, 1, vcc
	s_waitcnt lgkmcnt(0)
	v_cmp_gt_i64_e32 vcc, v[4:5], v[20:21]
	v_lshl_add_u64 v[6:7], v[6:7], 0, v[34:35]
	v_mov_b32_e32 v39, s7
	v_cndmask_b32_e64 v36, 0, 1, vcc
	v_cmp_gt_i64_e32 vcc, v[4:5], v[22:23]
	s_addc_u32 s17, s17, 0
	s_add_i32 s18, s18, 64
	v_cndmask_b32_e64 v38, 0, 1, vcc
	v_lshl_add_u64 v[6:7], v[6:7], 0, v[36:37]
	s_cmp_eq_u64 s[10:11], s[16:17]
	v_lshl_add_u64 v[6:7], v[6:7], 0, v[38:39]
	s_cbranch_scc0 .LBB133_89
; %bb.90:                               ;   in Loop: Header=BB133_87 Depth=1
	s_mov_b64 s[16:17], s[10:11]
.LBB133_91:                             ;   in Loop: Header=BB133_87 Depth=1
	s_and_b64 vcc, exec, s[2:3]
	s_cbranch_vccnz .LBB133_86
; %bb.92:                               ;   in Loop: Header=BB133_87 Depth=1
	s_lshl_b32 s16, s16, 3
	s_add_i32 s18, s16, 0
	s_mov_b64 s[16:17], s[6:7]
.LBB133_93:                             ;   Parent Loop BB133_87 Depth=1
                                        ; =>  This Inner Loop Header: Depth=2
	v_mov_b32_e32 v8, s18
	ds_read_b64 v[10:11], v8
	s_add_i32 s18, s18, 8
	s_add_u32 s16, s16, -1
	v_mov_b32_e32 v9, s7
	s_addc_u32 s17, s17, -1
	s_waitcnt lgkmcnt(0)
	v_cmp_gt_i64_e32 vcc, v[4:5], v[10:11]
	s_cmp_lg_u64 s[16:17], 0
	s_nop 0
	v_cndmask_b32_e64 v8, 0, 1, vcc
	v_lshl_add_u64 v[6:7], v[6:7], 0, v[8:9]
	s_cbranch_scc1 .LBB133_93
	s_branch .LBB133_86
.LBB133_94:
	s_endpgm
	.section	.rodata,"a",@progbits
	.p2align	6, 0x0
	.amdhsa_kernel _ZN9rocsparseL41csrgemm_numeric_fill_block_per_row_kernelILj1024ELj64ELj8192ELj137ELj64Ell21rocsparse_complex_numIfEEEvT5_PKS3_S5_NS_24const_host_device_scalarIT6_EEPKT4_S5_PKS7_SB_S5_SD_S8_SB_S5_SD_SB_S5_PS7_21rocsparse_index_base_SF_SF_SF_bbb
		.amdhsa_group_segment_fixed_size 0
		.amdhsa_private_segment_fixed_size 0
		.amdhsa_kernarg_size 156
		.amdhsa_user_sgpr_count 2
		.amdhsa_user_sgpr_dispatch_ptr 0
		.amdhsa_user_sgpr_queue_ptr 0
		.amdhsa_user_sgpr_kernarg_segment_ptr 1
		.amdhsa_user_sgpr_dispatch_id 0
		.amdhsa_user_sgpr_kernarg_preload_length 0
		.amdhsa_user_sgpr_kernarg_preload_offset 0
		.amdhsa_user_sgpr_private_segment_size 0
		.amdhsa_uses_dynamic_stack 0
		.amdhsa_enable_private_segment 0
		.amdhsa_system_sgpr_workgroup_id_x 1
		.amdhsa_system_sgpr_workgroup_id_y 0
		.amdhsa_system_sgpr_workgroup_id_z 0
		.amdhsa_system_sgpr_workgroup_info 0
		.amdhsa_system_vgpr_workitem_id 0
		.amdhsa_next_free_vgpr 40
		.amdhsa_next_free_sgpr 63
		.amdhsa_accum_offset 40
		.amdhsa_reserve_vcc 1
		.amdhsa_float_round_mode_32 0
		.amdhsa_float_round_mode_16_64 0
		.amdhsa_float_denorm_mode_32 3
		.amdhsa_float_denorm_mode_16_64 3
		.amdhsa_dx10_clamp 1
		.amdhsa_ieee_mode 1
		.amdhsa_fp16_overflow 0
		.amdhsa_tg_split 0
		.amdhsa_exception_fp_ieee_invalid_op 0
		.amdhsa_exception_fp_denorm_src 0
		.amdhsa_exception_fp_ieee_div_zero 0
		.amdhsa_exception_fp_ieee_overflow 0
		.amdhsa_exception_fp_ieee_underflow 0
		.amdhsa_exception_fp_ieee_inexact 0
		.amdhsa_exception_int_div_zero 0
	.end_amdhsa_kernel
	.section	.text._ZN9rocsparseL41csrgemm_numeric_fill_block_per_row_kernelILj1024ELj64ELj8192ELj137ELj64Ell21rocsparse_complex_numIfEEEvT5_PKS3_S5_NS_24const_host_device_scalarIT6_EEPKT4_S5_PKS7_SB_S5_SD_S8_SB_S5_SD_SB_S5_PS7_21rocsparse_index_base_SF_SF_SF_bbb,"axG",@progbits,_ZN9rocsparseL41csrgemm_numeric_fill_block_per_row_kernelILj1024ELj64ELj8192ELj137ELj64Ell21rocsparse_complex_numIfEEEvT5_PKS3_S5_NS_24const_host_device_scalarIT6_EEPKT4_S5_PKS7_SB_S5_SD_S8_SB_S5_SD_SB_S5_PS7_21rocsparse_index_base_SF_SF_SF_bbb,comdat
.Lfunc_end133:
	.size	_ZN9rocsparseL41csrgemm_numeric_fill_block_per_row_kernelILj1024ELj64ELj8192ELj137ELj64Ell21rocsparse_complex_numIfEEEvT5_PKS3_S5_NS_24const_host_device_scalarIT6_EEPKT4_S5_PKS7_SB_S5_SD_S8_SB_S5_SD_SB_S5_PS7_21rocsparse_index_base_SF_SF_SF_bbb, .Lfunc_end133-_ZN9rocsparseL41csrgemm_numeric_fill_block_per_row_kernelILj1024ELj64ELj8192ELj137ELj64Ell21rocsparse_complex_numIfEEEvT5_PKS3_S5_NS_24const_host_device_scalarIT6_EEPKT4_S5_PKS7_SB_S5_SD_S8_SB_S5_SD_SB_S5_PS7_21rocsparse_index_base_SF_SF_SF_bbb
                                        ; -- End function
	.set _ZN9rocsparseL41csrgemm_numeric_fill_block_per_row_kernelILj1024ELj64ELj8192ELj137ELj64Ell21rocsparse_complex_numIfEEEvT5_PKS3_S5_NS_24const_host_device_scalarIT6_EEPKT4_S5_PKS7_SB_S5_SD_S8_SB_S5_SD_SB_S5_PS7_21rocsparse_index_base_SF_SF_SF_bbb.num_vgpr, 40
	.set _ZN9rocsparseL41csrgemm_numeric_fill_block_per_row_kernelILj1024ELj64ELj8192ELj137ELj64Ell21rocsparse_complex_numIfEEEvT5_PKS3_S5_NS_24const_host_device_scalarIT6_EEPKT4_S5_PKS7_SB_S5_SD_S8_SB_S5_SD_SB_S5_PS7_21rocsparse_index_base_SF_SF_SF_bbb.num_agpr, 0
	.set _ZN9rocsparseL41csrgemm_numeric_fill_block_per_row_kernelILj1024ELj64ELj8192ELj137ELj64Ell21rocsparse_complex_numIfEEEvT5_PKS3_S5_NS_24const_host_device_scalarIT6_EEPKT4_S5_PKS7_SB_S5_SD_S8_SB_S5_SD_SB_S5_PS7_21rocsparse_index_base_SF_SF_SF_bbb.numbered_sgpr, 63
	.set _ZN9rocsparseL41csrgemm_numeric_fill_block_per_row_kernelILj1024ELj64ELj8192ELj137ELj64Ell21rocsparse_complex_numIfEEEvT5_PKS3_S5_NS_24const_host_device_scalarIT6_EEPKT4_S5_PKS7_SB_S5_SD_S8_SB_S5_SD_SB_S5_PS7_21rocsparse_index_base_SF_SF_SF_bbb.num_named_barrier, 0
	.set _ZN9rocsparseL41csrgemm_numeric_fill_block_per_row_kernelILj1024ELj64ELj8192ELj137ELj64Ell21rocsparse_complex_numIfEEEvT5_PKS3_S5_NS_24const_host_device_scalarIT6_EEPKT4_S5_PKS7_SB_S5_SD_S8_SB_S5_SD_SB_S5_PS7_21rocsparse_index_base_SF_SF_SF_bbb.private_seg_size, 0
	.set _ZN9rocsparseL41csrgemm_numeric_fill_block_per_row_kernelILj1024ELj64ELj8192ELj137ELj64Ell21rocsparse_complex_numIfEEEvT5_PKS3_S5_NS_24const_host_device_scalarIT6_EEPKT4_S5_PKS7_SB_S5_SD_S8_SB_S5_SD_SB_S5_PS7_21rocsparse_index_base_SF_SF_SF_bbb.uses_vcc, 1
	.set _ZN9rocsparseL41csrgemm_numeric_fill_block_per_row_kernelILj1024ELj64ELj8192ELj137ELj64Ell21rocsparse_complex_numIfEEEvT5_PKS3_S5_NS_24const_host_device_scalarIT6_EEPKT4_S5_PKS7_SB_S5_SD_S8_SB_S5_SD_SB_S5_PS7_21rocsparse_index_base_SF_SF_SF_bbb.uses_flat_scratch, 0
	.set _ZN9rocsparseL41csrgemm_numeric_fill_block_per_row_kernelILj1024ELj64ELj8192ELj137ELj64Ell21rocsparse_complex_numIfEEEvT5_PKS3_S5_NS_24const_host_device_scalarIT6_EEPKT4_S5_PKS7_SB_S5_SD_S8_SB_S5_SD_SB_S5_PS7_21rocsparse_index_base_SF_SF_SF_bbb.has_dyn_sized_stack, 0
	.set _ZN9rocsparseL41csrgemm_numeric_fill_block_per_row_kernelILj1024ELj64ELj8192ELj137ELj64Ell21rocsparse_complex_numIfEEEvT5_PKS3_S5_NS_24const_host_device_scalarIT6_EEPKT4_S5_PKS7_SB_S5_SD_S8_SB_S5_SD_SB_S5_PS7_21rocsparse_index_base_SF_SF_SF_bbb.has_recursion, 0
	.set _ZN9rocsparseL41csrgemm_numeric_fill_block_per_row_kernelILj1024ELj64ELj8192ELj137ELj64Ell21rocsparse_complex_numIfEEEvT5_PKS3_S5_NS_24const_host_device_scalarIT6_EEPKT4_S5_PKS7_SB_S5_SD_S8_SB_S5_SD_SB_S5_PS7_21rocsparse_index_base_SF_SF_SF_bbb.has_indirect_call, 0
	.section	.AMDGPU.csdata,"",@progbits
; Kernel info:
; codeLenInByte = 3620
; TotalNumSgprs: 69
; NumVgprs: 40
; NumAgprs: 0
; TotalNumVgprs: 40
; ScratchSize: 0
; MemoryBound: 0
; FloatMode: 240
; IeeeMode: 1
; LDSByteSize: 0 bytes/workgroup (compile time only)
; SGPRBlocks: 8
; VGPRBlocks: 4
; NumSGPRsForWavesPerEU: 69
; NumVGPRsForWavesPerEU: 40
; AccumOffset: 40
; Occupancy: 8
; WaveLimiterHint : 1
; COMPUTE_PGM_RSRC2:SCRATCH_EN: 0
; COMPUTE_PGM_RSRC2:USER_SGPR: 2
; COMPUTE_PGM_RSRC2:TRAP_HANDLER: 0
; COMPUTE_PGM_RSRC2:TGID_X_EN: 1
; COMPUTE_PGM_RSRC2:TGID_Y_EN: 0
; COMPUTE_PGM_RSRC2:TGID_Z_EN: 0
; COMPUTE_PGM_RSRC2:TIDIG_COMP_CNT: 0
; COMPUTE_PGM_RSRC3_GFX90A:ACCUM_OFFSET: 9
; COMPUTE_PGM_RSRC3_GFX90A:TG_SPLIT: 0
	.section	.text._ZN9rocsparseL41csrgemm_numeric_fill_block_per_row_kernelILj1024ELj64ELj16384ELj137ELj32Ell21rocsparse_complex_numIfEEEvT5_PKS3_S5_NS_24const_host_device_scalarIT6_EEPKT4_S5_PKS7_SB_S5_SD_S8_SB_S5_SD_SB_S5_PS7_21rocsparse_index_base_SF_SF_SF_bbb,"axG",@progbits,_ZN9rocsparseL41csrgemm_numeric_fill_block_per_row_kernelILj1024ELj64ELj16384ELj137ELj32Ell21rocsparse_complex_numIfEEEvT5_PKS3_S5_NS_24const_host_device_scalarIT6_EEPKT4_S5_PKS7_SB_S5_SD_S8_SB_S5_SD_SB_S5_PS7_21rocsparse_index_base_SF_SF_SF_bbb,comdat
	.globl	_ZN9rocsparseL41csrgemm_numeric_fill_block_per_row_kernelILj1024ELj64ELj16384ELj137ELj32Ell21rocsparse_complex_numIfEEEvT5_PKS3_S5_NS_24const_host_device_scalarIT6_EEPKT4_S5_PKS7_SB_S5_SD_S8_SB_S5_SD_SB_S5_PS7_21rocsparse_index_base_SF_SF_SF_bbb ; -- Begin function _ZN9rocsparseL41csrgemm_numeric_fill_block_per_row_kernelILj1024ELj64ELj16384ELj137ELj32Ell21rocsparse_complex_numIfEEEvT5_PKS3_S5_NS_24const_host_device_scalarIT6_EEPKT4_S5_PKS7_SB_S5_SD_S8_SB_S5_SD_SB_S5_PS7_21rocsparse_index_base_SF_SF_SF_bbb
	.p2align	8
	.type	_ZN9rocsparseL41csrgemm_numeric_fill_block_per_row_kernelILj1024ELj64ELj16384ELj137ELj32Ell21rocsparse_complex_numIfEEEvT5_PKS3_S5_NS_24const_host_device_scalarIT6_EEPKT4_S5_PKS7_SB_S5_SD_S8_SB_S5_SD_SB_S5_PS7_21rocsparse_index_base_SF_SF_SF_bbb,@function
_ZN9rocsparseL41csrgemm_numeric_fill_block_per_row_kernelILj1024ELj64ELj16384ELj137ELj32Ell21rocsparse_complex_numIfEEEvT5_PKS3_S5_NS_24const_host_device_scalarIT6_EEPKT4_S5_PKS7_SB_S5_SD_S8_SB_S5_SD_SB_S5_PS7_21rocsparse_index_base_SF_SF_SF_bbb: ; @_ZN9rocsparseL41csrgemm_numeric_fill_block_per_row_kernelILj1024ELj64ELj16384ELj137ELj32Ell21rocsparse_complex_numIfEEEvT5_PKS3_S5_NS_24const_host_device_scalarIT6_EEPKT4_S5_PKS7_SB_S5_SD_S8_SB_S5_SD_SB_S5_PS7_21rocsparse_index_base_SF_SF_SF_bbb
; %bb.0:
	s_load_dwordx2 s[4:5], s[0:1], 0x70
	s_load_dwordx4 s[52:55], s[0:1], 0x88
                                        ; implicit-def: $vgpr40 : SGPR spill to VGPR lane
	s_mov_b32 s7, 0
	s_mov_b32 s47, 0
	s_waitcnt lgkmcnt(0)
	v_writelane_b32 v40, s4, 0
	s_nop 1
	v_writelane_b32 v40, s5, 1
	s_load_dwordx4 s[20:23], s[0:1], 0x50
	s_load_dword s3, s[0:1], 0x98
	s_load_dwordx4 s[28:31], s[0:1], 0x8
	s_load_dwordx8 s[8:15], s[0:1], 0x20
	s_load_dwordx2 s[4:5], s[0:1], 0x80
	s_waitcnt lgkmcnt(0)
	s_bitcmp1_b32 s3, 0
	s_cselect_b64 s[36:37], -1, 0
	s_bitcmp1_b32 s3, 16
	v_writelane_b32 v40, s4, 2
	s_nop 1
	v_writelane_b32 v40, s5, 3
	s_cselect_b64 s[4:5], -1, 0
	s_xor_b64 s[4:5], s[4:5], -1
	v_cndmask_b32_e64 v1, 0, 1, s[4:5]
	s_bitcmp0_b32 s3, 0
	v_cmp_ne_u32_e64 s[4:5], 1, v1
	s_cbranch_scc1 .LBB134_5
; %bb.1:
	s_load_dwordx2 s[6:7], s[0:1], 0x18
	s_and_b64 vcc, exec, s[4:5]
	s_waitcnt lgkmcnt(0)
	s_mov_b32 s47, s6
	s_cbranch_vccnz .LBB134_3
; %bb.2:
	s_load_dword s47, s[6:7], 0x0
.LBB134_3:
	s_and_b64 vcc, exec, s[4:5]
	s_cbranch_vccnz .LBB134_5
; %bb.4:
	s_load_dword s7, s[6:7], 0x4
.LBB134_5:
	s_nop 0
	s_load_dwordx4 s[16:19], s[0:1], 0x60
	s_load_dwordx4 s[24:27], s[0:1], 0x40
	s_bitcmp1_b32 s3, 8
	s_cselect_b64 s[34:35], -1, 0
	s_bfe_u32 s3, s3, 0x10008
	s_mov_b32 s33, 0
	s_cmp_eq_u32 s3, 0
	s_mov_b32 s46, 0
	s_cbranch_scc1 .LBB134_11
; %bb.6:
	s_and_b64 vcc, exec, s[4:5]
	s_mov_b32 s33, s20
	s_cbranch_vccnz .LBB134_8
; %bb.7:
	s_load_dword s33, s[20:21], 0x0
.LBB134_8:
	s_and_b64 vcc, exec, s[4:5]
	s_cbranch_vccnz .LBB134_10
; %bb.9:
	s_load_dword s21, s[20:21], 0x4
.LBB134_10:
	s_waitcnt lgkmcnt(0)
	s_mov_b32 s46, s21
.LBB134_11:
	s_load_dwordx2 s[72:73], s[0:1], 0x0
	v_or_b32_e32 v1, 0xfffffc00, v0
	v_lshl_add_u32 v20, v0, 3, 0
	s_mov_b64 s[0:1], 0
	v_mov_b32_e32 v2, 0
	s_waitcnt lgkmcnt(0)
	v_mov_b64_e32 v[6:7], s[72:73]
	s_movk_i32 s3, 0x3bff
	v_mov_b32_e32 v3, v20
	v_mov_b32_e32 v4, v1
.LBB134_12:                             ; =>This Inner Loop Header: Depth=1
	v_add_u32_e32 v4, 0x400, v4
	v_cmp_lt_u32_e32 vcc, s3, v4
	ds_write_b64 v3, v[6:7]
	v_add_u32_e32 v5, 0x20000, v3
	v_add_u32_e32 v3, 0x2000, v3
	s_or_b64 s[0:1], vcc, s[0:1]
	ds_write2_b32 v5, v2, v2 offset1:1
	s_andn2_b64 exec, exec, s[0:1]
	s_cbranch_execnz .LBB134_12
; %bb.13:
	s_or_b64 exec, exec, s[0:1]
	s_waitcnt lgkmcnt(0)
	s_barrier
	s_load_dwordx2 s[0:1], s[28:29], 0x0
	s_mov_b32 s3, 0
	s_waitcnt lgkmcnt(0)
	s_lshl_b64 s[0:1], s[0:1], 3
	s_add_u32 s4, s30, s0
	s_addc_u32 s5, s31, s1
	s_lshl_b64 s[0:1], s[2:3], 3
	s_add_u32 s0, s4, s0
	s_addc_u32 s1, s5, s1
	s_load_dwordx2 s[50:51], s[0:1], 0x0
	s_and_b64 vcc, exec, s[36:37]
	s_cbranch_vccz .LBB134_33
; %bb.14:
	s_waitcnt lgkmcnt(0)
	s_lshl_b64 s[0:1], s[50:51], 3
	s_add_u32 s0, s8, s0
	s_addc_u32 s1, s9, s1
	s_load_dwordx4 s[28:31], s[0:1], 0x0
	v_lshrrev_b32_e32 v2, 6, v0
	v_subrev_co_u32_e32 v2, vcc, s52, v2
	s_waitcnt lgkmcnt(0)
	s_sub_u32 s0, s30, s52
	v_subb_co_u32_e64 v3, s[2:3], 0, 0, vcc
	s_subb_u32 s1, s31, 0
	v_lshl_add_u64 v[2:3], s[28:29], 0, v[2:3]
	v_cmp_gt_i64_e32 vcc, s[0:1], v[2:3]
	s_and_saveexec_b64 s[2:3], vcc
	s_cbranch_execz .LBB134_32
; %bb.15:
	v_and_b32_e32 v4, 63, v0
	v_subrev_co_u32_e32 v4, vcc, s53, v4
	s_mov_b32 s6, s53
	s_nop 0
	v_subb_co_u32_e64 v5, s[4:5], 0, 0, vcc
	s_mov_b64 s[4:5], 0
	s_movk_i32 s48, 0x89
	s_branch .LBB134_17
.LBB134_16:                             ;   in Loop: Header=BB134_17 Depth=1
	s_or_b64 exec, exec, s[8:9]
	v_lshl_add_u64 v[2:3], v[2:3], 0, 16
	v_cmp_le_i64_e32 vcc, s[0:1], v[2:3]
	s_or_b64 s[4:5], vcc, s[4:5]
	s_andn2_b64 exec, exec, s[4:5]
	s_cbranch_execz .LBB134_32
.LBB134_17:                             ; =>This Loop Header: Depth=1
                                        ;     Child Loop BB134_21 Depth 2
                                        ;       Child Loop BB134_24 Depth 3
	v_lshl_add_u64 v[6:7], v[2:3], 3, s[10:11]
	global_load_dwordx2 v[6:7], v[6:7], off
	s_waitcnt vmcnt(0)
	v_subrev_co_u32_e32 v6, vcc, s52, v6
	s_nop 1
	v_subbrev_co_u32_e32 v7, vcc, 0, v7, vcc
	v_lshl_add_u64 v[6:7], v[6:7], 3, s[14:15]
	global_load_dwordx4 v[8:11], v[6:7], off
	s_waitcnt vmcnt(0)
	v_subrev_co_u32_e32 v6, vcc, s6, v10
	s_nop 1
	v_subbrev_co_u32_e32 v7, vcc, 0, v11, vcc
	v_lshl_add_u64 v[8:9], v[8:9], 0, v[4:5]
	v_cmp_lt_i64_e32 vcc, v[8:9], v[6:7]
	s_and_saveexec_b64 s[8:9], vcc
	s_cbranch_execz .LBB134_16
; %bb.18:                               ;   in Loop: Header=BB134_17 Depth=1
	v_lshl_add_u64 v[10:11], v[2:3], 3, s[12:13]
	global_load_dwordx2 v[10:11], v[10:11], off
	s_mov_b64 s[20:21], 0
	s_waitcnt vmcnt(0)
	v_mul_f32_e64 v21, v11, -s7
	v_mul_f32_e32 v22, s47, v11
	v_fmac_f32_e32 v21, s47, v10
	v_fmac_f32_e32 v22, s7, v10
	s_branch .LBB134_21
.LBB134_19:                             ;   in Loop: Header=BB134_21 Depth=2
	s_or_b64 exec, exec, s[30:31]
.LBB134_20:                             ;   in Loop: Header=BB134_21 Depth=2
	s_or_b64 exec, exec, s[28:29]
	s_waitcnt vmcnt(0)
	v_mul_f32_e64 v13, v11, -v22
	v_mul_f32_e32 v11, v21, v11
	v_fmac_f32_e32 v13, v21, v10
	v_fmac_f32_e32 v11, v22, v10
	v_lshl_add_u32 v10, v12, 3, 0
	v_add_u32_e32 v10, 0x20000, v10
	ds_add_f32 v10, v13
	ds_add_f32 v10, v11 offset:4
	v_lshl_add_u64 v[8:9], v[8:9], 0, 64
	v_cmp_ge_i64_e32 vcc, v[8:9], v[6:7]
	s_or_b64 s[20:21], vcc, s[20:21]
	s_andn2_b64 exec, exec, s[20:21]
	s_cbranch_execz .LBB134_16
.LBB134_21:                             ;   Parent Loop BB134_17 Depth=1
                                        ; =>  This Loop Header: Depth=2
                                        ;       Child Loop BB134_24 Depth 3
	v_lshlrev_b64 v[10:11], 3, v[8:9]
	v_lshl_add_u64 v[12:13], s[24:25], 0, v[10:11]
	global_load_dwordx2 v[12:13], v[12:13], off
	v_lshl_add_u64 v[10:11], s[26:27], 0, v[10:11]
	global_load_dwordx2 v[10:11], v[10:11], off
	s_waitcnt vmcnt(1)
	v_subrev_co_u32_e32 v14, vcc, s6, v12
	v_mul_lo_u32 v12, v14, s48
	v_and_b32_e32 v12, 0x3fff, v12
	v_lshl_add_u32 v23, v12, 3, 0
	ds_read_b64 v[18:19], v23
	v_subbrev_co_u32_e32 v15, vcc, 0, v13, vcc
	s_waitcnt lgkmcnt(0)
	v_cmp_ne_u64_e32 vcc, v[18:19], v[14:15]
	s_and_saveexec_b64 s[28:29], vcc
	s_cbranch_execz .LBB134_20
; %bb.22:                               ;   in Loop: Header=BB134_21 Depth=2
	s_mov_b64 s[30:31], 0
                                        ; implicit-def: $sgpr36_sgpr37
                                        ; implicit-def: $sgpr38_sgpr39
	s_branch .LBB134_24
.LBB134_23:                             ;   in Loop: Header=BB134_24 Depth=3
	s_or_b64 exec, exec, s[44:45]
	s_and_b64 s[40:41], exec, s[42:43]
	s_or_b64 s[30:31], s[40:41], s[30:31]
	s_andn2_b64 s[36:37], s[36:37], exec
	s_and_b64 s[40:41], s[38:39], exec
	s_or_b64 s[36:37], s[36:37], s[40:41]
	s_andn2_b64 exec, exec, s[30:31]
	s_cbranch_execz .LBB134_30
.LBB134_24:                             ;   Parent Loop BB134_17 Depth=1
                                        ;     Parent Loop BB134_21 Depth=2
                                        ; =>    This Inner Loop Header: Depth=3
	v_mov_b64_e32 v[16:17], v[12:13]
	v_cmp_ne_u64_e32 vcc, s[72:73], v[18:19]
	s_mov_b64 s[40:41], 0
                                        ; implicit-def: $vgpr12_vgpr13
	s_and_saveexec_b64 s[42:43], vcc
	s_xor_b64 s[42:43], exec, s[42:43]
; %bb.25:                               ;   in Loop: Header=BB134_24 Depth=3
	v_add_u32_e32 v12, 1, v16
	s_mov_b64 s[40:41], exec
	v_and_b32_e32 v12, 0x3fff, v12
                                        ; implicit-def: $vgpr23
; %bb.26:                               ;   in Loop: Header=BB134_24 Depth=3
	s_andn2_saveexec_b64 s[42:43], s[42:43]
	s_cbranch_execz .LBB134_28
; %bb.27:                               ;   in Loop: Header=BB134_24 Depth=3
	v_mov_b64_e32 v[12:13], s[72:73]
	ds_cmpst_rtn_b64 v[12:13], v23, v[12:13], v[14:15]
	s_andn2_b64 s[40:41], s[40:41], exec
	s_waitcnt lgkmcnt(0)
	v_cmp_ne_u64_e32 vcc, s[72:73], v[12:13]
	s_and_b64 s[44:45], vcc, exec
	s_or_b64 s[40:41], s[40:41], s[44:45]
	v_mov_b64_e32 v[12:13], v[16:17]
.LBB134_28:                             ;   in Loop: Header=BB134_24 Depth=3
	s_or_b64 exec, exec, s[42:43]
	s_mov_b64 s[42:43], -1
	s_or_b64 s[38:39], s[38:39], exec
                                        ; implicit-def: $vgpr23
                                        ; implicit-def: $vgpr18_vgpr19
	s_and_saveexec_b64 s[44:45], s[40:41]
	s_cbranch_execz .LBB134_23
; %bb.29:                               ;   in Loop: Header=BB134_24 Depth=3
	v_lshl_add_u32 v23, v12, 3, 0
	ds_read_b64 v[18:19], v23
	s_andn2_b64 s[38:39], s[38:39], exec
	s_waitcnt lgkmcnt(0)
	v_cmp_eq_u64_e32 vcc, v[18:19], v[14:15]
	s_orn2_b64 s[42:43], vcc, exec
	s_branch .LBB134_23
.LBB134_30:                             ;   in Loop: Header=BB134_21 Depth=2
	s_or_b64 exec, exec, s[30:31]
	s_and_saveexec_b64 s[30:31], s[36:37]
	s_xor_b64 s[30:31], exec, s[30:31]
	s_cbranch_execz .LBB134_19
; %bb.31:                               ;   in Loop: Header=BB134_21 Depth=2
	v_mov_b32_e32 v12, v16
	s_branch .LBB134_19
.LBB134_32:
	s_or_b64 exec, exec, s[2:3]
.LBB134_33:
	s_andn2_b64 vcc, exec, s[34:35]
	s_cbranch_vccnz .LBB134_50
; %bb.34:
	s_waitcnt lgkmcnt(0)
	s_lshl_b64 s[0:1], s[50:51], 3
	s_add_u32 s0, s22, s0
	s_addc_u32 s1, s23, s1
	s_load_dwordx4 s[4:7], s[0:1], 0x0
	v_subrev_co_u32_e32 v2, vcc, s55, v0
	s_waitcnt lgkmcnt(0)
	s_sub_u32 s0, s6, s55
	v_subb_co_u32_e64 v3, s[2:3], 0, 0, vcc
	s_subb_u32 s1, s7, 0
	v_lshl_add_u64 v[2:3], s[4:5], 0, v[2:3]
	v_cmp_gt_i64_e32 vcc, s[0:1], v[2:3]
	s_and_saveexec_b64 s[2:3], vcc
	s_cbranch_execz .LBB134_49
; %bb.35:
	s_mov_b32 s26, s55
	s_mov_b64 s[4:5], 0
	s_movk_i32 s27, 0x89
	s_mov_b64 s[6:7], 0x400
	s_branch .LBB134_38
.LBB134_36:                             ;   in Loop: Header=BB134_38 Depth=1
	s_or_b64 exec, exec, s[10:11]
.LBB134_37:                             ;   in Loop: Header=BB134_38 Depth=1
	s_or_b64 exec, exec, s[8:9]
	s_waitcnt vmcnt(0)
	v_mul_f32_e64 v7, v5, -s46
	v_mul_f32_e32 v5, s33, v5
	v_fmac_f32_e32 v7, s33, v4
	v_fmac_f32_e32 v5, s46, v4
	v_lshl_add_u32 v4, v6, 3, 0
	v_add_u32_e32 v4, 0x20000, v4
	ds_add_f32 v4, v7
	ds_add_f32 v4, v5 offset:4
	v_lshl_add_u64 v[2:3], v[2:3], 0, s[6:7]
	v_cmp_le_i64_e32 vcc, s[0:1], v[2:3]
	s_or_b64 s[4:5], vcc, s[4:5]
	s_andn2_b64 exec, exec, s[4:5]
	s_cbranch_execz .LBB134_49
.LBB134_38:                             ; =>This Loop Header: Depth=1
                                        ;     Child Loop BB134_41 Depth 2
	v_lshlrev_b64 v[4:5], 3, v[2:3]
	v_lshl_add_u64 v[6:7], s[16:17], 0, v[4:5]
	global_load_dwordx2 v[6:7], v[6:7], off
	v_lshl_add_u64 v[4:5], s[18:19], 0, v[4:5]
	global_load_dwordx2 v[4:5], v[4:5], off
	s_waitcnt vmcnt(1)
	v_subrev_co_u32_e32 v8, vcc, s26, v6
	v_mul_lo_u32 v6, v8, s27
	v_and_b32_e32 v6, 0x3fff, v6
	v_lshl_add_u32 v14, v6, 3, 0
	ds_read_b64 v[12:13], v14
	v_subbrev_co_u32_e32 v9, vcc, 0, v7, vcc
	s_waitcnt lgkmcnt(0)
	v_cmp_ne_u64_e32 vcc, v[12:13], v[8:9]
	s_and_saveexec_b64 s[8:9], vcc
	s_cbranch_execz .LBB134_37
; %bb.39:                               ;   in Loop: Header=BB134_38 Depth=1
	s_mov_b64 s[10:11], 0
                                        ; implicit-def: $sgpr12_sgpr13
                                        ; implicit-def: $sgpr14_sgpr15
	s_branch .LBB134_41
.LBB134_40:                             ;   in Loop: Header=BB134_41 Depth=2
	s_or_b64 exec, exec, s[24:25]
	s_and_b64 s[20:21], exec, s[22:23]
	s_or_b64 s[10:11], s[20:21], s[10:11]
	s_andn2_b64 s[12:13], s[12:13], exec
	s_and_b64 s[20:21], s[14:15], exec
	s_or_b64 s[12:13], s[12:13], s[20:21]
	s_andn2_b64 exec, exec, s[10:11]
	s_cbranch_execz .LBB134_47
.LBB134_41:                             ;   Parent Loop BB134_38 Depth=1
                                        ; =>  This Inner Loop Header: Depth=2
	v_mov_b64_e32 v[10:11], v[6:7]
	v_cmp_ne_u64_e32 vcc, s[72:73], v[12:13]
	s_mov_b64 s[20:21], 0
                                        ; implicit-def: $vgpr6_vgpr7
	s_and_saveexec_b64 s[22:23], vcc
	s_xor_b64 s[22:23], exec, s[22:23]
; %bb.42:                               ;   in Loop: Header=BB134_41 Depth=2
	v_add_u32_e32 v6, 1, v10
	s_mov_b64 s[20:21], exec
	v_and_b32_e32 v6, 0x3fff, v6
                                        ; implicit-def: $vgpr14
; %bb.43:                               ;   in Loop: Header=BB134_41 Depth=2
	s_andn2_saveexec_b64 s[22:23], s[22:23]
	s_cbranch_execz .LBB134_45
; %bb.44:                               ;   in Loop: Header=BB134_41 Depth=2
	v_mov_b64_e32 v[6:7], s[72:73]
	ds_cmpst_rtn_b64 v[6:7], v14, v[6:7], v[8:9]
	s_andn2_b64 s[20:21], s[20:21], exec
	s_waitcnt lgkmcnt(0)
	v_cmp_ne_u64_e32 vcc, s[72:73], v[6:7]
	s_and_b64 s[24:25], vcc, exec
	s_or_b64 s[20:21], s[20:21], s[24:25]
	v_mov_b64_e32 v[6:7], v[10:11]
.LBB134_45:                             ;   in Loop: Header=BB134_41 Depth=2
	s_or_b64 exec, exec, s[22:23]
	s_mov_b64 s[22:23], -1
	s_or_b64 s[14:15], s[14:15], exec
                                        ; implicit-def: $vgpr14
                                        ; implicit-def: $vgpr12_vgpr13
	s_and_saveexec_b64 s[24:25], s[20:21]
	s_cbranch_execz .LBB134_40
; %bb.46:                               ;   in Loop: Header=BB134_41 Depth=2
	v_lshl_add_u32 v14, v6, 3, 0
	ds_read_b64 v[12:13], v14
	s_andn2_b64 s[14:15], s[14:15], exec
	s_waitcnt lgkmcnt(0)
	v_cmp_eq_u64_e32 vcc, v[12:13], v[8:9]
	s_orn2_b64 s[22:23], vcc, exec
	s_branch .LBB134_40
.LBB134_47:                             ;   in Loop: Header=BB134_38 Depth=1
	s_or_b64 exec, exec, s[10:11]
	s_and_saveexec_b64 s[10:11], s[12:13]
	s_xor_b64 s[10:11], exec, s[10:11]
	s_cbranch_execz .LBB134_36
; %bb.48:                               ;   in Loop: Header=BB134_38 Depth=1
	v_mov_b32_e32 v6, v10
	s_branch .LBB134_36
.LBB134_49:
	s_or_b64 exec, exec, s[2:3]
.LBB134_50:
	s_movk_i32 s33, 0x25f
	v_cmp_lt_u32_e64 s[34:35], s33, v0
	s_movk_i32 s33, 0x27f
	v_cmp_lt_u32_e64 s[36:37], s33, v0
	;; [unrolled: 2-line block ×4, first 2 shown]
	s_movk_i32 s33, 0x2df
	s_waitcnt lgkmcnt(0)
	v_writelane_b32 v40, s50, 4
	v_cmp_lt_u32_e64 s[42:43], s33, v0
	s_movk_i32 s33, 0x2ff
	v_writelane_b32 v40, s51, 5
	v_cmp_lt_u32_e64 s[44:45], s33, v0
	s_movk_i32 s33, 0x31f
	;; [unrolled: 3-line block ×5, first 2 shown]
	v_writelane_b32 v40, s55, 9
	v_mbcnt_lo_u32_b32 v2, -1, 0
	v_cmp_lt_u32_e64 s[52:53], s33, v0
	s_movk_i32 s33, 0x39f
	v_mbcnt_hi_u32_b32 v2, -1, v2
	v_cmp_lt_u32_e64 s[54:55], s33, v0
	s_movk_i32 s33, 0x3bf
	v_sub_u32_e32 v2, 63, v2
	s_add_i32 s0, 0, 0x40000
	v_cmp_lt_u32_e64 s[56:57], s33, v0
	s_movk_i32 s33, 0x3df
	v_lshrrev_b64 v[4:5], v2, -1
	v_lshrrev_b32_e32 v2, 2, v0
	v_writelane_b32 v40, s0, 10
	v_cmp_lt_u32_e64 s[58:59], s33, v0
	s_add_i32 s33, 0, 0x40008
	v_and_b32_e32 v2, 0xf8, v2
	v_writelane_b32 v40, s33, 11
	s_add_i32 s33, 0, 0x40010
	v_add_u32_e32 v14, s0, v2
	s_movk_i32 s0, 0x3ff
	v_writelane_b32 v40, s33, 12
	s_add_i32 s33, 0, 0x40018
	v_cmp_eq_u32_e32 vcc, s0, v0
	s_movk_i32 s0, 0x5f
	s_movk_i32 s2, 0x7f
	;; [unrolled: 1-line block ×16, first 2 shown]
	v_writelane_b32 v40, s33, 13
	s_add_i32 s33, 0, 0x40028
	v_mov_b32_e32 v3, 0
	v_cmp_lt_u32_e64 s[0:1], s0, v0
	v_cmp_lt_u32_e64 s[2:3], s2, v0
	;; [unrolled: 1-line block ×16, first 2 shown]
	v_mov_b64_e32 v[6:7], 0
	s_add_i32 s81, 0, 0x40020
	v_writelane_b32 v40, s33, 14
	s_add_i32 s84, 0, 0x40030
	s_add_i32 s85, 0, 0x40038
	;; [unrolled: 1-line block ×26, first 2 shown]
	v_cmp_lt_u32_e64 s[60:61], 31, v0
	v_cmp_lt_u32_e64 s[62:63], 63, v0
	s_mov_b64 s[76:77], 0
	s_barrier
	s_branch .LBB134_52
.LBB134_51:                             ;   in Loop: Header=BB134_52 Depth=1
	s_or_b64 exec, exec, s[64:65]
	v_mov_b32_e32 v2, s80
	s_waitcnt lgkmcnt(0)
	s_barrier
	ds_read_b64 v[8:9], v2
	v_add_u32_e32 v1, 0x400, v1
	s_movk_i32 s64, 0x3bff
	v_cmp_lt_u32_e64 s[64:65], s64, v1
	s_or_b64 s[76:77], s[64:65], s[76:77]
	s_waitcnt lgkmcnt(0)
	v_lshl_add_u64 v[6:7], v[8:9], 0, v[6:7]
	v_add_u32_e32 v20, 0x2000, v20
	s_andn2_b64 exec, exec, s[76:77]
	s_cbranch_execz .LBB134_118
.LBB134_52:                             ; =>This Inner Loop Header: Depth=1
	ds_read_b64 v[8:9], v20
	v_add_u32_e32 v2, 0x20000, v20
	ds_read2_b32 v[10:11], v2 offset1:1
	s_waitcnt lgkmcnt(0)
	s_barrier
	v_cmp_gt_i64_e64 s[64:65], s[72:73], v[8:9]
	s_bcnt1_i32_b64 s78, s[64:65]
	v_mov_b32_e32 v2, s78
	v_and_b32_e32 v13, s64, v4
	v_and_b32_e32 v12, s65, v5
	v_bcnt_u32_b32 v13, v13, 0
	v_bcnt_u32_b32 v12, v12, v13
	ds_write_b64 v14, v[2:3]
	s_waitcnt lgkmcnt(0)
	s_barrier
	s_and_saveexec_b64 s[78:79], s[60:61]
	s_cbranch_execnz .LBB134_85
; %bb.53:                               ;   in Loop: Header=BB134_52 Depth=1
	s_or_b64 exec, exec, s[78:79]
	s_and_saveexec_b64 s[78:79], s[62:63]
	s_cbranch_execnz .LBB134_86
.LBB134_54:                             ;   in Loop: Header=BB134_52 Depth=1
	s_or_b64 exec, exec, s[78:79]
	s_and_saveexec_b64 s[78:79], s[0:1]
	s_cbranch_execnz .LBB134_87
.LBB134_55:                             ;   in Loop: Header=BB134_52 Depth=1
	s_or_b64 exec, exec, s[78:79]
	s_and_saveexec_b64 s[78:79], s[2:3]
	s_cbranch_execnz .LBB134_88
.LBB134_56:                             ;   in Loop: Header=BB134_52 Depth=1
	s_or_b64 exec, exec, s[78:79]
	s_and_saveexec_b64 s[78:79], s[4:5]
	s_cbranch_execnz .LBB134_89
.LBB134_57:                             ;   in Loop: Header=BB134_52 Depth=1
	s_or_b64 exec, exec, s[78:79]
	s_and_saveexec_b64 s[78:79], s[6:7]
	s_cbranch_execnz .LBB134_90
.LBB134_58:                             ;   in Loop: Header=BB134_52 Depth=1
	s_or_b64 exec, exec, s[78:79]
	s_and_saveexec_b64 s[78:79], s[8:9]
	s_cbranch_execnz .LBB134_91
.LBB134_59:                             ;   in Loop: Header=BB134_52 Depth=1
	s_or_b64 exec, exec, s[78:79]
	s_and_saveexec_b64 s[78:79], s[10:11]
	s_cbranch_execnz .LBB134_92
.LBB134_60:                             ;   in Loop: Header=BB134_52 Depth=1
	s_or_b64 exec, exec, s[78:79]
	s_and_saveexec_b64 s[78:79], s[12:13]
	s_cbranch_execnz .LBB134_93
.LBB134_61:                             ;   in Loop: Header=BB134_52 Depth=1
	s_or_b64 exec, exec, s[78:79]
	s_and_saveexec_b64 s[78:79], s[14:15]
	s_cbranch_execnz .LBB134_94
.LBB134_62:                             ;   in Loop: Header=BB134_52 Depth=1
	s_or_b64 exec, exec, s[78:79]
	s_and_saveexec_b64 s[78:79], s[16:17]
	s_cbranch_execnz .LBB134_95
.LBB134_63:                             ;   in Loop: Header=BB134_52 Depth=1
	s_or_b64 exec, exec, s[78:79]
	s_and_saveexec_b64 s[78:79], s[18:19]
	s_cbranch_execnz .LBB134_96
.LBB134_64:                             ;   in Loop: Header=BB134_52 Depth=1
	s_or_b64 exec, exec, s[78:79]
	s_and_saveexec_b64 s[78:79], s[20:21]
	s_cbranch_execnz .LBB134_97
.LBB134_65:                             ;   in Loop: Header=BB134_52 Depth=1
	s_or_b64 exec, exec, s[78:79]
	s_and_saveexec_b64 s[78:79], s[22:23]
	s_cbranch_execnz .LBB134_98
.LBB134_66:                             ;   in Loop: Header=BB134_52 Depth=1
	s_or_b64 exec, exec, s[78:79]
	s_and_saveexec_b64 s[78:79], s[24:25]
	s_cbranch_execnz .LBB134_99
.LBB134_67:                             ;   in Loop: Header=BB134_52 Depth=1
	s_or_b64 exec, exec, s[78:79]
	s_and_saveexec_b64 s[78:79], s[26:27]
	s_cbranch_execnz .LBB134_100
.LBB134_68:                             ;   in Loop: Header=BB134_52 Depth=1
	s_or_b64 exec, exec, s[78:79]
	s_and_saveexec_b64 s[78:79], s[28:29]
	s_cbranch_execnz .LBB134_101
.LBB134_69:                             ;   in Loop: Header=BB134_52 Depth=1
	s_or_b64 exec, exec, s[78:79]
	s_and_saveexec_b64 s[78:79], s[30:31]
	s_cbranch_execnz .LBB134_102
.LBB134_70:                             ;   in Loop: Header=BB134_52 Depth=1
	s_or_b64 exec, exec, s[78:79]
	s_and_saveexec_b64 s[78:79], s[34:35]
	s_cbranch_execnz .LBB134_103
.LBB134_71:                             ;   in Loop: Header=BB134_52 Depth=1
	s_or_b64 exec, exec, s[78:79]
	s_and_saveexec_b64 s[78:79], s[36:37]
	s_cbranch_execnz .LBB134_104
.LBB134_72:                             ;   in Loop: Header=BB134_52 Depth=1
	s_or_b64 exec, exec, s[78:79]
	s_and_saveexec_b64 s[78:79], s[38:39]
	s_cbranch_execnz .LBB134_105
.LBB134_73:                             ;   in Loop: Header=BB134_52 Depth=1
	s_or_b64 exec, exec, s[78:79]
	s_and_saveexec_b64 s[78:79], s[40:41]
	s_cbranch_execnz .LBB134_106
.LBB134_74:                             ;   in Loop: Header=BB134_52 Depth=1
	s_or_b64 exec, exec, s[78:79]
	s_and_saveexec_b64 s[78:79], s[42:43]
	s_cbranch_execnz .LBB134_107
.LBB134_75:                             ;   in Loop: Header=BB134_52 Depth=1
	s_or_b64 exec, exec, s[78:79]
	s_and_saveexec_b64 s[78:79], s[44:45]
	s_cbranch_execnz .LBB134_108
.LBB134_76:                             ;   in Loop: Header=BB134_52 Depth=1
	s_or_b64 exec, exec, s[78:79]
	s_and_saveexec_b64 s[78:79], s[46:47]
	s_cbranch_execnz .LBB134_109
.LBB134_77:                             ;   in Loop: Header=BB134_52 Depth=1
	s_or_b64 exec, exec, s[78:79]
	s_and_saveexec_b64 s[78:79], s[48:49]
	s_cbranch_execnz .LBB134_110
.LBB134_78:                             ;   in Loop: Header=BB134_52 Depth=1
	s_or_b64 exec, exec, s[78:79]
	s_and_saveexec_b64 s[78:79], s[50:51]
	s_cbranch_execnz .LBB134_111
.LBB134_79:                             ;   in Loop: Header=BB134_52 Depth=1
	s_or_b64 exec, exec, s[78:79]
	s_and_saveexec_b64 s[78:79], s[52:53]
	s_cbranch_execnz .LBB134_112
.LBB134_80:                             ;   in Loop: Header=BB134_52 Depth=1
	s_or_b64 exec, exec, s[78:79]
	s_and_saveexec_b64 s[78:79], s[54:55]
	s_cbranch_execnz .LBB134_113
.LBB134_81:                             ;   in Loop: Header=BB134_52 Depth=1
	s_or_b64 exec, exec, s[78:79]
	s_and_saveexec_b64 s[78:79], s[56:57]
	s_cbranch_execnz .LBB134_114
.LBB134_82:                             ;   in Loop: Header=BB134_52 Depth=1
	s_or_b64 exec, exec, s[78:79]
	s_and_saveexec_b64 s[78:79], s[58:59]
	s_cbranch_execnz .LBB134_115
.LBB134_83:                             ;   in Loop: Header=BB134_52 Depth=1
	s_or_b64 exec, exec, s[78:79]
	v_ashrrev_i32_e32 v13, 31, v12
	s_and_saveexec_b64 s[78:79], s[64:65]
	s_cbranch_execnz .LBB134_116
.LBB134_84:                             ;   in Loop: Header=BB134_52 Depth=1
	s_or_b64 exec, exec, s[78:79]
	s_and_saveexec_b64 s[64:65], vcc
	s_cbranch_execz .LBB134_51
	s_branch .LBB134_117
.LBB134_85:                             ;   in Loop: Header=BB134_52 Depth=1
	v_readlane_b32 s82, v40, 10
	s_nop 1
	v_mov_b32_e32 v2, s82
	ds_read_b32 v2, v2
	s_waitcnt lgkmcnt(0)
	v_add_u32_e32 v12, v2, v12
	s_or_b64 exec, exec, s[78:79]
	s_and_saveexec_b64 s[78:79], s[62:63]
	s_cbranch_execz .LBB134_54
.LBB134_86:                             ;   in Loop: Header=BB134_52 Depth=1
	v_readlane_b32 s82, v40, 11
	s_nop 1
	v_mov_b32_e32 v2, s82
	ds_read_b32 v2, v2
	s_waitcnt lgkmcnt(0)
	v_add_u32_e32 v12, v12, v2
	s_or_b64 exec, exec, s[78:79]
	s_and_saveexec_b64 s[78:79], s[0:1]
	s_cbranch_execz .LBB134_55
.LBB134_87:                             ;   in Loop: Header=BB134_52 Depth=1
	v_readlane_b32 s82, v40, 12
	s_nop 1
	v_mov_b32_e32 v2, s82
	ds_read_b32 v2, v2
	s_waitcnt lgkmcnt(0)
	v_add_u32_e32 v12, v12, v2
	s_or_b64 exec, exec, s[78:79]
	s_and_saveexec_b64 s[78:79], s[2:3]
	s_cbranch_execz .LBB134_56
.LBB134_88:                             ;   in Loop: Header=BB134_52 Depth=1
	v_readlane_b32 s82, v40, 13
	s_nop 1
	v_mov_b32_e32 v2, s82
	ds_read_b32 v2, v2
	s_waitcnt lgkmcnt(0)
	v_add_u32_e32 v12, v12, v2
	s_or_b64 exec, exec, s[78:79]
	s_and_saveexec_b64 s[78:79], s[4:5]
	s_cbranch_execz .LBB134_57
.LBB134_89:                             ;   in Loop: Header=BB134_52 Depth=1
	v_mov_b32_e32 v2, s81
	ds_read_b32 v2, v2
	s_waitcnt lgkmcnt(0)
	v_add_u32_e32 v12, v12, v2
	s_or_b64 exec, exec, s[78:79]
	s_and_saveexec_b64 s[78:79], s[6:7]
	s_cbranch_execz .LBB134_58
.LBB134_90:                             ;   in Loop: Header=BB134_52 Depth=1
	v_readlane_b32 s82, v40, 14
	s_nop 1
	v_mov_b32_e32 v2, s82
	ds_read_b32 v2, v2
	s_waitcnt lgkmcnt(0)
	v_add_u32_e32 v12, v12, v2
	s_or_b64 exec, exec, s[78:79]
	s_and_saveexec_b64 s[78:79], s[8:9]
	s_cbranch_execz .LBB134_59
.LBB134_91:                             ;   in Loop: Header=BB134_52 Depth=1
	v_mov_b32_e32 v2, s84
	ds_read_b32 v2, v2
	s_waitcnt lgkmcnt(0)
	v_add_u32_e32 v12, v12, v2
	s_or_b64 exec, exec, s[78:79]
	s_and_saveexec_b64 s[78:79], s[10:11]
	s_cbranch_execz .LBB134_60
.LBB134_92:                             ;   in Loop: Header=BB134_52 Depth=1
	v_mov_b32_e32 v2, s85
	ds_read_b32 v2, v2
	s_waitcnt lgkmcnt(0)
	v_add_u32_e32 v12, v12, v2
	s_or_b64 exec, exec, s[78:79]
	s_and_saveexec_b64 s[78:79], s[12:13]
	s_cbranch_execz .LBB134_61
.LBB134_93:                             ;   in Loop: Header=BB134_52 Depth=1
	v_mov_b32_e32 v2, s86
	ds_read_b32 v2, v2
	s_waitcnt lgkmcnt(0)
	v_add_u32_e32 v12, v12, v2
	s_or_b64 exec, exec, s[78:79]
	s_and_saveexec_b64 s[78:79], s[14:15]
	s_cbranch_execz .LBB134_62
.LBB134_94:                             ;   in Loop: Header=BB134_52 Depth=1
	v_mov_b32_e32 v2, s87
	ds_read_b32 v2, v2
	s_waitcnt lgkmcnt(0)
	v_add_u32_e32 v12, v12, v2
	s_or_b64 exec, exec, s[78:79]
	s_and_saveexec_b64 s[78:79], s[16:17]
	s_cbranch_execz .LBB134_63
.LBB134_95:                             ;   in Loop: Header=BB134_52 Depth=1
	v_mov_b32_e32 v2, s88
	ds_read_b32 v2, v2
	s_waitcnt lgkmcnt(0)
	v_add_u32_e32 v12, v12, v2
	s_or_b64 exec, exec, s[78:79]
	s_and_saveexec_b64 s[78:79], s[18:19]
	s_cbranch_execz .LBB134_64
.LBB134_96:                             ;   in Loop: Header=BB134_52 Depth=1
	v_mov_b32_e32 v2, s89
	ds_read_b32 v2, v2
	s_waitcnt lgkmcnt(0)
	v_add_u32_e32 v12, v12, v2
	s_or_b64 exec, exec, s[78:79]
	s_and_saveexec_b64 s[78:79], s[20:21]
	s_cbranch_execz .LBB134_65
.LBB134_97:                             ;   in Loop: Header=BB134_52 Depth=1
	v_mov_b32_e32 v2, s90
	ds_read_b32 v2, v2
	s_waitcnt lgkmcnt(0)
	v_add_u32_e32 v12, v12, v2
	s_or_b64 exec, exec, s[78:79]
	s_and_saveexec_b64 s[78:79], s[22:23]
	s_cbranch_execz .LBB134_66
.LBB134_98:                             ;   in Loop: Header=BB134_52 Depth=1
	v_mov_b32_e32 v2, s91
	ds_read_b32 v2, v2
	s_waitcnt lgkmcnt(0)
	v_add_u32_e32 v12, v12, v2
	s_or_b64 exec, exec, s[78:79]
	s_and_saveexec_b64 s[78:79], s[24:25]
	s_cbranch_execz .LBB134_67
.LBB134_99:                             ;   in Loop: Header=BB134_52 Depth=1
	v_mov_b32_e32 v2, s92
	ds_read_b32 v2, v2
	s_waitcnt lgkmcnt(0)
	v_add_u32_e32 v12, v12, v2
	s_or_b64 exec, exec, s[78:79]
	s_and_saveexec_b64 s[78:79], s[26:27]
	s_cbranch_execz .LBB134_68
.LBB134_100:                            ;   in Loop: Header=BB134_52 Depth=1
	v_mov_b32_e32 v2, s93
	ds_read_b32 v2, v2
	s_waitcnt lgkmcnt(0)
	v_add_u32_e32 v12, v12, v2
	s_or_b64 exec, exec, s[78:79]
	s_and_saveexec_b64 s[78:79], s[28:29]
	s_cbranch_execz .LBB134_69
.LBB134_101:                            ;   in Loop: Header=BB134_52 Depth=1
	v_mov_b32_e32 v2, s94
	ds_read_b32 v2, v2
	s_waitcnt lgkmcnt(0)
	v_add_u32_e32 v12, v12, v2
	s_or_b64 exec, exec, s[78:79]
	s_and_saveexec_b64 s[78:79], s[30:31]
	s_cbranch_execz .LBB134_70
.LBB134_102:                            ;   in Loop: Header=BB134_52 Depth=1
	v_mov_b32_e32 v2, s95
	ds_read_b32 v2, v2
	s_waitcnt lgkmcnt(0)
	v_add_u32_e32 v12, v12, v2
	s_or_b64 exec, exec, s[78:79]
	s_and_saveexec_b64 s[78:79], s[34:35]
	s_cbranch_execz .LBB134_71
.LBB134_103:                            ;   in Loop: Header=BB134_52 Depth=1
	v_mov_b32_e32 v2, s96
	ds_read_b32 v2, v2
	s_waitcnt lgkmcnt(0)
	v_add_u32_e32 v12, v12, v2
	s_or_b64 exec, exec, s[78:79]
	s_and_saveexec_b64 s[78:79], s[36:37]
	s_cbranch_execz .LBB134_72
.LBB134_104:                            ;   in Loop: Header=BB134_52 Depth=1
	v_mov_b32_e32 v2, s97
	ds_read_b32 v2, v2
	s_waitcnt lgkmcnt(0)
	v_add_u32_e32 v12, v12, v2
	s_or_b64 exec, exec, s[78:79]
	s_and_saveexec_b64 s[78:79], s[38:39]
	s_cbranch_execz .LBB134_73
.LBB134_105:                            ;   in Loop: Header=BB134_52 Depth=1
	v_mov_b32_e32 v2, s98
	ds_read_b32 v2, v2
	s_waitcnt lgkmcnt(0)
	v_add_u32_e32 v12, v12, v2
	s_or_b64 exec, exec, s[78:79]
	s_and_saveexec_b64 s[78:79], s[40:41]
	s_cbranch_execz .LBB134_74
.LBB134_106:                            ;   in Loop: Header=BB134_52 Depth=1
	v_mov_b32_e32 v2, s99
	ds_read_b32 v2, v2
	s_waitcnt lgkmcnt(0)
	v_add_u32_e32 v12, v12, v2
	s_or_b64 exec, exec, s[78:79]
	s_and_saveexec_b64 s[78:79], s[42:43]
	s_cbranch_execz .LBB134_75
.LBB134_107:                            ;   in Loop: Header=BB134_52 Depth=1
	v_mov_b32_e32 v2, s70
	ds_read_b32 v2, v2
	s_waitcnt lgkmcnt(0)
	v_add_u32_e32 v12, v12, v2
	s_or_b64 exec, exec, s[78:79]
	s_and_saveexec_b64 s[78:79], s[44:45]
	s_cbranch_execz .LBB134_76
.LBB134_108:                            ;   in Loop: Header=BB134_52 Depth=1
	v_mov_b32_e32 v2, s71
	ds_read_b32 v2, v2
	s_waitcnt lgkmcnt(0)
	v_add_u32_e32 v12, v12, v2
	s_or_b64 exec, exec, s[78:79]
	s_and_saveexec_b64 s[78:79], s[46:47]
	s_cbranch_execz .LBB134_77
.LBB134_109:                            ;   in Loop: Header=BB134_52 Depth=1
	v_mov_b32_e32 v2, s74
	ds_read_b32 v2, v2
	s_waitcnt lgkmcnt(0)
	v_add_u32_e32 v12, v12, v2
	s_or_b64 exec, exec, s[78:79]
	s_and_saveexec_b64 s[78:79], s[48:49]
	s_cbranch_execz .LBB134_78
.LBB134_110:                            ;   in Loop: Header=BB134_52 Depth=1
	v_mov_b32_e32 v2, s75
	ds_read_b32 v2, v2
	s_waitcnt lgkmcnt(0)
	v_add_u32_e32 v12, v12, v2
	s_or_b64 exec, exec, s[78:79]
	s_and_saveexec_b64 s[78:79], s[50:51]
	s_cbranch_execz .LBB134_79
.LBB134_111:                            ;   in Loop: Header=BB134_52 Depth=1
	v_mov_b32_e32 v2, s66
	ds_read_b32 v2, v2
	s_waitcnt lgkmcnt(0)
	v_add_u32_e32 v12, v12, v2
	s_or_b64 exec, exec, s[78:79]
	s_and_saveexec_b64 s[78:79], s[52:53]
	s_cbranch_execz .LBB134_80
.LBB134_112:                            ;   in Loop: Header=BB134_52 Depth=1
	v_mov_b32_e32 v2, s68
	ds_read_b32 v2, v2
	s_waitcnt lgkmcnt(0)
	v_add_u32_e32 v12, v12, v2
	s_or_b64 exec, exec, s[78:79]
	s_and_saveexec_b64 s[78:79], s[54:55]
	s_cbranch_execz .LBB134_81
.LBB134_113:                            ;   in Loop: Header=BB134_52 Depth=1
	v_mov_b32_e32 v2, s69
	ds_read_b32 v2, v2
	s_waitcnt lgkmcnt(0)
	v_add_u32_e32 v12, v12, v2
	s_or_b64 exec, exec, s[78:79]
	s_and_saveexec_b64 s[78:79], s[56:57]
	s_cbranch_execz .LBB134_82
.LBB134_114:                            ;   in Loop: Header=BB134_52 Depth=1
	v_mov_b32_e32 v2, s33
	ds_read_b32 v2, v2
	s_waitcnt lgkmcnt(0)
	v_add_u32_e32 v12, v12, v2
	s_or_b64 exec, exec, s[78:79]
	s_and_saveexec_b64 s[78:79], s[58:59]
	s_cbranch_execz .LBB134_83
.LBB134_115:                            ;   in Loop: Header=BB134_52 Depth=1
	v_mov_b32_e32 v2, s67
	ds_read_b32 v2, v2
	s_waitcnt lgkmcnt(0)
	v_add_u32_e32 v12, v12, v2
	s_or_b64 exec, exec, s[78:79]
	v_ashrrev_i32_e32 v13, 31, v12
	s_and_saveexec_b64 s[78:79], s[64:65]
	s_cbranch_execz .LBB134_84
.LBB134_116:                            ;   in Loop: Header=BB134_52 Depth=1
	v_add3_u32 v2, v6, -1, v12
	v_lshl_add_u32 v2, v2, 3, 0
	v_add_u32_e32 v15, 0x20000, v2
	ds_write_b64 v2, v[8:9]
	ds_write2_b32 v15, v10, v11 offset1:1
	s_or_b64 exec, exec, s[78:79]
	s_and_saveexec_b64 s[64:65], vcc
	s_cbranch_execz .LBB134_51
.LBB134_117:                            ;   in Loop: Header=BB134_52 Depth=1
	v_mov_b32_e32 v2, s80
	ds_write_b64 v2, v[12:13]
	s_branch .LBB134_51
.LBB134_118:
	s_or_b64 exec, exec, s[76:77]
	v_readlane_b32 s0, v40, 4
	v_readlane_b32 s1, v40, 5
	s_lshl_b64 s[0:1], s[0:1], 3
	v_readlane_b32 s2, v40, 0
	v_readlane_b32 s3, v40, 1
	s_add_u32 s4, s2, s0
	s_addc_u32 s5, s3, s1
	s_load_dwordx4 s[0:3], s[4:5], 0x0
	v_mov_b32_e32 v1, 0
	s_waitcnt lgkmcnt(0)
	s_sub_u32 s4, s2, s0
	s_subb_u32 s5, s3, s1
	v_cmp_gt_i64_e32 vcc, s[4:5], v[0:1]
	s_and_saveexec_b64 s[6:7], vcc
	s_cbranch_execz .LBB134_128
; %bb.119:
	v_readlane_b32 s8, v40, 6
	v_readlane_b32 s10, v40, 8
	;; [unrolled: 1-line block ×3, first 2 shown]
	s_sub_u32 s8, s0, s10
	s_subb_u32 s9, s1, 0
	s_and_b32 s6, s4, 7
	s_sub_u32 s0, s0, s2
	s_mov_b32 s7, 0
	s_subb_u32 s1, s1, s3
	s_and_b32 s10, s4, -8
	s_cmp_lg_u64 s[6:7], 0
	v_cmp_lt_u64_e64 s[0:1], s[0:1], -7
	s_cselect_b64 s[2:3], -1, 0
	v_readlane_b32 s11, v40, 9
	v_cndmask_b32_e64 v2, 0, 1, s[0:1]
	v_cmp_ne_u32_e64 s[0:1], 1, v2
	v_cndmask_b32_e64 v2, 0, 1, s[2:3]
	s_mov_b32 s11, s5
	s_mov_b64 s[12:13], 0
	v_cmp_ne_u32_e64 s[2:3], 1, v2
	s_mov_b64 s[14:15], 0x400
	s_branch .LBB134_121
.LBB134_120:                            ;   in Loop: Header=BB134_121 Depth=1
	v_readlane_b32 s16, v40, 2
	v_lshl_add_u64 v[0:1], v[0:1], 0, s[14:15]
	v_readlane_b32 s17, v40, 3
	v_cmp_le_i64_e32 vcc, s[4:5], v[0:1]
	s_or_b64 s[12:13], vcc, s[12:13]
	s_waitcnt lgkmcnt(1)
	v_lshl_add_u64 v[4:5], v[6:7], 3, s[16:17]
	s_waitcnt lgkmcnt(0)
	global_store_dwordx2 v[4:5], v[2:3], off
	s_andn2_b64 exec, exec, s[12:13]
	s_cbranch_execz .LBB134_128
.LBB134_121:                            ; =>This Loop Header: Depth=1
                                        ;     Child Loop BB134_123 Depth 2
                                        ;     Child Loop BB134_127 Depth 2
	v_lshl_add_u32 v2, v0, 3, 0
	v_add_u32_e32 v3, 0x20000, v2
	ds_read_b64 v[4:5], v2
	ds_read2_b32 v[2:3], v3 offset1:1
	s_and_b64 vcc, exec, s[0:1]
	v_mov_b64_e32 v[6:7], s[8:9]
	s_mov_b64 s[16:17], 0
	s_cbranch_vccnz .LBB134_125
; %bb.122:                              ;   in Loop: Header=BB134_121 Depth=1
	s_mov_b32 s18, 0
	v_mov_b64_e32 v[6:7], s[8:9]
.LBB134_123:                            ;   Parent Loop BB134_121 Depth=1
                                        ; =>  This Inner Loop Header: Depth=2
	v_mov_b32_e32 v20, s18
	ds_read2_b64 v[8:11], v20 offset1:1
	ds_read2_b64 v[12:15], v20 offset0:2 offset1:3
	ds_read2_b64 v[16:19], v20 offset0:4 offset1:5
	ds_read2_b64 v[20:23], v20 offset0:6 offset1:7
	v_mov_b32_e32 v25, s7
	s_waitcnt lgkmcnt(3)
	v_cmp_gt_i64_e32 vcc, v[4:5], v[8:9]
	v_mov_b32_e32 v27, s7
	v_mov_b32_e32 v29, s7
	v_cndmask_b32_e64 v24, 0, 1, vcc
	v_cmp_gt_i64_e32 vcc, v[4:5], v[10:11]
	v_lshl_add_u64 v[6:7], v[6:7], 0, v[24:25]
	v_mov_b32_e32 v31, s7
	v_cndmask_b32_e64 v26, 0, 1, vcc
	s_waitcnt lgkmcnt(2)
	v_cmp_gt_i64_e32 vcc, v[4:5], v[12:13]
	v_lshl_add_u64 v[6:7], v[6:7], 0, v[26:27]
	v_mov_b32_e32 v33, s7
	v_cndmask_b32_e64 v28, 0, 1, vcc
	v_cmp_gt_i64_e32 vcc, v[4:5], v[14:15]
	v_lshl_add_u64 v[6:7], v[6:7], 0, v[28:29]
	v_mov_b32_e32 v35, s7
	v_cndmask_b32_e64 v30, 0, 1, vcc
	s_waitcnt lgkmcnt(1)
	v_cmp_gt_i64_e32 vcc, v[4:5], v[16:17]
	v_lshl_add_u64 v[6:7], v[6:7], 0, v[30:31]
	v_mov_b32_e32 v37, s7
	v_cndmask_b32_e64 v32, 0, 1, vcc
	v_cmp_gt_i64_e32 vcc, v[4:5], v[18:19]
	v_lshl_add_u64 v[6:7], v[6:7], 0, v[32:33]
	s_add_u32 s16, s16, 8
	v_cndmask_b32_e64 v34, 0, 1, vcc
	s_waitcnt lgkmcnt(0)
	v_cmp_gt_i64_e32 vcc, v[4:5], v[20:21]
	v_lshl_add_u64 v[6:7], v[6:7], 0, v[34:35]
	v_mov_b32_e32 v39, s7
	v_cndmask_b32_e64 v36, 0, 1, vcc
	v_cmp_gt_i64_e32 vcc, v[4:5], v[22:23]
	s_addc_u32 s17, s17, 0
	s_add_i32 s18, s18, 64
	v_cndmask_b32_e64 v38, 0, 1, vcc
	v_lshl_add_u64 v[6:7], v[6:7], 0, v[36:37]
	s_cmp_eq_u64 s[10:11], s[16:17]
	v_lshl_add_u64 v[6:7], v[6:7], 0, v[38:39]
	s_cbranch_scc0 .LBB134_123
; %bb.124:                              ;   in Loop: Header=BB134_121 Depth=1
	s_mov_b64 s[16:17], s[10:11]
.LBB134_125:                            ;   in Loop: Header=BB134_121 Depth=1
	s_and_b64 vcc, exec, s[2:3]
	s_cbranch_vccnz .LBB134_120
; %bb.126:                              ;   in Loop: Header=BB134_121 Depth=1
	s_lshl_b32 s16, s16, 3
	s_add_i32 s18, s16, 0
	s_mov_b64 s[16:17], s[6:7]
.LBB134_127:                            ;   Parent Loop BB134_121 Depth=1
                                        ; =>  This Inner Loop Header: Depth=2
	v_mov_b32_e32 v8, s18
	ds_read_b64 v[10:11], v8
	s_add_i32 s18, s18, 8
	s_add_u32 s16, s16, -1
	v_mov_b32_e32 v9, s7
	s_addc_u32 s17, s17, -1
	s_waitcnt lgkmcnt(0)
	v_cmp_gt_i64_e32 vcc, v[4:5], v[10:11]
	s_cmp_lg_u64 s[16:17], 0
	s_nop 0
	v_cndmask_b32_e64 v8, 0, 1, vcc
	v_lshl_add_u64 v[6:7], v[6:7], 0, v[8:9]
	s_cbranch_scc1 .LBB134_127
	s_branch .LBB134_120
.LBB134_128:
	s_endpgm
	.section	.rodata,"a",@progbits
	.p2align	6, 0x0
	.amdhsa_kernel _ZN9rocsparseL41csrgemm_numeric_fill_block_per_row_kernelILj1024ELj64ELj16384ELj137ELj32Ell21rocsparse_complex_numIfEEEvT5_PKS3_S5_NS_24const_host_device_scalarIT6_EEPKT4_S5_PKS7_SB_S5_SD_S8_SB_S5_SD_SB_S5_PS7_21rocsparse_index_base_SF_SF_SF_bbb
		.amdhsa_group_segment_fixed_size 0
		.amdhsa_private_segment_fixed_size 0
		.amdhsa_kernarg_size 156
		.amdhsa_user_sgpr_count 2
		.amdhsa_user_sgpr_dispatch_ptr 0
		.amdhsa_user_sgpr_queue_ptr 0
		.amdhsa_user_sgpr_kernarg_segment_ptr 1
		.amdhsa_user_sgpr_dispatch_id 0
		.amdhsa_user_sgpr_kernarg_preload_length 0
		.amdhsa_user_sgpr_kernarg_preload_offset 0
		.amdhsa_user_sgpr_private_segment_size 0
		.amdhsa_uses_dynamic_stack 0
		.amdhsa_enable_private_segment 0
		.amdhsa_system_sgpr_workgroup_id_x 1
		.amdhsa_system_sgpr_workgroup_id_y 0
		.amdhsa_system_sgpr_workgroup_id_z 0
		.amdhsa_system_sgpr_workgroup_info 0
		.amdhsa_system_vgpr_workitem_id 0
		.amdhsa_next_free_vgpr 41
		.amdhsa_next_free_sgpr 100
		.amdhsa_accum_offset 44
		.amdhsa_reserve_vcc 1
		.amdhsa_float_round_mode_32 0
		.amdhsa_float_round_mode_16_64 0
		.amdhsa_float_denorm_mode_32 3
		.amdhsa_float_denorm_mode_16_64 3
		.amdhsa_dx10_clamp 1
		.amdhsa_ieee_mode 1
		.amdhsa_fp16_overflow 0
		.amdhsa_tg_split 0
		.amdhsa_exception_fp_ieee_invalid_op 0
		.amdhsa_exception_fp_denorm_src 0
		.amdhsa_exception_fp_ieee_div_zero 0
		.amdhsa_exception_fp_ieee_overflow 0
		.amdhsa_exception_fp_ieee_underflow 0
		.amdhsa_exception_fp_ieee_inexact 0
		.amdhsa_exception_int_div_zero 0
	.end_amdhsa_kernel
	.section	.text._ZN9rocsparseL41csrgemm_numeric_fill_block_per_row_kernelILj1024ELj64ELj16384ELj137ELj32Ell21rocsparse_complex_numIfEEEvT5_PKS3_S5_NS_24const_host_device_scalarIT6_EEPKT4_S5_PKS7_SB_S5_SD_S8_SB_S5_SD_SB_S5_PS7_21rocsparse_index_base_SF_SF_SF_bbb,"axG",@progbits,_ZN9rocsparseL41csrgemm_numeric_fill_block_per_row_kernelILj1024ELj64ELj16384ELj137ELj32Ell21rocsparse_complex_numIfEEEvT5_PKS3_S5_NS_24const_host_device_scalarIT6_EEPKT4_S5_PKS7_SB_S5_SD_S8_SB_S5_SD_SB_S5_PS7_21rocsparse_index_base_SF_SF_SF_bbb,comdat
.Lfunc_end134:
	.size	_ZN9rocsparseL41csrgemm_numeric_fill_block_per_row_kernelILj1024ELj64ELj16384ELj137ELj32Ell21rocsparse_complex_numIfEEEvT5_PKS3_S5_NS_24const_host_device_scalarIT6_EEPKT4_S5_PKS7_SB_S5_SD_S8_SB_S5_SD_SB_S5_PS7_21rocsparse_index_base_SF_SF_SF_bbb, .Lfunc_end134-_ZN9rocsparseL41csrgemm_numeric_fill_block_per_row_kernelILj1024ELj64ELj16384ELj137ELj32Ell21rocsparse_complex_numIfEEEvT5_PKS3_S5_NS_24const_host_device_scalarIT6_EEPKT4_S5_PKS7_SB_S5_SD_S8_SB_S5_SD_SB_S5_PS7_21rocsparse_index_base_SF_SF_SF_bbb
                                        ; -- End function
	.set _ZN9rocsparseL41csrgemm_numeric_fill_block_per_row_kernelILj1024ELj64ELj16384ELj137ELj32Ell21rocsparse_complex_numIfEEEvT5_PKS3_S5_NS_24const_host_device_scalarIT6_EEPKT4_S5_PKS7_SB_S5_SD_S8_SB_S5_SD_SB_S5_PS7_21rocsparse_index_base_SF_SF_SF_bbb.num_vgpr, 41
	.set _ZN9rocsparseL41csrgemm_numeric_fill_block_per_row_kernelILj1024ELj64ELj16384ELj137ELj32Ell21rocsparse_complex_numIfEEEvT5_PKS3_S5_NS_24const_host_device_scalarIT6_EEPKT4_S5_PKS7_SB_S5_SD_S8_SB_S5_SD_SB_S5_PS7_21rocsparse_index_base_SF_SF_SF_bbb.num_agpr, 0
	.set _ZN9rocsparseL41csrgemm_numeric_fill_block_per_row_kernelILj1024ELj64ELj16384ELj137ELj32Ell21rocsparse_complex_numIfEEEvT5_PKS3_S5_NS_24const_host_device_scalarIT6_EEPKT4_S5_PKS7_SB_S5_SD_S8_SB_S5_SD_SB_S5_PS7_21rocsparse_index_base_SF_SF_SF_bbb.numbered_sgpr, 100
	.set _ZN9rocsparseL41csrgemm_numeric_fill_block_per_row_kernelILj1024ELj64ELj16384ELj137ELj32Ell21rocsparse_complex_numIfEEEvT5_PKS3_S5_NS_24const_host_device_scalarIT6_EEPKT4_S5_PKS7_SB_S5_SD_S8_SB_S5_SD_SB_S5_PS7_21rocsparse_index_base_SF_SF_SF_bbb.num_named_barrier, 0
	.set _ZN9rocsparseL41csrgemm_numeric_fill_block_per_row_kernelILj1024ELj64ELj16384ELj137ELj32Ell21rocsparse_complex_numIfEEEvT5_PKS3_S5_NS_24const_host_device_scalarIT6_EEPKT4_S5_PKS7_SB_S5_SD_S8_SB_S5_SD_SB_S5_PS7_21rocsparse_index_base_SF_SF_SF_bbb.private_seg_size, 0
	.set _ZN9rocsparseL41csrgemm_numeric_fill_block_per_row_kernelILj1024ELj64ELj16384ELj137ELj32Ell21rocsparse_complex_numIfEEEvT5_PKS3_S5_NS_24const_host_device_scalarIT6_EEPKT4_S5_PKS7_SB_S5_SD_S8_SB_S5_SD_SB_S5_PS7_21rocsparse_index_base_SF_SF_SF_bbb.uses_vcc, 1
	.set _ZN9rocsparseL41csrgemm_numeric_fill_block_per_row_kernelILj1024ELj64ELj16384ELj137ELj32Ell21rocsparse_complex_numIfEEEvT5_PKS3_S5_NS_24const_host_device_scalarIT6_EEPKT4_S5_PKS7_SB_S5_SD_S8_SB_S5_SD_SB_S5_PS7_21rocsparse_index_base_SF_SF_SF_bbb.uses_flat_scratch, 0
	.set _ZN9rocsparseL41csrgemm_numeric_fill_block_per_row_kernelILj1024ELj64ELj16384ELj137ELj32Ell21rocsparse_complex_numIfEEEvT5_PKS3_S5_NS_24const_host_device_scalarIT6_EEPKT4_S5_PKS7_SB_S5_SD_S8_SB_S5_SD_SB_S5_PS7_21rocsparse_index_base_SF_SF_SF_bbb.has_dyn_sized_stack, 0
	.set _ZN9rocsparseL41csrgemm_numeric_fill_block_per_row_kernelILj1024ELj64ELj16384ELj137ELj32Ell21rocsparse_complex_numIfEEEvT5_PKS3_S5_NS_24const_host_device_scalarIT6_EEPKT4_S5_PKS7_SB_S5_SD_S8_SB_S5_SD_SB_S5_PS7_21rocsparse_index_base_SF_SF_SF_bbb.has_recursion, 0
	.set _ZN9rocsparseL41csrgemm_numeric_fill_block_per_row_kernelILj1024ELj64ELj16384ELj137ELj32Ell21rocsparse_complex_numIfEEEvT5_PKS3_S5_NS_24const_host_device_scalarIT6_EEPKT4_S5_PKS7_SB_S5_SD_S8_SB_S5_SD_SB_S5_PS7_21rocsparse_index_base_SF_SF_SF_bbb.has_indirect_call, 0
	.section	.AMDGPU.csdata,"",@progbits
; Kernel info:
; codeLenInByte = 4792
; TotalNumSgprs: 106
; NumVgprs: 41
; NumAgprs: 0
; TotalNumVgprs: 41
; ScratchSize: 0
; MemoryBound: 0
; FloatMode: 240
; IeeeMode: 1
; LDSByteSize: 0 bytes/workgroup (compile time only)
; SGPRBlocks: 13
; VGPRBlocks: 5
; NumSGPRsForWavesPerEU: 106
; NumVGPRsForWavesPerEU: 41
; AccumOffset: 44
; Occupancy: 7
; WaveLimiterHint : 1
; COMPUTE_PGM_RSRC2:SCRATCH_EN: 0
; COMPUTE_PGM_RSRC2:USER_SGPR: 2
; COMPUTE_PGM_RSRC2:TRAP_HANDLER: 0
; COMPUTE_PGM_RSRC2:TGID_X_EN: 1
; COMPUTE_PGM_RSRC2:TGID_Y_EN: 0
; COMPUTE_PGM_RSRC2:TGID_Z_EN: 0
; COMPUTE_PGM_RSRC2:TIDIG_COMP_CNT: 0
; COMPUTE_PGM_RSRC3_GFX90A:ACCUM_OFFSET: 10
; COMPUTE_PGM_RSRC3_GFX90A:TG_SPLIT: 0
	.section	.text._ZN9rocsparseL41csrgemm_numeric_fill_block_per_row_kernelILj1024ELj64ELj16384ELj137ELj64Ell21rocsparse_complex_numIfEEEvT5_PKS3_S5_NS_24const_host_device_scalarIT6_EEPKT4_S5_PKS7_SB_S5_SD_S8_SB_S5_SD_SB_S5_PS7_21rocsparse_index_base_SF_SF_SF_bbb,"axG",@progbits,_ZN9rocsparseL41csrgemm_numeric_fill_block_per_row_kernelILj1024ELj64ELj16384ELj137ELj64Ell21rocsparse_complex_numIfEEEvT5_PKS3_S5_NS_24const_host_device_scalarIT6_EEPKT4_S5_PKS7_SB_S5_SD_S8_SB_S5_SD_SB_S5_PS7_21rocsparse_index_base_SF_SF_SF_bbb,comdat
	.globl	_ZN9rocsparseL41csrgemm_numeric_fill_block_per_row_kernelILj1024ELj64ELj16384ELj137ELj64Ell21rocsparse_complex_numIfEEEvT5_PKS3_S5_NS_24const_host_device_scalarIT6_EEPKT4_S5_PKS7_SB_S5_SD_S8_SB_S5_SD_SB_S5_PS7_21rocsparse_index_base_SF_SF_SF_bbb ; -- Begin function _ZN9rocsparseL41csrgemm_numeric_fill_block_per_row_kernelILj1024ELj64ELj16384ELj137ELj64Ell21rocsparse_complex_numIfEEEvT5_PKS3_S5_NS_24const_host_device_scalarIT6_EEPKT4_S5_PKS7_SB_S5_SD_S8_SB_S5_SD_SB_S5_PS7_21rocsparse_index_base_SF_SF_SF_bbb
	.p2align	8
	.type	_ZN9rocsparseL41csrgemm_numeric_fill_block_per_row_kernelILj1024ELj64ELj16384ELj137ELj64Ell21rocsparse_complex_numIfEEEvT5_PKS3_S5_NS_24const_host_device_scalarIT6_EEPKT4_S5_PKS7_SB_S5_SD_S8_SB_S5_SD_SB_S5_PS7_21rocsparse_index_base_SF_SF_SF_bbb,@function
_ZN9rocsparseL41csrgemm_numeric_fill_block_per_row_kernelILj1024ELj64ELj16384ELj137ELj64Ell21rocsparse_complex_numIfEEEvT5_PKS3_S5_NS_24const_host_device_scalarIT6_EEPKT4_S5_PKS7_SB_S5_SD_S8_SB_S5_SD_SB_S5_PS7_21rocsparse_index_base_SF_SF_SF_bbb: ; @_ZN9rocsparseL41csrgemm_numeric_fill_block_per_row_kernelILj1024ELj64ELj16384ELj137ELj64Ell21rocsparse_complex_numIfEEEvT5_PKS3_S5_NS_24const_host_device_scalarIT6_EEPKT4_S5_PKS7_SB_S5_SD_S8_SB_S5_SD_SB_S5_PS7_21rocsparse_index_base_SF_SF_SF_bbb
; %bb.0:
	s_load_dwordx2 s[40:41], s[0:1], 0x70
	s_load_dwordx4 s[20:23], s[0:1], 0x50
	s_load_dword s3, s[0:1], 0x98
	s_load_dwordx4 s[28:31], s[0:1], 0x8
	s_load_dwordx8 s[8:15], s[0:1], 0x20
	s_load_dwordx2 s[34:35], s[0:1], 0x80
	s_load_dwordx4 s[36:39], s[0:1], 0x88
	s_waitcnt lgkmcnt(0)
	s_bitcmp1_b32 s3, 0
	s_cselect_b64 s[48:49], -1, 0
	s_bitcmp1_b32 s3, 16
	s_cselect_b64 s[4:5], -1, 0
	s_xor_b64 s[4:5], s[4:5], -1
	v_cndmask_b32_e64 v1, 0, 1, s[4:5]
	s_mov_b32 s7, 0
	s_bitcmp0_b32 s3, 0
	v_cmp_ne_u32_e64 s[4:5], 1, v1
	s_mov_b32 s59, 0
	s_cbranch_scc1 .LBB135_5
; %bb.1:
	s_load_dwordx2 s[6:7], s[0:1], 0x18
	s_and_b64 vcc, exec, s[4:5]
	s_waitcnt lgkmcnt(0)
	s_mov_b32 s59, s6
	s_cbranch_vccnz .LBB135_3
; %bb.2:
	s_load_dword s59, s[6:7], 0x0
.LBB135_3:
	s_and_b64 vcc, exec, s[4:5]
	s_cbranch_vccnz .LBB135_5
; %bb.4:
	s_load_dword s7, s[6:7], 0x4
.LBB135_5:
	s_nop 0
	s_load_dwordx4 s[16:19], s[0:1], 0x60
	s_load_dwordx4 s[24:27], s[0:1], 0x40
	s_bitcmp1_b32 s3, 8
	s_cselect_b64 s[46:47], -1, 0
	s_bfe_u32 s3, s3, 0x10008
	s_mov_b32 s33, 0
	s_cmp_eq_u32 s3, 0
	s_mov_b32 s58, 0
	s_cbranch_scc1 .LBB135_11
; %bb.6:
	s_and_b64 vcc, exec, s[4:5]
	s_mov_b32 s33, s20
	s_cbranch_vccnz .LBB135_8
; %bb.7:
	s_load_dword s33, s[20:21], 0x0
.LBB135_8:
	s_and_b64 vcc, exec, s[4:5]
	s_cbranch_vccnz .LBB135_10
; %bb.9:
	s_load_dword s21, s[20:21], 0x4
.LBB135_10:
	s_waitcnt lgkmcnt(0)
	s_mov_b32 s58, s21
.LBB135_11:
	s_load_dwordx2 s[42:43], s[0:1], 0x0
	v_or_b32_e32 v1, 0xfffffc00, v0
	v_lshl_add_u32 v20, v0, 3, 0
	s_mov_b64 s[0:1], 0
	v_mov_b32_e32 v2, 0
	s_waitcnt lgkmcnt(0)
	v_mov_b64_e32 v[6:7], s[42:43]
	s_movk_i32 s3, 0x3bff
	v_mov_b32_e32 v3, v20
	v_mov_b32_e32 v4, v1
.LBB135_12:                             ; =>This Inner Loop Header: Depth=1
	v_add_u32_e32 v4, 0x400, v4
	v_cmp_lt_u32_e32 vcc, s3, v4
	ds_write_b64 v3, v[6:7]
	v_add_u32_e32 v5, 0x20000, v3
	v_add_u32_e32 v3, 0x2000, v3
	s_or_b64 s[0:1], vcc, s[0:1]
	ds_write2_b32 v5, v2, v2 offset1:1
	s_andn2_b64 exec, exec, s[0:1]
	s_cbranch_execnz .LBB135_12
; %bb.13:
	s_or_b64 exec, exec, s[0:1]
	s_waitcnt lgkmcnt(0)
	s_barrier
	s_load_dwordx2 s[0:1], s[28:29], 0x0
	s_mov_b32 s3, 0
	v_lshrrev_b32_e32 v21, 6, v0
	s_waitcnt lgkmcnt(0)
	s_lshl_b64 s[0:1], s[0:1], 3
	s_add_u32 s4, s30, s0
	s_addc_u32 s5, s31, s1
	s_lshl_b64 s[0:1], s[2:3], 3
	s_add_u32 s0, s4, s0
	s_addc_u32 s1, s5, s1
	s_load_dwordx2 s[44:45], s[0:1], 0x0
	s_and_b64 vcc, exec, s[48:49]
	s_cbranch_vccz .LBB135_33
; %bb.14:
	s_waitcnt lgkmcnt(0)
	s_lshl_b64 s[0:1], s[44:45], 3
	s_add_u32 s0, s8, s0
	s_addc_u32 s1, s9, s1
	s_load_dwordx4 s[28:31], s[0:1], 0x0
	v_subrev_co_u32_e32 v2, vcc, s36, v21
	s_nop 1
	v_subb_co_u32_e64 v3, s[0:1], 0, 0, vcc
	s_waitcnt lgkmcnt(0)
	s_sub_u32 s0, s30, s36
	s_subb_u32 s1, s31, 0
	v_lshl_add_u64 v[2:3], s[28:29], 0, v[2:3]
	v_cmp_gt_i64_e32 vcc, s[0:1], v[2:3]
	s_and_saveexec_b64 s[2:3], vcc
	s_cbranch_execz .LBB135_32
; %bb.15:
	v_and_b32_e32 v4, 63, v0
	v_subrev_co_u32_e32 v4, vcc, s37, v4
	s_mov_b32 s6, s37
	s_nop 0
	v_subb_co_u32_e64 v5, s[4:5], 0, 0, vcc
	s_mov_b64 s[4:5], 0
	s_movk_i32 s37, 0x89
	s_branch .LBB135_17
.LBB135_16:                             ;   in Loop: Header=BB135_17 Depth=1
	s_or_b64 exec, exec, s[8:9]
	v_lshl_add_u64 v[2:3], v[2:3], 0, 16
	v_cmp_le_i64_e32 vcc, s[0:1], v[2:3]
	s_or_b64 s[4:5], vcc, s[4:5]
	s_andn2_b64 exec, exec, s[4:5]
	s_cbranch_execz .LBB135_32
.LBB135_17:                             ; =>This Loop Header: Depth=1
                                        ;     Child Loop BB135_21 Depth 2
                                        ;       Child Loop BB135_24 Depth 3
	v_lshl_add_u64 v[6:7], v[2:3], 3, s[10:11]
	global_load_dwordx2 v[6:7], v[6:7], off
	s_waitcnt vmcnt(0)
	v_subrev_co_u32_e32 v6, vcc, s36, v6
	s_nop 1
	v_subbrev_co_u32_e32 v7, vcc, 0, v7, vcc
	v_lshl_add_u64 v[6:7], v[6:7], 3, s[14:15]
	global_load_dwordx4 v[8:11], v[6:7], off
	s_waitcnt vmcnt(0)
	v_subrev_co_u32_e32 v6, vcc, s6, v10
	s_nop 1
	v_subbrev_co_u32_e32 v7, vcc, 0, v11, vcc
	v_lshl_add_u64 v[8:9], v[8:9], 0, v[4:5]
	v_cmp_lt_i64_e32 vcc, v[8:9], v[6:7]
	s_and_saveexec_b64 s[8:9], vcc
	s_cbranch_execz .LBB135_16
; %bb.18:                               ;   in Loop: Header=BB135_17 Depth=1
	v_lshl_add_u64 v[10:11], v[2:3], 3, s[12:13]
	global_load_dwordx2 v[10:11], v[10:11], off
	s_mov_b64 s[20:21], 0
	s_waitcnt vmcnt(0)
	v_mul_f32_e64 v22, v11, -s7
	v_mul_f32_e32 v23, s59, v11
	v_fmac_f32_e32 v22, s59, v10
	v_fmac_f32_e32 v23, s7, v10
	s_branch .LBB135_21
.LBB135_19:                             ;   in Loop: Header=BB135_21 Depth=2
	s_or_b64 exec, exec, s[30:31]
.LBB135_20:                             ;   in Loop: Header=BB135_21 Depth=2
	s_or_b64 exec, exec, s[28:29]
	s_waitcnt vmcnt(0)
	v_mul_f32_e64 v13, v11, -v23
	v_mul_f32_e32 v11, v22, v11
	v_fmac_f32_e32 v13, v22, v10
	v_fmac_f32_e32 v11, v23, v10
	v_lshl_add_u32 v10, v12, 3, 0
	v_add_u32_e32 v10, 0x20000, v10
	ds_add_f32 v10, v13
	ds_add_f32 v10, v11 offset:4
	v_lshl_add_u64 v[8:9], v[8:9], 0, 64
	v_cmp_ge_i64_e32 vcc, v[8:9], v[6:7]
	s_or_b64 s[20:21], vcc, s[20:21]
	s_andn2_b64 exec, exec, s[20:21]
	s_cbranch_execz .LBB135_16
.LBB135_21:                             ;   Parent Loop BB135_17 Depth=1
                                        ; =>  This Loop Header: Depth=2
                                        ;       Child Loop BB135_24 Depth 3
	v_lshlrev_b64 v[10:11], 3, v[8:9]
	v_lshl_add_u64 v[12:13], s[24:25], 0, v[10:11]
	global_load_dwordx2 v[12:13], v[12:13], off
	v_lshl_add_u64 v[10:11], s[26:27], 0, v[10:11]
	global_load_dwordx2 v[10:11], v[10:11], off
	s_waitcnt vmcnt(1)
	v_subrev_co_u32_e32 v14, vcc, s6, v12
	v_mul_lo_u32 v12, v14, s37
	v_and_b32_e32 v12, 0x3fff, v12
	v_lshl_add_u32 v24, v12, 3, 0
	ds_read_b64 v[18:19], v24
	v_subbrev_co_u32_e32 v15, vcc, 0, v13, vcc
	s_waitcnt lgkmcnt(0)
	v_cmp_ne_u64_e32 vcc, v[18:19], v[14:15]
	s_and_saveexec_b64 s[28:29], vcc
	s_cbranch_execz .LBB135_20
; %bb.22:                               ;   in Loop: Header=BB135_21 Depth=2
	s_mov_b64 s[30:31], 0
                                        ; implicit-def: $sgpr48_sgpr49
                                        ; implicit-def: $sgpr50_sgpr51
	s_branch .LBB135_24
.LBB135_23:                             ;   in Loop: Header=BB135_24 Depth=3
	s_or_b64 exec, exec, s[56:57]
	s_and_b64 s[52:53], exec, s[54:55]
	s_or_b64 s[30:31], s[52:53], s[30:31]
	s_andn2_b64 s[48:49], s[48:49], exec
	s_and_b64 s[52:53], s[50:51], exec
	s_or_b64 s[48:49], s[48:49], s[52:53]
	s_andn2_b64 exec, exec, s[30:31]
	s_cbranch_execz .LBB135_30
.LBB135_24:                             ;   Parent Loop BB135_17 Depth=1
                                        ;     Parent Loop BB135_21 Depth=2
                                        ; =>    This Inner Loop Header: Depth=3
	v_mov_b64_e32 v[16:17], v[12:13]
	v_cmp_ne_u64_e32 vcc, s[42:43], v[18:19]
	s_mov_b64 s[52:53], 0
                                        ; implicit-def: $vgpr12_vgpr13
	s_and_saveexec_b64 s[54:55], vcc
	s_xor_b64 s[54:55], exec, s[54:55]
; %bb.25:                               ;   in Loop: Header=BB135_24 Depth=3
	v_add_u32_e32 v12, 1, v16
	s_mov_b64 s[52:53], exec
	v_and_b32_e32 v12, 0x3fff, v12
                                        ; implicit-def: $vgpr24
; %bb.26:                               ;   in Loop: Header=BB135_24 Depth=3
	s_andn2_saveexec_b64 s[54:55], s[54:55]
	s_cbranch_execz .LBB135_28
; %bb.27:                               ;   in Loop: Header=BB135_24 Depth=3
	v_mov_b64_e32 v[12:13], s[42:43]
	ds_cmpst_rtn_b64 v[12:13], v24, v[12:13], v[14:15]
	s_andn2_b64 s[52:53], s[52:53], exec
	s_waitcnt lgkmcnt(0)
	v_cmp_ne_u64_e32 vcc, s[42:43], v[12:13]
	s_and_b64 s[56:57], vcc, exec
	s_or_b64 s[52:53], s[52:53], s[56:57]
	v_mov_b64_e32 v[12:13], v[16:17]
.LBB135_28:                             ;   in Loop: Header=BB135_24 Depth=3
	s_or_b64 exec, exec, s[54:55]
	s_mov_b64 s[54:55], -1
	s_or_b64 s[50:51], s[50:51], exec
                                        ; implicit-def: $vgpr24
                                        ; implicit-def: $vgpr18_vgpr19
	s_and_saveexec_b64 s[56:57], s[52:53]
	s_cbranch_execz .LBB135_23
; %bb.29:                               ;   in Loop: Header=BB135_24 Depth=3
	v_lshl_add_u32 v24, v12, 3, 0
	ds_read_b64 v[18:19], v24
	s_andn2_b64 s[50:51], s[50:51], exec
	s_waitcnt lgkmcnt(0)
	v_cmp_eq_u64_e32 vcc, v[18:19], v[14:15]
	s_orn2_b64 s[54:55], vcc, exec
	s_branch .LBB135_23
.LBB135_30:                             ;   in Loop: Header=BB135_21 Depth=2
	s_or_b64 exec, exec, s[30:31]
	s_and_saveexec_b64 s[30:31], s[48:49]
	s_xor_b64 s[30:31], exec, s[30:31]
	s_cbranch_execz .LBB135_19
; %bb.31:                               ;   in Loop: Header=BB135_21 Depth=2
	v_mov_b32_e32 v12, v16
	s_branch .LBB135_19
.LBB135_32:
	s_or_b64 exec, exec, s[2:3]
.LBB135_33:
	s_andn2_b64 vcc, exec, s[46:47]
	s_cbranch_vccnz .LBB135_50
; %bb.34:
	s_waitcnt lgkmcnt(0)
	s_lshl_b64 s[0:1], s[44:45], 3
	s_add_u32 s0, s22, s0
	s_addc_u32 s1, s23, s1
	s_load_dwordx4 s[4:7], s[0:1], 0x0
	v_subrev_co_u32_e32 v2, vcc, s39, v0
	s_waitcnt lgkmcnt(0)
	s_sub_u32 s0, s6, s39
	v_subb_co_u32_e64 v3, s[2:3], 0, 0, vcc
	s_subb_u32 s1, s7, 0
	v_lshl_add_u64 v[2:3], s[4:5], 0, v[2:3]
	v_cmp_gt_i64_e32 vcc, s[0:1], v[2:3]
	s_and_saveexec_b64 s[2:3], vcc
	s_cbranch_execz .LBB135_49
; %bb.35:
	s_mov_b32 s26, s39
	s_mov_b64 s[4:5], 0
	s_movk_i32 s27, 0x89
	s_mov_b64 s[6:7], 0x400
	s_branch .LBB135_38
.LBB135_36:                             ;   in Loop: Header=BB135_38 Depth=1
	s_or_b64 exec, exec, s[10:11]
.LBB135_37:                             ;   in Loop: Header=BB135_38 Depth=1
	s_or_b64 exec, exec, s[8:9]
	s_waitcnt vmcnt(0)
	v_mul_f32_e64 v7, v5, -s58
	v_mul_f32_e32 v5, s33, v5
	v_fmac_f32_e32 v7, s33, v4
	v_fmac_f32_e32 v5, s58, v4
	v_lshl_add_u32 v4, v6, 3, 0
	v_add_u32_e32 v4, 0x20000, v4
	ds_add_f32 v4, v7
	ds_add_f32 v4, v5 offset:4
	v_lshl_add_u64 v[2:3], v[2:3], 0, s[6:7]
	v_cmp_le_i64_e32 vcc, s[0:1], v[2:3]
	s_or_b64 s[4:5], vcc, s[4:5]
	s_andn2_b64 exec, exec, s[4:5]
	s_cbranch_execz .LBB135_49
.LBB135_38:                             ; =>This Loop Header: Depth=1
                                        ;     Child Loop BB135_41 Depth 2
	v_lshlrev_b64 v[4:5], 3, v[2:3]
	v_lshl_add_u64 v[6:7], s[16:17], 0, v[4:5]
	global_load_dwordx2 v[6:7], v[6:7], off
	v_lshl_add_u64 v[4:5], s[18:19], 0, v[4:5]
	global_load_dwordx2 v[4:5], v[4:5], off
	s_waitcnt vmcnt(1)
	v_subrev_co_u32_e32 v8, vcc, s26, v6
	v_mul_lo_u32 v6, v8, s27
	v_and_b32_e32 v6, 0x3fff, v6
	v_lshl_add_u32 v14, v6, 3, 0
	ds_read_b64 v[12:13], v14
	v_subbrev_co_u32_e32 v9, vcc, 0, v7, vcc
	s_waitcnt lgkmcnt(0)
	v_cmp_ne_u64_e32 vcc, v[12:13], v[8:9]
	s_and_saveexec_b64 s[8:9], vcc
	s_cbranch_execz .LBB135_37
; %bb.39:                               ;   in Loop: Header=BB135_38 Depth=1
	s_mov_b64 s[10:11], 0
                                        ; implicit-def: $sgpr12_sgpr13
                                        ; implicit-def: $sgpr14_sgpr15
	s_branch .LBB135_41
.LBB135_40:                             ;   in Loop: Header=BB135_41 Depth=2
	s_or_b64 exec, exec, s[24:25]
	s_and_b64 s[20:21], exec, s[22:23]
	s_or_b64 s[10:11], s[20:21], s[10:11]
	s_andn2_b64 s[12:13], s[12:13], exec
	s_and_b64 s[20:21], s[14:15], exec
	s_or_b64 s[12:13], s[12:13], s[20:21]
	s_andn2_b64 exec, exec, s[10:11]
	s_cbranch_execz .LBB135_47
.LBB135_41:                             ;   Parent Loop BB135_38 Depth=1
                                        ; =>  This Inner Loop Header: Depth=2
	v_mov_b64_e32 v[10:11], v[6:7]
	v_cmp_ne_u64_e32 vcc, s[42:43], v[12:13]
	s_mov_b64 s[20:21], 0
                                        ; implicit-def: $vgpr6_vgpr7
	s_and_saveexec_b64 s[22:23], vcc
	s_xor_b64 s[22:23], exec, s[22:23]
; %bb.42:                               ;   in Loop: Header=BB135_41 Depth=2
	v_add_u32_e32 v6, 1, v10
	s_mov_b64 s[20:21], exec
	v_and_b32_e32 v6, 0x3fff, v6
                                        ; implicit-def: $vgpr14
; %bb.43:                               ;   in Loop: Header=BB135_41 Depth=2
	s_andn2_saveexec_b64 s[22:23], s[22:23]
	s_cbranch_execz .LBB135_45
; %bb.44:                               ;   in Loop: Header=BB135_41 Depth=2
	v_mov_b64_e32 v[6:7], s[42:43]
	ds_cmpst_rtn_b64 v[6:7], v14, v[6:7], v[8:9]
	s_andn2_b64 s[20:21], s[20:21], exec
	s_waitcnt lgkmcnt(0)
	v_cmp_ne_u64_e32 vcc, s[42:43], v[6:7]
	s_and_b64 s[24:25], vcc, exec
	s_or_b64 s[20:21], s[20:21], s[24:25]
	v_mov_b64_e32 v[6:7], v[10:11]
.LBB135_45:                             ;   in Loop: Header=BB135_41 Depth=2
	s_or_b64 exec, exec, s[22:23]
	s_mov_b64 s[22:23], -1
	s_or_b64 s[14:15], s[14:15], exec
                                        ; implicit-def: $vgpr14
                                        ; implicit-def: $vgpr12_vgpr13
	s_and_saveexec_b64 s[24:25], s[20:21]
	s_cbranch_execz .LBB135_40
; %bb.46:                               ;   in Loop: Header=BB135_41 Depth=2
	v_lshl_add_u32 v14, v6, 3, 0
	ds_read_b64 v[12:13], v14
	s_andn2_b64 s[14:15], s[14:15], exec
	s_waitcnt lgkmcnt(0)
	v_cmp_eq_u64_e32 vcc, v[12:13], v[8:9]
	s_orn2_b64 s[22:23], vcc, exec
	s_branch .LBB135_40
.LBB135_47:                             ;   in Loop: Header=BB135_38 Depth=1
	s_or_b64 exec, exec, s[10:11]
	s_and_saveexec_b64 s[10:11], s[12:13]
	s_xor_b64 s[10:11], exec, s[10:11]
	s_cbranch_execz .LBB135_36
; %bb.48:                               ;   in Loop: Header=BB135_38 Depth=1
	v_mov_b32_e32 v6, v10
	s_branch .LBB135_36
.LBB135_49:
	s_or_b64 exec, exec, s[2:3]
.LBB135_50:
	v_mbcnt_lo_u32_b32 v2, -1, 0
	v_mbcnt_hi_u32_b32 v2, -1, v2
	v_sub_u32_e32 v2, 63, v2
	s_add_i32 s33, 0, 0x40000
	s_movk_i32 s0, 0x3ff
	s_movk_i32 s2, 0x7f
	;; [unrolled: 1-line block ×15, first 2 shown]
	s_add_i32 s61, 0, 0x40078
	v_mov_b32_e32 v3, 0
	v_lshrrev_b64 v[4:5], v2, -1
	v_lshl_add_u32 v14, v21, 3, s33
	v_cmp_eq_u32_e32 vcc, s0, v0
	v_cmp_lt_u32_e64 s[0:1], 63, v0
	v_cmp_lt_u32_e64 s[2:3], s2, v0
	;; [unrolled: 1-line block ×15, first 2 shown]
	s_mov_b64 s[36:37], 0
	v_mov_b64_e32 v[6:7], 0
	s_add_i32 s39, 0, 0x40008
	s_add_i32 s48, 0, 0x40010
	;; [unrolled: 1-line block ×14, first 2 shown]
	v_mov_b32_e32 v15, s61
	s_movk_i32 s62, 0x3bff
	s_waitcnt lgkmcnt(0)
	s_barrier
	s_branch .LBB135_52
.LBB135_51:                             ;   in Loop: Header=BB135_52 Depth=1
	s_or_b64 exec, exec, s[30:31]
	s_waitcnt lgkmcnt(0)
	s_barrier
	ds_read_b64 v[8:9], v15
	v_add_u32_e32 v1, 0x400, v1
	v_cmp_lt_u32_e64 s[30:31], s62, v1
	s_or_b64 s[36:37], s[30:31], s[36:37]
	v_add_u32_e32 v20, 0x2000, v20
	s_waitcnt lgkmcnt(0)
	v_lshl_add_u64 v[6:7], v[8:9], 0, v[6:7]
	s_andn2_b64 exec, exec, s[36:37]
	s_cbranch_execz .LBB135_86
.LBB135_52:                             ; =>This Inner Loop Header: Depth=1
	ds_read_b64 v[8:9], v20
	v_add_u32_e32 v2, 0x20000, v20
	ds_read2_b32 v[10:11], v2 offset1:1
	s_waitcnt lgkmcnt(0)
	s_barrier
	v_cmp_gt_i64_e64 s[30:31], s[42:43], v[8:9]
	s_bcnt1_i32_b64 s46, s[30:31]
	v_mov_b32_e32 v2, s46
	v_and_b32_e32 v13, s30, v4
	v_and_b32_e32 v12, s31, v5
	v_bcnt_u32_b32 v13, v13, 0
	v_bcnt_u32_b32 v12, v12, v13
	ds_write_b64 v14, v[2:3]
	s_waitcnt lgkmcnt(0)
	s_barrier
	s_and_saveexec_b64 s[46:47], s[0:1]
	s_cbranch_execnz .LBB135_69
; %bb.53:                               ;   in Loop: Header=BB135_52 Depth=1
	s_or_b64 exec, exec, s[46:47]
	s_and_saveexec_b64 s[46:47], s[2:3]
	s_cbranch_execnz .LBB135_70
.LBB135_54:                             ;   in Loop: Header=BB135_52 Depth=1
	s_or_b64 exec, exec, s[46:47]
	s_and_saveexec_b64 s[46:47], s[4:5]
	s_cbranch_execnz .LBB135_71
.LBB135_55:                             ;   in Loop: Header=BB135_52 Depth=1
	s_or_b64 exec, exec, s[46:47]
	s_and_saveexec_b64 s[46:47], s[6:7]
	s_cbranch_execnz .LBB135_72
.LBB135_56:                             ;   in Loop: Header=BB135_52 Depth=1
	s_or_b64 exec, exec, s[46:47]
	s_and_saveexec_b64 s[46:47], s[8:9]
	s_cbranch_execnz .LBB135_73
.LBB135_57:                             ;   in Loop: Header=BB135_52 Depth=1
	s_or_b64 exec, exec, s[46:47]
	s_and_saveexec_b64 s[46:47], s[10:11]
	s_cbranch_execnz .LBB135_74
.LBB135_58:                             ;   in Loop: Header=BB135_52 Depth=1
	s_or_b64 exec, exec, s[46:47]
	s_and_saveexec_b64 s[46:47], s[12:13]
	s_cbranch_execnz .LBB135_75
.LBB135_59:                             ;   in Loop: Header=BB135_52 Depth=1
	s_or_b64 exec, exec, s[46:47]
	s_and_saveexec_b64 s[46:47], s[14:15]
	s_cbranch_execnz .LBB135_76
.LBB135_60:                             ;   in Loop: Header=BB135_52 Depth=1
	s_or_b64 exec, exec, s[46:47]
	s_and_saveexec_b64 s[46:47], s[16:17]
	s_cbranch_execnz .LBB135_77
.LBB135_61:                             ;   in Loop: Header=BB135_52 Depth=1
	s_or_b64 exec, exec, s[46:47]
	s_and_saveexec_b64 s[46:47], s[18:19]
	s_cbranch_execnz .LBB135_78
.LBB135_62:                             ;   in Loop: Header=BB135_52 Depth=1
	s_or_b64 exec, exec, s[46:47]
	s_and_saveexec_b64 s[46:47], s[20:21]
	s_cbranch_execnz .LBB135_79
.LBB135_63:                             ;   in Loop: Header=BB135_52 Depth=1
	s_or_b64 exec, exec, s[46:47]
	s_and_saveexec_b64 s[46:47], s[22:23]
	s_cbranch_execnz .LBB135_80
.LBB135_64:                             ;   in Loop: Header=BB135_52 Depth=1
	s_or_b64 exec, exec, s[46:47]
	s_and_saveexec_b64 s[46:47], s[24:25]
	s_cbranch_execnz .LBB135_81
.LBB135_65:                             ;   in Loop: Header=BB135_52 Depth=1
	s_or_b64 exec, exec, s[46:47]
	s_and_saveexec_b64 s[46:47], s[26:27]
	s_cbranch_execnz .LBB135_82
.LBB135_66:                             ;   in Loop: Header=BB135_52 Depth=1
	s_or_b64 exec, exec, s[46:47]
	s_and_saveexec_b64 s[46:47], s[28:29]
	s_cbranch_execnz .LBB135_83
.LBB135_67:                             ;   in Loop: Header=BB135_52 Depth=1
	s_or_b64 exec, exec, s[46:47]
	v_ashrrev_i32_e32 v13, 31, v12
	s_and_saveexec_b64 s[46:47], s[30:31]
	s_cbranch_execnz .LBB135_84
.LBB135_68:                             ;   in Loop: Header=BB135_52 Depth=1
	s_or_b64 exec, exec, s[46:47]
	s_and_saveexec_b64 s[30:31], vcc
	s_cbranch_execz .LBB135_51
	s_branch .LBB135_85
.LBB135_69:                             ;   in Loop: Header=BB135_52 Depth=1
	v_mov_b32_e32 v2, s33
	ds_read_b32 v2, v2
	s_waitcnt lgkmcnt(0)
	v_add_u32_e32 v12, v2, v12
	s_or_b64 exec, exec, s[46:47]
	s_and_saveexec_b64 s[46:47], s[2:3]
	s_cbranch_execz .LBB135_54
.LBB135_70:                             ;   in Loop: Header=BB135_52 Depth=1
	v_mov_b32_e32 v2, s39
	ds_read_b32 v2, v2
	s_waitcnt lgkmcnt(0)
	v_add_u32_e32 v12, v12, v2
	s_or_b64 exec, exec, s[46:47]
	s_and_saveexec_b64 s[46:47], s[4:5]
	s_cbranch_execz .LBB135_55
.LBB135_71:                             ;   in Loop: Header=BB135_52 Depth=1
	v_mov_b32_e32 v2, s48
	ds_read_b32 v2, v2
	s_waitcnt lgkmcnt(0)
	v_add_u32_e32 v12, v12, v2
	s_or_b64 exec, exec, s[46:47]
	s_and_saveexec_b64 s[46:47], s[6:7]
	s_cbranch_execz .LBB135_56
.LBB135_72:                             ;   in Loop: Header=BB135_52 Depth=1
	v_mov_b32_e32 v2, s49
	ds_read_b32 v2, v2
	s_waitcnt lgkmcnt(0)
	v_add_u32_e32 v12, v12, v2
	s_or_b64 exec, exec, s[46:47]
	s_and_saveexec_b64 s[46:47], s[8:9]
	s_cbranch_execz .LBB135_57
.LBB135_73:                             ;   in Loop: Header=BB135_52 Depth=1
	v_mov_b32_e32 v2, s50
	ds_read_b32 v2, v2
	s_waitcnt lgkmcnt(0)
	v_add_u32_e32 v12, v12, v2
	s_or_b64 exec, exec, s[46:47]
	s_and_saveexec_b64 s[46:47], s[10:11]
	s_cbranch_execz .LBB135_58
.LBB135_74:                             ;   in Loop: Header=BB135_52 Depth=1
	v_mov_b32_e32 v2, s51
	ds_read_b32 v2, v2
	s_waitcnt lgkmcnt(0)
	v_add_u32_e32 v12, v12, v2
	s_or_b64 exec, exec, s[46:47]
	s_and_saveexec_b64 s[46:47], s[12:13]
	s_cbranch_execz .LBB135_59
.LBB135_75:                             ;   in Loop: Header=BB135_52 Depth=1
	v_mov_b32_e32 v2, s52
	ds_read_b32 v2, v2
	s_waitcnt lgkmcnt(0)
	v_add_u32_e32 v12, v12, v2
	s_or_b64 exec, exec, s[46:47]
	s_and_saveexec_b64 s[46:47], s[14:15]
	s_cbranch_execz .LBB135_60
.LBB135_76:                             ;   in Loop: Header=BB135_52 Depth=1
	v_mov_b32_e32 v2, s53
	ds_read_b32 v2, v2
	s_waitcnt lgkmcnt(0)
	v_add_u32_e32 v12, v12, v2
	s_or_b64 exec, exec, s[46:47]
	s_and_saveexec_b64 s[46:47], s[16:17]
	s_cbranch_execz .LBB135_61
.LBB135_77:                             ;   in Loop: Header=BB135_52 Depth=1
	v_mov_b32_e32 v2, s54
	ds_read_b32 v2, v2
	s_waitcnt lgkmcnt(0)
	v_add_u32_e32 v12, v12, v2
	s_or_b64 exec, exec, s[46:47]
	s_and_saveexec_b64 s[46:47], s[18:19]
	s_cbranch_execz .LBB135_62
.LBB135_78:                             ;   in Loop: Header=BB135_52 Depth=1
	v_mov_b32_e32 v2, s55
	ds_read_b32 v2, v2
	s_waitcnt lgkmcnt(0)
	v_add_u32_e32 v12, v12, v2
	s_or_b64 exec, exec, s[46:47]
	s_and_saveexec_b64 s[46:47], s[20:21]
	s_cbranch_execz .LBB135_63
.LBB135_79:                             ;   in Loop: Header=BB135_52 Depth=1
	v_mov_b32_e32 v2, s56
	ds_read_b32 v2, v2
	s_waitcnt lgkmcnt(0)
	v_add_u32_e32 v12, v12, v2
	s_or_b64 exec, exec, s[46:47]
	s_and_saveexec_b64 s[46:47], s[22:23]
	s_cbranch_execz .LBB135_64
.LBB135_80:                             ;   in Loop: Header=BB135_52 Depth=1
	v_mov_b32_e32 v2, s57
	ds_read_b32 v2, v2
	s_waitcnt lgkmcnt(0)
	v_add_u32_e32 v12, v12, v2
	s_or_b64 exec, exec, s[46:47]
	s_and_saveexec_b64 s[46:47], s[24:25]
	s_cbranch_execz .LBB135_65
.LBB135_81:                             ;   in Loop: Header=BB135_52 Depth=1
	v_mov_b32_e32 v2, s58
	ds_read_b32 v2, v2
	s_waitcnt lgkmcnt(0)
	v_add_u32_e32 v12, v12, v2
	s_or_b64 exec, exec, s[46:47]
	s_and_saveexec_b64 s[46:47], s[26:27]
	s_cbranch_execz .LBB135_66
.LBB135_82:                             ;   in Loop: Header=BB135_52 Depth=1
	v_mov_b32_e32 v2, s59
	ds_read_b32 v2, v2
	s_waitcnt lgkmcnt(0)
	v_add_u32_e32 v12, v12, v2
	s_or_b64 exec, exec, s[46:47]
	s_and_saveexec_b64 s[46:47], s[28:29]
	s_cbranch_execz .LBB135_67
.LBB135_83:                             ;   in Loop: Header=BB135_52 Depth=1
	v_mov_b32_e32 v2, s60
	ds_read_b32 v2, v2
	s_waitcnt lgkmcnt(0)
	v_add_u32_e32 v12, v12, v2
	s_or_b64 exec, exec, s[46:47]
	v_ashrrev_i32_e32 v13, 31, v12
	s_and_saveexec_b64 s[46:47], s[30:31]
	s_cbranch_execz .LBB135_68
.LBB135_84:                             ;   in Loop: Header=BB135_52 Depth=1
	v_add3_u32 v2, v6, -1, v12
	v_lshl_add_u32 v2, v2, 3, 0
	v_add_u32_e32 v16, 0x20000, v2
	ds_write_b64 v2, v[8:9]
	ds_write2_b32 v16, v10, v11 offset1:1
	s_or_b64 exec, exec, s[46:47]
	s_and_saveexec_b64 s[30:31], vcc
	s_cbranch_execz .LBB135_51
.LBB135_85:                             ;   in Loop: Header=BB135_52 Depth=1
	v_mov_b32_e32 v2, s61
	ds_write_b64 v2, v[12:13]
	s_branch .LBB135_51
.LBB135_86:
	s_or_b64 exec, exec, s[36:37]
	s_lshl_b64 s[0:1], s[44:45], 3
	s_add_u32 s4, s40, s0
	s_addc_u32 s5, s41, s1
	s_load_dwordx4 s[0:3], s[4:5], 0x0
	v_mov_b32_e32 v1, 0
	s_waitcnt lgkmcnt(0)
	s_sub_u32 s4, s2, s0
	s_subb_u32 s5, s3, s1
	v_cmp_gt_i64_e32 vcc, s[4:5], v[0:1]
	s_and_saveexec_b64 s[6:7], vcc
	s_cbranch_execz .LBB135_96
; %bb.87:
	s_sub_u32 s8, s0, s38
	s_subb_u32 s9, s1, 0
	s_and_b32 s6, s4, 7
	s_sub_u32 s0, s0, s2
	s_mov_b32 s7, 0
	s_subb_u32 s1, s1, s3
	s_and_b32 s10, s4, -8
	s_cmp_lg_u64 s[6:7], 0
	v_cmp_lt_u64_e64 s[0:1], s[0:1], -7
	s_cselect_b64 s[2:3], -1, 0
	s_mov_b32 s11, s5
	v_cndmask_b32_e64 v2, 0, 1, s[0:1]
	v_cmp_ne_u32_e64 s[0:1], 1, v2
	v_cndmask_b32_e64 v2, 0, 1, s[2:3]
	s_mov_b64 s[12:13], 0
	v_cmp_ne_u32_e64 s[2:3], 1, v2
	s_mov_b64 s[14:15], 0x400
	s_branch .LBB135_89
.LBB135_88:                             ;   in Loop: Header=BB135_89 Depth=1
	v_lshl_add_u64 v[0:1], v[0:1], 0, s[14:15]
	v_cmp_le_i64_e32 vcc, s[4:5], v[0:1]
	s_waitcnt lgkmcnt(1)
	v_lshl_add_u64 v[4:5], v[6:7], 3, s[34:35]
	s_or_b64 s[12:13], vcc, s[12:13]
	s_waitcnt lgkmcnt(0)
	global_store_dwordx2 v[4:5], v[2:3], off
	s_andn2_b64 exec, exec, s[12:13]
	s_cbranch_execz .LBB135_96
.LBB135_89:                             ; =>This Loop Header: Depth=1
                                        ;     Child Loop BB135_91 Depth 2
                                        ;     Child Loop BB135_95 Depth 2
	v_lshl_add_u32 v2, v0, 3, 0
	v_add_u32_e32 v3, 0x20000, v2
	ds_read_b64 v[4:5], v2
	ds_read2_b32 v[2:3], v3 offset1:1
	s_and_b64 vcc, exec, s[0:1]
	v_mov_b64_e32 v[6:7], s[8:9]
	s_mov_b64 s[16:17], 0
	s_cbranch_vccnz .LBB135_93
; %bb.90:                               ;   in Loop: Header=BB135_89 Depth=1
	s_mov_b32 s18, 0
	v_mov_b64_e32 v[6:7], s[8:9]
.LBB135_91:                             ;   Parent Loop BB135_89 Depth=1
                                        ; =>  This Inner Loop Header: Depth=2
	v_mov_b32_e32 v20, s18
	ds_read2_b64 v[8:11], v20 offset1:1
	ds_read2_b64 v[12:15], v20 offset0:2 offset1:3
	ds_read2_b64 v[16:19], v20 offset0:4 offset1:5
	;; [unrolled: 1-line block ×3, first 2 shown]
	v_mov_b32_e32 v25, s7
	s_waitcnt lgkmcnt(3)
	v_cmp_gt_i64_e32 vcc, v[4:5], v[8:9]
	v_mov_b32_e32 v27, s7
	v_mov_b32_e32 v29, s7
	v_cndmask_b32_e64 v24, 0, 1, vcc
	v_cmp_gt_i64_e32 vcc, v[4:5], v[10:11]
	v_lshl_add_u64 v[6:7], v[6:7], 0, v[24:25]
	v_mov_b32_e32 v31, s7
	v_cndmask_b32_e64 v26, 0, 1, vcc
	s_waitcnt lgkmcnt(2)
	v_cmp_gt_i64_e32 vcc, v[4:5], v[12:13]
	v_lshl_add_u64 v[6:7], v[6:7], 0, v[26:27]
	v_mov_b32_e32 v33, s7
	v_cndmask_b32_e64 v28, 0, 1, vcc
	v_cmp_gt_i64_e32 vcc, v[4:5], v[14:15]
	v_lshl_add_u64 v[6:7], v[6:7], 0, v[28:29]
	v_mov_b32_e32 v35, s7
	v_cndmask_b32_e64 v30, 0, 1, vcc
	s_waitcnt lgkmcnt(1)
	v_cmp_gt_i64_e32 vcc, v[4:5], v[16:17]
	v_lshl_add_u64 v[6:7], v[6:7], 0, v[30:31]
	v_mov_b32_e32 v37, s7
	v_cndmask_b32_e64 v32, 0, 1, vcc
	v_cmp_gt_i64_e32 vcc, v[4:5], v[18:19]
	v_lshl_add_u64 v[6:7], v[6:7], 0, v[32:33]
	s_add_u32 s16, s16, 8
	v_cndmask_b32_e64 v34, 0, 1, vcc
	s_waitcnt lgkmcnt(0)
	v_cmp_gt_i64_e32 vcc, v[4:5], v[20:21]
	v_lshl_add_u64 v[6:7], v[6:7], 0, v[34:35]
	v_mov_b32_e32 v39, s7
	v_cndmask_b32_e64 v36, 0, 1, vcc
	v_cmp_gt_i64_e32 vcc, v[4:5], v[22:23]
	s_addc_u32 s17, s17, 0
	s_add_i32 s18, s18, 64
	v_cndmask_b32_e64 v38, 0, 1, vcc
	v_lshl_add_u64 v[6:7], v[6:7], 0, v[36:37]
	s_cmp_eq_u64 s[10:11], s[16:17]
	v_lshl_add_u64 v[6:7], v[6:7], 0, v[38:39]
	s_cbranch_scc0 .LBB135_91
; %bb.92:                               ;   in Loop: Header=BB135_89 Depth=1
	s_mov_b64 s[16:17], s[10:11]
.LBB135_93:                             ;   in Loop: Header=BB135_89 Depth=1
	s_and_b64 vcc, exec, s[2:3]
	s_cbranch_vccnz .LBB135_88
; %bb.94:                               ;   in Loop: Header=BB135_89 Depth=1
	s_lshl_b32 s16, s16, 3
	s_add_i32 s18, s16, 0
	s_mov_b64 s[16:17], s[6:7]
.LBB135_95:                             ;   Parent Loop BB135_89 Depth=1
                                        ; =>  This Inner Loop Header: Depth=2
	v_mov_b32_e32 v8, s18
	ds_read_b64 v[10:11], v8
	s_add_i32 s18, s18, 8
	s_add_u32 s16, s16, -1
	v_mov_b32_e32 v9, s7
	s_addc_u32 s17, s17, -1
	s_waitcnt lgkmcnt(0)
	v_cmp_gt_i64_e32 vcc, v[4:5], v[10:11]
	s_cmp_lg_u64 s[16:17], 0
	s_nop 0
	v_cndmask_b32_e64 v8, 0, 1, vcc
	v_lshl_add_u64 v[6:7], v[6:7], 0, v[8:9]
	s_cbranch_scc1 .LBB135_95
	s_branch .LBB135_88
.LBB135_96:
	s_endpgm
	.section	.rodata,"a",@progbits
	.p2align	6, 0x0
	.amdhsa_kernel _ZN9rocsparseL41csrgemm_numeric_fill_block_per_row_kernelILj1024ELj64ELj16384ELj137ELj64Ell21rocsparse_complex_numIfEEEvT5_PKS3_S5_NS_24const_host_device_scalarIT6_EEPKT4_S5_PKS7_SB_S5_SD_S8_SB_S5_SD_SB_S5_PS7_21rocsparse_index_base_SF_SF_SF_bbb
		.amdhsa_group_segment_fixed_size 0
		.amdhsa_private_segment_fixed_size 0
		.amdhsa_kernarg_size 156
		.amdhsa_user_sgpr_count 2
		.amdhsa_user_sgpr_dispatch_ptr 0
		.amdhsa_user_sgpr_queue_ptr 0
		.amdhsa_user_sgpr_kernarg_segment_ptr 1
		.amdhsa_user_sgpr_dispatch_id 0
		.amdhsa_user_sgpr_kernarg_preload_length 0
		.amdhsa_user_sgpr_kernarg_preload_offset 0
		.amdhsa_user_sgpr_private_segment_size 0
		.amdhsa_uses_dynamic_stack 0
		.amdhsa_enable_private_segment 0
		.amdhsa_system_sgpr_workgroup_id_x 1
		.amdhsa_system_sgpr_workgroup_id_y 0
		.amdhsa_system_sgpr_workgroup_id_z 0
		.amdhsa_system_sgpr_workgroup_info 0
		.amdhsa_system_vgpr_workitem_id 0
		.amdhsa_next_free_vgpr 40
		.amdhsa_next_free_sgpr 63
		.amdhsa_accum_offset 40
		.amdhsa_reserve_vcc 1
		.amdhsa_float_round_mode_32 0
		.amdhsa_float_round_mode_16_64 0
		.amdhsa_float_denorm_mode_32 3
		.amdhsa_float_denorm_mode_16_64 3
		.amdhsa_dx10_clamp 1
		.amdhsa_ieee_mode 1
		.amdhsa_fp16_overflow 0
		.amdhsa_tg_split 0
		.amdhsa_exception_fp_ieee_invalid_op 0
		.amdhsa_exception_fp_denorm_src 0
		.amdhsa_exception_fp_ieee_div_zero 0
		.amdhsa_exception_fp_ieee_overflow 0
		.amdhsa_exception_fp_ieee_underflow 0
		.amdhsa_exception_fp_ieee_inexact 0
		.amdhsa_exception_int_div_zero 0
	.end_amdhsa_kernel
	.section	.text._ZN9rocsparseL41csrgemm_numeric_fill_block_per_row_kernelILj1024ELj64ELj16384ELj137ELj64Ell21rocsparse_complex_numIfEEEvT5_PKS3_S5_NS_24const_host_device_scalarIT6_EEPKT4_S5_PKS7_SB_S5_SD_S8_SB_S5_SD_SB_S5_PS7_21rocsparse_index_base_SF_SF_SF_bbb,"axG",@progbits,_ZN9rocsparseL41csrgemm_numeric_fill_block_per_row_kernelILj1024ELj64ELj16384ELj137ELj64Ell21rocsparse_complex_numIfEEEvT5_PKS3_S5_NS_24const_host_device_scalarIT6_EEPKT4_S5_PKS7_SB_S5_SD_S8_SB_S5_SD_SB_S5_PS7_21rocsparse_index_base_SF_SF_SF_bbb,comdat
.Lfunc_end135:
	.size	_ZN9rocsparseL41csrgemm_numeric_fill_block_per_row_kernelILj1024ELj64ELj16384ELj137ELj64Ell21rocsparse_complex_numIfEEEvT5_PKS3_S5_NS_24const_host_device_scalarIT6_EEPKT4_S5_PKS7_SB_S5_SD_S8_SB_S5_SD_SB_S5_PS7_21rocsparse_index_base_SF_SF_SF_bbb, .Lfunc_end135-_ZN9rocsparseL41csrgemm_numeric_fill_block_per_row_kernelILj1024ELj64ELj16384ELj137ELj64Ell21rocsparse_complex_numIfEEEvT5_PKS3_S5_NS_24const_host_device_scalarIT6_EEPKT4_S5_PKS7_SB_S5_SD_S8_SB_S5_SD_SB_S5_PS7_21rocsparse_index_base_SF_SF_SF_bbb
                                        ; -- End function
	.set _ZN9rocsparseL41csrgemm_numeric_fill_block_per_row_kernelILj1024ELj64ELj16384ELj137ELj64Ell21rocsparse_complex_numIfEEEvT5_PKS3_S5_NS_24const_host_device_scalarIT6_EEPKT4_S5_PKS7_SB_S5_SD_S8_SB_S5_SD_SB_S5_PS7_21rocsparse_index_base_SF_SF_SF_bbb.num_vgpr, 40
	.set _ZN9rocsparseL41csrgemm_numeric_fill_block_per_row_kernelILj1024ELj64ELj16384ELj137ELj64Ell21rocsparse_complex_numIfEEEvT5_PKS3_S5_NS_24const_host_device_scalarIT6_EEPKT4_S5_PKS7_SB_S5_SD_S8_SB_S5_SD_SB_S5_PS7_21rocsparse_index_base_SF_SF_SF_bbb.num_agpr, 0
	.set _ZN9rocsparseL41csrgemm_numeric_fill_block_per_row_kernelILj1024ELj64ELj16384ELj137ELj64Ell21rocsparse_complex_numIfEEEvT5_PKS3_S5_NS_24const_host_device_scalarIT6_EEPKT4_S5_PKS7_SB_S5_SD_S8_SB_S5_SD_SB_S5_PS7_21rocsparse_index_base_SF_SF_SF_bbb.numbered_sgpr, 63
	.set _ZN9rocsparseL41csrgemm_numeric_fill_block_per_row_kernelILj1024ELj64ELj16384ELj137ELj64Ell21rocsparse_complex_numIfEEEvT5_PKS3_S5_NS_24const_host_device_scalarIT6_EEPKT4_S5_PKS7_SB_S5_SD_S8_SB_S5_SD_SB_S5_PS7_21rocsparse_index_base_SF_SF_SF_bbb.num_named_barrier, 0
	.set _ZN9rocsparseL41csrgemm_numeric_fill_block_per_row_kernelILj1024ELj64ELj16384ELj137ELj64Ell21rocsparse_complex_numIfEEEvT5_PKS3_S5_NS_24const_host_device_scalarIT6_EEPKT4_S5_PKS7_SB_S5_SD_S8_SB_S5_SD_SB_S5_PS7_21rocsparse_index_base_SF_SF_SF_bbb.private_seg_size, 0
	.set _ZN9rocsparseL41csrgemm_numeric_fill_block_per_row_kernelILj1024ELj64ELj16384ELj137ELj64Ell21rocsparse_complex_numIfEEEvT5_PKS3_S5_NS_24const_host_device_scalarIT6_EEPKT4_S5_PKS7_SB_S5_SD_S8_SB_S5_SD_SB_S5_PS7_21rocsparse_index_base_SF_SF_SF_bbb.uses_vcc, 1
	.set _ZN9rocsparseL41csrgemm_numeric_fill_block_per_row_kernelILj1024ELj64ELj16384ELj137ELj64Ell21rocsparse_complex_numIfEEEvT5_PKS3_S5_NS_24const_host_device_scalarIT6_EEPKT4_S5_PKS7_SB_S5_SD_S8_SB_S5_SD_SB_S5_PS7_21rocsparse_index_base_SF_SF_SF_bbb.uses_flat_scratch, 0
	.set _ZN9rocsparseL41csrgemm_numeric_fill_block_per_row_kernelILj1024ELj64ELj16384ELj137ELj64Ell21rocsparse_complex_numIfEEEvT5_PKS3_S5_NS_24const_host_device_scalarIT6_EEPKT4_S5_PKS7_SB_S5_SD_S8_SB_S5_SD_SB_S5_PS7_21rocsparse_index_base_SF_SF_SF_bbb.has_dyn_sized_stack, 0
	.set _ZN9rocsparseL41csrgemm_numeric_fill_block_per_row_kernelILj1024ELj64ELj16384ELj137ELj64Ell21rocsparse_complex_numIfEEEvT5_PKS3_S5_NS_24const_host_device_scalarIT6_EEPKT4_S5_PKS7_SB_S5_SD_S8_SB_S5_SD_SB_S5_PS7_21rocsparse_index_base_SF_SF_SF_bbb.has_recursion, 0
	.set _ZN9rocsparseL41csrgemm_numeric_fill_block_per_row_kernelILj1024ELj64ELj16384ELj137ELj64Ell21rocsparse_complex_numIfEEEvT5_PKS3_S5_NS_24const_host_device_scalarIT6_EEPKT4_S5_PKS7_SB_S5_SD_S8_SB_S5_SD_SB_S5_PS7_21rocsparse_index_base_SF_SF_SF_bbb.has_indirect_call, 0
	.section	.AMDGPU.csdata,"",@progbits
; Kernel info:
; codeLenInByte = 3496
; TotalNumSgprs: 69
; NumVgprs: 40
; NumAgprs: 0
; TotalNumVgprs: 40
; ScratchSize: 0
; MemoryBound: 0
; FloatMode: 240
; IeeeMode: 1
; LDSByteSize: 0 bytes/workgroup (compile time only)
; SGPRBlocks: 8
; VGPRBlocks: 4
; NumSGPRsForWavesPerEU: 69
; NumVGPRsForWavesPerEU: 40
; AccumOffset: 40
; Occupancy: 8
; WaveLimiterHint : 1
; COMPUTE_PGM_RSRC2:SCRATCH_EN: 0
; COMPUTE_PGM_RSRC2:USER_SGPR: 2
; COMPUTE_PGM_RSRC2:TRAP_HANDLER: 0
; COMPUTE_PGM_RSRC2:TGID_X_EN: 1
; COMPUTE_PGM_RSRC2:TGID_Y_EN: 0
; COMPUTE_PGM_RSRC2:TGID_Z_EN: 0
; COMPUTE_PGM_RSRC2:TIDIG_COMP_CNT: 0
; COMPUTE_PGM_RSRC3_GFX90A:ACCUM_OFFSET: 9
; COMPUTE_PGM_RSRC3_GFX90A:TG_SPLIT: 0
	.section	.text._ZN9rocsparseL41csrgemm_numeric_fill_block_per_row_kernelILj1024ELj64ELj32768ELj137ELj32Ell21rocsparse_complex_numIfEEEvT5_PKS3_S5_NS_24const_host_device_scalarIT6_EEPKT4_S5_PKS7_SB_S5_SD_S8_SB_S5_SD_SB_S5_PS7_21rocsparse_index_base_SF_SF_SF_bbb,"axG",@progbits,_ZN9rocsparseL41csrgemm_numeric_fill_block_per_row_kernelILj1024ELj64ELj32768ELj137ELj32Ell21rocsparse_complex_numIfEEEvT5_PKS3_S5_NS_24const_host_device_scalarIT6_EEPKT4_S5_PKS7_SB_S5_SD_S8_SB_S5_SD_SB_S5_PS7_21rocsparse_index_base_SF_SF_SF_bbb,comdat
	.globl	_ZN9rocsparseL41csrgemm_numeric_fill_block_per_row_kernelILj1024ELj64ELj32768ELj137ELj32Ell21rocsparse_complex_numIfEEEvT5_PKS3_S5_NS_24const_host_device_scalarIT6_EEPKT4_S5_PKS7_SB_S5_SD_S8_SB_S5_SD_SB_S5_PS7_21rocsparse_index_base_SF_SF_SF_bbb ; -- Begin function _ZN9rocsparseL41csrgemm_numeric_fill_block_per_row_kernelILj1024ELj64ELj32768ELj137ELj32Ell21rocsparse_complex_numIfEEEvT5_PKS3_S5_NS_24const_host_device_scalarIT6_EEPKT4_S5_PKS7_SB_S5_SD_S8_SB_S5_SD_SB_S5_PS7_21rocsparse_index_base_SF_SF_SF_bbb
	.p2align	8
	.type	_ZN9rocsparseL41csrgemm_numeric_fill_block_per_row_kernelILj1024ELj64ELj32768ELj137ELj32Ell21rocsparse_complex_numIfEEEvT5_PKS3_S5_NS_24const_host_device_scalarIT6_EEPKT4_S5_PKS7_SB_S5_SD_S8_SB_S5_SD_SB_S5_PS7_21rocsparse_index_base_SF_SF_SF_bbb,@function
_ZN9rocsparseL41csrgemm_numeric_fill_block_per_row_kernelILj1024ELj64ELj32768ELj137ELj32Ell21rocsparse_complex_numIfEEEvT5_PKS3_S5_NS_24const_host_device_scalarIT6_EEPKT4_S5_PKS7_SB_S5_SD_S8_SB_S5_SD_SB_S5_PS7_21rocsparse_index_base_SF_SF_SF_bbb: ; @_ZN9rocsparseL41csrgemm_numeric_fill_block_per_row_kernelILj1024ELj64ELj32768ELj137ELj32Ell21rocsparse_complex_numIfEEEvT5_PKS3_S5_NS_24const_host_device_scalarIT6_EEPKT4_S5_PKS7_SB_S5_SD_S8_SB_S5_SD_SB_S5_PS7_21rocsparse_index_base_SF_SF_SF_bbb
; %bb.0:
	s_load_dwordx2 s[4:5], s[0:1], 0x70
	s_load_dwordx4 s[52:55], s[0:1], 0x88
                                        ; implicit-def: $vgpr40 : SGPR spill to VGPR lane
	s_mov_b32 s7, 0
	s_mov_b32 s47, 0
	s_waitcnt lgkmcnt(0)
	v_writelane_b32 v40, s4, 0
	s_nop 1
	v_writelane_b32 v40, s5, 1
	s_load_dwordx4 s[20:23], s[0:1], 0x50
	s_load_dword s3, s[0:1], 0x98
	s_load_dwordx4 s[28:31], s[0:1], 0x8
	s_load_dwordx8 s[8:15], s[0:1], 0x20
	s_load_dwordx2 s[4:5], s[0:1], 0x80
	s_waitcnt lgkmcnt(0)
	s_bitcmp1_b32 s3, 0
	s_cselect_b64 s[36:37], -1, 0
	s_bitcmp1_b32 s3, 16
	v_writelane_b32 v40, s4, 2
	s_nop 1
	v_writelane_b32 v40, s5, 3
	s_cselect_b64 s[4:5], -1, 0
	s_xor_b64 s[4:5], s[4:5], -1
	v_cndmask_b32_e64 v1, 0, 1, s[4:5]
	s_bitcmp0_b32 s3, 0
	v_cmp_ne_u32_e64 s[4:5], 1, v1
	s_cbranch_scc1 .LBB136_5
; %bb.1:
	s_load_dwordx2 s[6:7], s[0:1], 0x18
	s_and_b64 vcc, exec, s[4:5]
	s_waitcnt lgkmcnt(0)
	s_mov_b32 s47, s6
	s_cbranch_vccnz .LBB136_3
; %bb.2:
	s_load_dword s47, s[6:7], 0x0
.LBB136_3:
	s_and_b64 vcc, exec, s[4:5]
	s_cbranch_vccnz .LBB136_5
; %bb.4:
	s_load_dword s7, s[6:7], 0x4
.LBB136_5:
	s_nop 0
	s_load_dwordx4 s[16:19], s[0:1], 0x60
	s_load_dwordx4 s[24:27], s[0:1], 0x40
	s_bitcmp1_b32 s3, 8
	s_cselect_b64 s[34:35], -1, 0
	s_bfe_u32 s3, s3, 0x10008
	s_mov_b32 s33, 0
	s_cmp_eq_u32 s3, 0
	s_mov_b32 s46, 0
	s_cbranch_scc1 .LBB136_11
; %bb.6:
	s_and_b64 vcc, exec, s[4:5]
	s_mov_b32 s33, s20
	s_cbranch_vccnz .LBB136_8
; %bb.7:
	s_load_dword s33, s[20:21], 0x0
.LBB136_8:
	s_and_b64 vcc, exec, s[4:5]
	s_cbranch_vccnz .LBB136_10
; %bb.9:
	s_load_dword s21, s[20:21], 0x4
.LBB136_10:
	s_waitcnt lgkmcnt(0)
	s_mov_b32 s46, s21
.LBB136_11:
	s_load_dwordx2 s[72:73], s[0:1], 0x0
	v_or_b32_e32 v1, 0xfffffc00, v0
	v_lshl_add_u32 v20, v0, 3, 0
	s_mov_b64 s[0:1], 0
	v_mov_b32_e32 v2, 0
	s_waitcnt lgkmcnt(0)
	v_mov_b64_e32 v[6:7], s[72:73]
	s_movk_i32 s3, 0x7bff
	v_mov_b32_e32 v3, v20
	v_mov_b32_e32 v4, v1
.LBB136_12:                             ; =>This Inner Loop Header: Depth=1
	v_add_u32_e32 v4, 0x400, v4
	v_cmp_lt_u32_e32 vcc, s3, v4
	ds_write_b64 v3, v[6:7]
	v_add_u32_e32 v5, 0x40000, v3
	v_add_u32_e32 v3, 0x2000, v3
	s_or_b64 s[0:1], vcc, s[0:1]
	ds_write2_b32 v5, v2, v2 offset1:1
	s_andn2_b64 exec, exec, s[0:1]
	s_cbranch_execnz .LBB136_12
; %bb.13:
	s_or_b64 exec, exec, s[0:1]
	s_waitcnt lgkmcnt(0)
	s_barrier
	s_load_dwordx2 s[0:1], s[28:29], 0x0
	s_mov_b32 s3, 0
	s_waitcnt lgkmcnt(0)
	s_lshl_b64 s[0:1], s[0:1], 3
	s_add_u32 s4, s30, s0
	s_addc_u32 s5, s31, s1
	s_lshl_b64 s[0:1], s[2:3], 3
	s_add_u32 s0, s4, s0
	s_addc_u32 s1, s5, s1
	s_load_dwordx2 s[50:51], s[0:1], 0x0
	s_and_b64 vcc, exec, s[36:37]
	s_cbranch_vccz .LBB136_33
; %bb.14:
	s_waitcnt lgkmcnt(0)
	s_lshl_b64 s[0:1], s[50:51], 3
	s_add_u32 s0, s8, s0
	s_addc_u32 s1, s9, s1
	s_load_dwordx4 s[28:31], s[0:1], 0x0
	v_lshrrev_b32_e32 v2, 6, v0
	v_subrev_co_u32_e32 v2, vcc, s52, v2
	s_waitcnt lgkmcnt(0)
	s_sub_u32 s0, s30, s52
	v_subb_co_u32_e64 v3, s[2:3], 0, 0, vcc
	s_subb_u32 s1, s31, 0
	v_lshl_add_u64 v[2:3], s[28:29], 0, v[2:3]
	v_cmp_gt_i64_e32 vcc, s[0:1], v[2:3]
	s_and_saveexec_b64 s[2:3], vcc
	s_cbranch_execz .LBB136_32
; %bb.15:
	v_and_b32_e32 v4, 63, v0
	v_subrev_co_u32_e32 v4, vcc, s53, v4
	s_mov_b32 s6, s53
	s_nop 0
	v_subb_co_u32_e64 v5, s[4:5], 0, 0, vcc
	s_mov_b64 s[4:5], 0
	s_movk_i32 s48, 0x89
	s_branch .LBB136_17
.LBB136_16:                             ;   in Loop: Header=BB136_17 Depth=1
	s_or_b64 exec, exec, s[8:9]
	v_lshl_add_u64 v[2:3], v[2:3], 0, 16
	v_cmp_le_i64_e32 vcc, s[0:1], v[2:3]
	s_or_b64 s[4:5], vcc, s[4:5]
	s_andn2_b64 exec, exec, s[4:5]
	s_cbranch_execz .LBB136_32
.LBB136_17:                             ; =>This Loop Header: Depth=1
                                        ;     Child Loop BB136_21 Depth 2
                                        ;       Child Loop BB136_24 Depth 3
	v_lshl_add_u64 v[6:7], v[2:3], 3, s[10:11]
	global_load_dwordx2 v[6:7], v[6:7], off
	s_waitcnt vmcnt(0)
	v_subrev_co_u32_e32 v6, vcc, s52, v6
	s_nop 1
	v_subbrev_co_u32_e32 v7, vcc, 0, v7, vcc
	v_lshl_add_u64 v[6:7], v[6:7], 3, s[14:15]
	global_load_dwordx4 v[8:11], v[6:7], off
	s_waitcnt vmcnt(0)
	v_subrev_co_u32_e32 v6, vcc, s6, v10
	s_nop 1
	v_subbrev_co_u32_e32 v7, vcc, 0, v11, vcc
	v_lshl_add_u64 v[8:9], v[8:9], 0, v[4:5]
	v_cmp_lt_i64_e32 vcc, v[8:9], v[6:7]
	s_and_saveexec_b64 s[8:9], vcc
	s_cbranch_execz .LBB136_16
; %bb.18:                               ;   in Loop: Header=BB136_17 Depth=1
	v_lshl_add_u64 v[10:11], v[2:3], 3, s[12:13]
	global_load_dwordx2 v[10:11], v[10:11], off
	s_mov_b64 s[20:21], 0
	s_waitcnt vmcnt(0)
	v_mul_f32_e64 v21, v11, -s7
	v_mul_f32_e32 v22, s47, v11
	v_fmac_f32_e32 v21, s47, v10
	v_fmac_f32_e32 v22, s7, v10
	s_branch .LBB136_21
.LBB136_19:                             ;   in Loop: Header=BB136_21 Depth=2
	s_or_b64 exec, exec, s[30:31]
.LBB136_20:                             ;   in Loop: Header=BB136_21 Depth=2
	s_or_b64 exec, exec, s[28:29]
	s_waitcnt vmcnt(0)
	v_mul_f32_e64 v13, v11, -v22
	v_mul_f32_e32 v11, v21, v11
	v_fmac_f32_e32 v13, v21, v10
	v_fmac_f32_e32 v11, v22, v10
	v_lshl_add_u32 v10, v12, 3, 0
	v_add_u32_e32 v10, 0x40000, v10
	ds_add_f32 v10, v13
	ds_add_f32 v10, v11 offset:4
	v_lshl_add_u64 v[8:9], v[8:9], 0, 64
	v_cmp_ge_i64_e32 vcc, v[8:9], v[6:7]
	s_or_b64 s[20:21], vcc, s[20:21]
	s_andn2_b64 exec, exec, s[20:21]
	s_cbranch_execz .LBB136_16
.LBB136_21:                             ;   Parent Loop BB136_17 Depth=1
                                        ; =>  This Loop Header: Depth=2
                                        ;       Child Loop BB136_24 Depth 3
	v_lshlrev_b64 v[10:11], 3, v[8:9]
	v_lshl_add_u64 v[12:13], s[24:25], 0, v[10:11]
	global_load_dwordx2 v[12:13], v[12:13], off
	v_lshl_add_u64 v[10:11], s[26:27], 0, v[10:11]
	global_load_dwordx2 v[10:11], v[10:11], off
	s_waitcnt vmcnt(1)
	v_subrev_co_u32_e32 v14, vcc, s6, v12
	v_mul_lo_u32 v12, v14, s48
	v_and_b32_e32 v12, 0x7fff, v12
	v_lshl_add_u32 v23, v12, 3, 0
	ds_read_b64 v[18:19], v23
	v_subbrev_co_u32_e32 v15, vcc, 0, v13, vcc
	s_waitcnt lgkmcnt(0)
	v_cmp_ne_u64_e32 vcc, v[18:19], v[14:15]
	s_and_saveexec_b64 s[28:29], vcc
	s_cbranch_execz .LBB136_20
; %bb.22:                               ;   in Loop: Header=BB136_21 Depth=2
	s_mov_b64 s[30:31], 0
                                        ; implicit-def: $sgpr36_sgpr37
                                        ; implicit-def: $sgpr38_sgpr39
	s_branch .LBB136_24
.LBB136_23:                             ;   in Loop: Header=BB136_24 Depth=3
	s_or_b64 exec, exec, s[44:45]
	s_and_b64 s[40:41], exec, s[42:43]
	s_or_b64 s[30:31], s[40:41], s[30:31]
	s_andn2_b64 s[36:37], s[36:37], exec
	s_and_b64 s[40:41], s[38:39], exec
	s_or_b64 s[36:37], s[36:37], s[40:41]
	s_andn2_b64 exec, exec, s[30:31]
	s_cbranch_execz .LBB136_30
.LBB136_24:                             ;   Parent Loop BB136_17 Depth=1
                                        ;     Parent Loop BB136_21 Depth=2
                                        ; =>    This Inner Loop Header: Depth=3
	v_mov_b64_e32 v[16:17], v[12:13]
	v_cmp_ne_u64_e32 vcc, s[72:73], v[18:19]
	s_mov_b64 s[40:41], 0
                                        ; implicit-def: $vgpr12_vgpr13
	s_and_saveexec_b64 s[42:43], vcc
	s_xor_b64 s[42:43], exec, s[42:43]
; %bb.25:                               ;   in Loop: Header=BB136_24 Depth=3
	v_add_u32_e32 v12, 1, v16
	s_mov_b64 s[40:41], exec
	v_and_b32_e32 v12, 0x7fff, v12
                                        ; implicit-def: $vgpr23
; %bb.26:                               ;   in Loop: Header=BB136_24 Depth=3
	s_andn2_saveexec_b64 s[42:43], s[42:43]
	s_cbranch_execz .LBB136_28
; %bb.27:                               ;   in Loop: Header=BB136_24 Depth=3
	v_mov_b64_e32 v[12:13], s[72:73]
	ds_cmpst_rtn_b64 v[12:13], v23, v[12:13], v[14:15]
	s_andn2_b64 s[40:41], s[40:41], exec
	s_waitcnt lgkmcnt(0)
	v_cmp_ne_u64_e32 vcc, s[72:73], v[12:13]
	s_and_b64 s[44:45], vcc, exec
	s_or_b64 s[40:41], s[40:41], s[44:45]
	v_mov_b64_e32 v[12:13], v[16:17]
.LBB136_28:                             ;   in Loop: Header=BB136_24 Depth=3
	s_or_b64 exec, exec, s[42:43]
	s_mov_b64 s[42:43], -1
	s_or_b64 s[38:39], s[38:39], exec
                                        ; implicit-def: $vgpr23
                                        ; implicit-def: $vgpr18_vgpr19
	s_and_saveexec_b64 s[44:45], s[40:41]
	s_cbranch_execz .LBB136_23
; %bb.29:                               ;   in Loop: Header=BB136_24 Depth=3
	v_lshl_add_u32 v23, v12, 3, 0
	ds_read_b64 v[18:19], v23
	s_andn2_b64 s[38:39], s[38:39], exec
	s_waitcnt lgkmcnt(0)
	v_cmp_eq_u64_e32 vcc, v[18:19], v[14:15]
	s_orn2_b64 s[42:43], vcc, exec
	s_branch .LBB136_23
.LBB136_30:                             ;   in Loop: Header=BB136_21 Depth=2
	s_or_b64 exec, exec, s[30:31]
	s_and_saveexec_b64 s[30:31], s[36:37]
	s_xor_b64 s[30:31], exec, s[30:31]
	s_cbranch_execz .LBB136_19
; %bb.31:                               ;   in Loop: Header=BB136_21 Depth=2
	v_mov_b32_e32 v12, v16
	s_branch .LBB136_19
.LBB136_32:
	s_or_b64 exec, exec, s[2:3]
.LBB136_33:
	s_andn2_b64 vcc, exec, s[34:35]
	s_cbranch_vccnz .LBB136_50
; %bb.34:
	s_waitcnt lgkmcnt(0)
	s_lshl_b64 s[0:1], s[50:51], 3
	s_add_u32 s0, s22, s0
	s_addc_u32 s1, s23, s1
	s_load_dwordx4 s[4:7], s[0:1], 0x0
	v_subrev_co_u32_e32 v2, vcc, s55, v0
	s_waitcnt lgkmcnt(0)
	s_sub_u32 s0, s6, s55
	v_subb_co_u32_e64 v3, s[2:3], 0, 0, vcc
	s_subb_u32 s1, s7, 0
	v_lshl_add_u64 v[2:3], s[4:5], 0, v[2:3]
	v_cmp_gt_i64_e32 vcc, s[0:1], v[2:3]
	s_and_saveexec_b64 s[2:3], vcc
	s_cbranch_execz .LBB136_49
; %bb.35:
	s_mov_b32 s26, s55
	s_mov_b64 s[4:5], 0
	s_movk_i32 s27, 0x89
	s_mov_b64 s[6:7], 0x400
	s_branch .LBB136_38
.LBB136_36:                             ;   in Loop: Header=BB136_38 Depth=1
	s_or_b64 exec, exec, s[10:11]
.LBB136_37:                             ;   in Loop: Header=BB136_38 Depth=1
	s_or_b64 exec, exec, s[8:9]
	s_waitcnt vmcnt(0)
	v_mul_f32_e64 v7, v5, -s46
	v_mul_f32_e32 v5, s33, v5
	v_fmac_f32_e32 v7, s33, v4
	v_fmac_f32_e32 v5, s46, v4
	v_lshl_add_u32 v4, v6, 3, 0
	v_add_u32_e32 v4, 0x40000, v4
	ds_add_f32 v4, v7
	ds_add_f32 v4, v5 offset:4
	v_lshl_add_u64 v[2:3], v[2:3], 0, s[6:7]
	v_cmp_le_i64_e32 vcc, s[0:1], v[2:3]
	s_or_b64 s[4:5], vcc, s[4:5]
	s_andn2_b64 exec, exec, s[4:5]
	s_cbranch_execz .LBB136_49
.LBB136_38:                             ; =>This Loop Header: Depth=1
                                        ;     Child Loop BB136_41 Depth 2
	v_lshlrev_b64 v[4:5], 3, v[2:3]
	v_lshl_add_u64 v[6:7], s[16:17], 0, v[4:5]
	global_load_dwordx2 v[6:7], v[6:7], off
	v_lshl_add_u64 v[4:5], s[18:19], 0, v[4:5]
	global_load_dwordx2 v[4:5], v[4:5], off
	s_waitcnt vmcnt(1)
	v_subrev_co_u32_e32 v8, vcc, s26, v6
	v_mul_lo_u32 v6, v8, s27
	v_and_b32_e32 v6, 0x7fff, v6
	v_lshl_add_u32 v14, v6, 3, 0
	ds_read_b64 v[12:13], v14
	v_subbrev_co_u32_e32 v9, vcc, 0, v7, vcc
	s_waitcnt lgkmcnt(0)
	v_cmp_ne_u64_e32 vcc, v[12:13], v[8:9]
	s_and_saveexec_b64 s[8:9], vcc
	s_cbranch_execz .LBB136_37
; %bb.39:                               ;   in Loop: Header=BB136_38 Depth=1
	s_mov_b64 s[10:11], 0
                                        ; implicit-def: $sgpr12_sgpr13
                                        ; implicit-def: $sgpr14_sgpr15
	s_branch .LBB136_41
.LBB136_40:                             ;   in Loop: Header=BB136_41 Depth=2
	s_or_b64 exec, exec, s[24:25]
	s_and_b64 s[20:21], exec, s[22:23]
	s_or_b64 s[10:11], s[20:21], s[10:11]
	s_andn2_b64 s[12:13], s[12:13], exec
	s_and_b64 s[20:21], s[14:15], exec
	s_or_b64 s[12:13], s[12:13], s[20:21]
	s_andn2_b64 exec, exec, s[10:11]
	s_cbranch_execz .LBB136_47
.LBB136_41:                             ;   Parent Loop BB136_38 Depth=1
                                        ; =>  This Inner Loop Header: Depth=2
	v_mov_b64_e32 v[10:11], v[6:7]
	v_cmp_ne_u64_e32 vcc, s[72:73], v[12:13]
	s_mov_b64 s[20:21], 0
                                        ; implicit-def: $vgpr6_vgpr7
	s_and_saveexec_b64 s[22:23], vcc
	s_xor_b64 s[22:23], exec, s[22:23]
; %bb.42:                               ;   in Loop: Header=BB136_41 Depth=2
	v_add_u32_e32 v6, 1, v10
	s_mov_b64 s[20:21], exec
	v_and_b32_e32 v6, 0x7fff, v6
                                        ; implicit-def: $vgpr14
; %bb.43:                               ;   in Loop: Header=BB136_41 Depth=2
	s_andn2_saveexec_b64 s[22:23], s[22:23]
	s_cbranch_execz .LBB136_45
; %bb.44:                               ;   in Loop: Header=BB136_41 Depth=2
	v_mov_b64_e32 v[6:7], s[72:73]
	ds_cmpst_rtn_b64 v[6:7], v14, v[6:7], v[8:9]
	s_andn2_b64 s[20:21], s[20:21], exec
	s_waitcnt lgkmcnt(0)
	v_cmp_ne_u64_e32 vcc, s[72:73], v[6:7]
	s_and_b64 s[24:25], vcc, exec
	s_or_b64 s[20:21], s[20:21], s[24:25]
	v_mov_b64_e32 v[6:7], v[10:11]
.LBB136_45:                             ;   in Loop: Header=BB136_41 Depth=2
	s_or_b64 exec, exec, s[22:23]
	s_mov_b64 s[22:23], -1
	s_or_b64 s[14:15], s[14:15], exec
                                        ; implicit-def: $vgpr14
                                        ; implicit-def: $vgpr12_vgpr13
	s_and_saveexec_b64 s[24:25], s[20:21]
	s_cbranch_execz .LBB136_40
; %bb.46:                               ;   in Loop: Header=BB136_41 Depth=2
	v_lshl_add_u32 v14, v6, 3, 0
	ds_read_b64 v[12:13], v14
	s_andn2_b64 s[14:15], s[14:15], exec
	s_waitcnt lgkmcnt(0)
	v_cmp_eq_u64_e32 vcc, v[12:13], v[8:9]
	s_orn2_b64 s[22:23], vcc, exec
	s_branch .LBB136_40
.LBB136_47:                             ;   in Loop: Header=BB136_38 Depth=1
	s_or_b64 exec, exec, s[10:11]
	s_and_saveexec_b64 s[10:11], s[12:13]
	s_xor_b64 s[10:11], exec, s[10:11]
	s_cbranch_execz .LBB136_36
; %bb.48:                               ;   in Loop: Header=BB136_38 Depth=1
	v_mov_b32_e32 v6, v10
	s_branch .LBB136_36
.LBB136_49:
	s_or_b64 exec, exec, s[2:3]
.LBB136_50:
	s_movk_i32 s33, 0x25f
	v_cmp_lt_u32_e64 s[34:35], s33, v0
	s_movk_i32 s33, 0x27f
	v_cmp_lt_u32_e64 s[36:37], s33, v0
	;; [unrolled: 2-line block ×4, first 2 shown]
	s_movk_i32 s33, 0x2df
	s_waitcnt lgkmcnt(0)
	v_writelane_b32 v40, s50, 4
	v_cmp_lt_u32_e64 s[42:43], s33, v0
	s_movk_i32 s33, 0x2ff
	v_writelane_b32 v40, s51, 5
	v_cmp_lt_u32_e64 s[44:45], s33, v0
	s_movk_i32 s33, 0x31f
	;; [unrolled: 3-line block ×5, first 2 shown]
	v_writelane_b32 v40, s55, 9
	v_mbcnt_lo_u32_b32 v2, -1, 0
	v_cmp_lt_u32_e64 s[52:53], s33, v0
	s_movk_i32 s33, 0x39f
	v_mbcnt_hi_u32_b32 v2, -1, v2
	v_cmp_lt_u32_e64 s[54:55], s33, v0
	s_movk_i32 s33, 0x3bf
	v_sub_u32_e32 v2, 63, v2
	s_add_i32 s0, 0, 0x80000
	v_cmp_lt_u32_e64 s[56:57], s33, v0
	s_movk_i32 s33, 0x3df
	v_lshrrev_b64 v[4:5], v2, -1
	v_lshrrev_b32_e32 v2, 2, v0
	v_writelane_b32 v40, s0, 10
	v_cmp_lt_u32_e64 s[58:59], s33, v0
	s_add_i32 s33, 0, 0x80008
	v_and_b32_e32 v2, 0xf8, v2
	v_writelane_b32 v40, s33, 11
	s_add_i32 s33, 0, 0x80010
	v_add_u32_e32 v14, s0, v2
	s_movk_i32 s0, 0x3ff
	v_writelane_b32 v40, s33, 12
	s_add_i32 s33, 0, 0x80018
	v_cmp_eq_u32_e32 vcc, s0, v0
	s_movk_i32 s0, 0x5f
	s_movk_i32 s2, 0x7f
	;; [unrolled: 1-line block ×16, first 2 shown]
	v_writelane_b32 v40, s33, 13
	s_add_i32 s33, 0, 0x80028
	v_mov_b32_e32 v3, 0
	v_cmp_lt_u32_e64 s[0:1], s0, v0
	v_cmp_lt_u32_e64 s[2:3], s2, v0
	;; [unrolled: 1-line block ×16, first 2 shown]
	v_mov_b64_e32 v[6:7], 0
	s_add_i32 s81, 0, 0x80020
	v_writelane_b32 v40, s33, 14
	s_add_i32 s84, 0, 0x80030
	s_add_i32 s85, 0, 0x80038
	;; [unrolled: 1-line block ×26, first 2 shown]
	v_cmp_lt_u32_e64 s[60:61], 31, v0
	v_cmp_lt_u32_e64 s[62:63], 63, v0
	s_mov_b64 s[76:77], 0
	s_barrier
	s_branch .LBB136_52
.LBB136_51:                             ;   in Loop: Header=BB136_52 Depth=1
	s_or_b64 exec, exec, s[64:65]
	v_mov_b32_e32 v2, s80
	s_waitcnt lgkmcnt(0)
	s_barrier
	ds_read_b64 v[8:9], v2
	v_add_u32_e32 v1, 0x400, v1
	s_movk_i32 s64, 0x7bff
	v_cmp_lt_u32_e64 s[64:65], s64, v1
	s_or_b64 s[76:77], s[64:65], s[76:77]
	s_waitcnt lgkmcnt(0)
	v_lshl_add_u64 v[6:7], v[8:9], 0, v[6:7]
	v_add_u32_e32 v20, 0x2000, v20
	s_andn2_b64 exec, exec, s[76:77]
	s_cbranch_execz .LBB136_118
.LBB136_52:                             ; =>This Inner Loop Header: Depth=1
	ds_read_b64 v[8:9], v20
	v_add_u32_e32 v2, 0x40000, v20
	ds_read2_b32 v[10:11], v2 offset1:1
	s_waitcnt lgkmcnt(0)
	s_barrier
	v_cmp_gt_i64_e64 s[64:65], s[72:73], v[8:9]
	s_bcnt1_i32_b64 s78, s[64:65]
	v_mov_b32_e32 v2, s78
	v_and_b32_e32 v13, s64, v4
	v_and_b32_e32 v12, s65, v5
	v_bcnt_u32_b32 v13, v13, 0
	v_bcnt_u32_b32 v12, v12, v13
	ds_write_b64 v14, v[2:3]
	s_waitcnt lgkmcnt(0)
	s_barrier
	s_and_saveexec_b64 s[78:79], s[60:61]
	s_cbranch_execnz .LBB136_85
; %bb.53:                               ;   in Loop: Header=BB136_52 Depth=1
	s_or_b64 exec, exec, s[78:79]
	s_and_saveexec_b64 s[78:79], s[62:63]
	s_cbranch_execnz .LBB136_86
.LBB136_54:                             ;   in Loop: Header=BB136_52 Depth=1
	s_or_b64 exec, exec, s[78:79]
	s_and_saveexec_b64 s[78:79], s[0:1]
	s_cbranch_execnz .LBB136_87
.LBB136_55:                             ;   in Loop: Header=BB136_52 Depth=1
	s_or_b64 exec, exec, s[78:79]
	s_and_saveexec_b64 s[78:79], s[2:3]
	s_cbranch_execnz .LBB136_88
.LBB136_56:                             ;   in Loop: Header=BB136_52 Depth=1
	s_or_b64 exec, exec, s[78:79]
	s_and_saveexec_b64 s[78:79], s[4:5]
	s_cbranch_execnz .LBB136_89
.LBB136_57:                             ;   in Loop: Header=BB136_52 Depth=1
	s_or_b64 exec, exec, s[78:79]
	s_and_saveexec_b64 s[78:79], s[6:7]
	s_cbranch_execnz .LBB136_90
.LBB136_58:                             ;   in Loop: Header=BB136_52 Depth=1
	s_or_b64 exec, exec, s[78:79]
	s_and_saveexec_b64 s[78:79], s[8:9]
	s_cbranch_execnz .LBB136_91
.LBB136_59:                             ;   in Loop: Header=BB136_52 Depth=1
	s_or_b64 exec, exec, s[78:79]
	s_and_saveexec_b64 s[78:79], s[10:11]
	s_cbranch_execnz .LBB136_92
.LBB136_60:                             ;   in Loop: Header=BB136_52 Depth=1
	s_or_b64 exec, exec, s[78:79]
	s_and_saveexec_b64 s[78:79], s[12:13]
	s_cbranch_execnz .LBB136_93
.LBB136_61:                             ;   in Loop: Header=BB136_52 Depth=1
	s_or_b64 exec, exec, s[78:79]
	s_and_saveexec_b64 s[78:79], s[14:15]
	s_cbranch_execnz .LBB136_94
.LBB136_62:                             ;   in Loop: Header=BB136_52 Depth=1
	s_or_b64 exec, exec, s[78:79]
	s_and_saveexec_b64 s[78:79], s[16:17]
	s_cbranch_execnz .LBB136_95
.LBB136_63:                             ;   in Loop: Header=BB136_52 Depth=1
	s_or_b64 exec, exec, s[78:79]
	s_and_saveexec_b64 s[78:79], s[18:19]
	s_cbranch_execnz .LBB136_96
.LBB136_64:                             ;   in Loop: Header=BB136_52 Depth=1
	s_or_b64 exec, exec, s[78:79]
	s_and_saveexec_b64 s[78:79], s[20:21]
	s_cbranch_execnz .LBB136_97
.LBB136_65:                             ;   in Loop: Header=BB136_52 Depth=1
	s_or_b64 exec, exec, s[78:79]
	s_and_saveexec_b64 s[78:79], s[22:23]
	s_cbranch_execnz .LBB136_98
.LBB136_66:                             ;   in Loop: Header=BB136_52 Depth=1
	s_or_b64 exec, exec, s[78:79]
	s_and_saveexec_b64 s[78:79], s[24:25]
	s_cbranch_execnz .LBB136_99
.LBB136_67:                             ;   in Loop: Header=BB136_52 Depth=1
	s_or_b64 exec, exec, s[78:79]
	s_and_saveexec_b64 s[78:79], s[26:27]
	s_cbranch_execnz .LBB136_100
.LBB136_68:                             ;   in Loop: Header=BB136_52 Depth=1
	s_or_b64 exec, exec, s[78:79]
	s_and_saveexec_b64 s[78:79], s[28:29]
	s_cbranch_execnz .LBB136_101
.LBB136_69:                             ;   in Loop: Header=BB136_52 Depth=1
	s_or_b64 exec, exec, s[78:79]
	s_and_saveexec_b64 s[78:79], s[30:31]
	s_cbranch_execnz .LBB136_102
.LBB136_70:                             ;   in Loop: Header=BB136_52 Depth=1
	s_or_b64 exec, exec, s[78:79]
	s_and_saveexec_b64 s[78:79], s[34:35]
	s_cbranch_execnz .LBB136_103
.LBB136_71:                             ;   in Loop: Header=BB136_52 Depth=1
	s_or_b64 exec, exec, s[78:79]
	s_and_saveexec_b64 s[78:79], s[36:37]
	s_cbranch_execnz .LBB136_104
.LBB136_72:                             ;   in Loop: Header=BB136_52 Depth=1
	s_or_b64 exec, exec, s[78:79]
	s_and_saveexec_b64 s[78:79], s[38:39]
	s_cbranch_execnz .LBB136_105
.LBB136_73:                             ;   in Loop: Header=BB136_52 Depth=1
	s_or_b64 exec, exec, s[78:79]
	s_and_saveexec_b64 s[78:79], s[40:41]
	s_cbranch_execnz .LBB136_106
.LBB136_74:                             ;   in Loop: Header=BB136_52 Depth=1
	s_or_b64 exec, exec, s[78:79]
	s_and_saveexec_b64 s[78:79], s[42:43]
	s_cbranch_execnz .LBB136_107
.LBB136_75:                             ;   in Loop: Header=BB136_52 Depth=1
	s_or_b64 exec, exec, s[78:79]
	s_and_saveexec_b64 s[78:79], s[44:45]
	s_cbranch_execnz .LBB136_108
.LBB136_76:                             ;   in Loop: Header=BB136_52 Depth=1
	s_or_b64 exec, exec, s[78:79]
	s_and_saveexec_b64 s[78:79], s[46:47]
	s_cbranch_execnz .LBB136_109
.LBB136_77:                             ;   in Loop: Header=BB136_52 Depth=1
	s_or_b64 exec, exec, s[78:79]
	s_and_saveexec_b64 s[78:79], s[48:49]
	s_cbranch_execnz .LBB136_110
.LBB136_78:                             ;   in Loop: Header=BB136_52 Depth=1
	s_or_b64 exec, exec, s[78:79]
	s_and_saveexec_b64 s[78:79], s[50:51]
	s_cbranch_execnz .LBB136_111
.LBB136_79:                             ;   in Loop: Header=BB136_52 Depth=1
	s_or_b64 exec, exec, s[78:79]
	s_and_saveexec_b64 s[78:79], s[52:53]
	s_cbranch_execnz .LBB136_112
.LBB136_80:                             ;   in Loop: Header=BB136_52 Depth=1
	s_or_b64 exec, exec, s[78:79]
	s_and_saveexec_b64 s[78:79], s[54:55]
	s_cbranch_execnz .LBB136_113
.LBB136_81:                             ;   in Loop: Header=BB136_52 Depth=1
	s_or_b64 exec, exec, s[78:79]
	s_and_saveexec_b64 s[78:79], s[56:57]
	s_cbranch_execnz .LBB136_114
.LBB136_82:                             ;   in Loop: Header=BB136_52 Depth=1
	s_or_b64 exec, exec, s[78:79]
	s_and_saveexec_b64 s[78:79], s[58:59]
	s_cbranch_execnz .LBB136_115
.LBB136_83:                             ;   in Loop: Header=BB136_52 Depth=1
	s_or_b64 exec, exec, s[78:79]
	v_ashrrev_i32_e32 v13, 31, v12
	s_and_saveexec_b64 s[78:79], s[64:65]
	s_cbranch_execnz .LBB136_116
.LBB136_84:                             ;   in Loop: Header=BB136_52 Depth=1
	s_or_b64 exec, exec, s[78:79]
	s_and_saveexec_b64 s[64:65], vcc
	s_cbranch_execz .LBB136_51
	s_branch .LBB136_117
.LBB136_85:                             ;   in Loop: Header=BB136_52 Depth=1
	v_readlane_b32 s82, v40, 10
	s_nop 1
	v_mov_b32_e32 v2, s82
	ds_read_b32 v2, v2
	s_waitcnt lgkmcnt(0)
	v_add_u32_e32 v12, v2, v12
	s_or_b64 exec, exec, s[78:79]
	s_and_saveexec_b64 s[78:79], s[62:63]
	s_cbranch_execz .LBB136_54
.LBB136_86:                             ;   in Loop: Header=BB136_52 Depth=1
	v_readlane_b32 s82, v40, 11
	s_nop 1
	v_mov_b32_e32 v2, s82
	ds_read_b32 v2, v2
	s_waitcnt lgkmcnt(0)
	v_add_u32_e32 v12, v12, v2
	s_or_b64 exec, exec, s[78:79]
	s_and_saveexec_b64 s[78:79], s[0:1]
	s_cbranch_execz .LBB136_55
.LBB136_87:                             ;   in Loop: Header=BB136_52 Depth=1
	v_readlane_b32 s82, v40, 12
	s_nop 1
	v_mov_b32_e32 v2, s82
	ds_read_b32 v2, v2
	s_waitcnt lgkmcnt(0)
	v_add_u32_e32 v12, v12, v2
	s_or_b64 exec, exec, s[78:79]
	s_and_saveexec_b64 s[78:79], s[2:3]
	s_cbranch_execz .LBB136_56
.LBB136_88:                             ;   in Loop: Header=BB136_52 Depth=1
	v_readlane_b32 s82, v40, 13
	s_nop 1
	v_mov_b32_e32 v2, s82
	ds_read_b32 v2, v2
	s_waitcnt lgkmcnt(0)
	v_add_u32_e32 v12, v12, v2
	s_or_b64 exec, exec, s[78:79]
	s_and_saveexec_b64 s[78:79], s[4:5]
	s_cbranch_execz .LBB136_57
.LBB136_89:                             ;   in Loop: Header=BB136_52 Depth=1
	v_mov_b32_e32 v2, s81
	ds_read_b32 v2, v2
	s_waitcnt lgkmcnt(0)
	v_add_u32_e32 v12, v12, v2
	s_or_b64 exec, exec, s[78:79]
	s_and_saveexec_b64 s[78:79], s[6:7]
	s_cbranch_execz .LBB136_58
.LBB136_90:                             ;   in Loop: Header=BB136_52 Depth=1
	v_readlane_b32 s82, v40, 14
	s_nop 1
	v_mov_b32_e32 v2, s82
	ds_read_b32 v2, v2
	s_waitcnt lgkmcnt(0)
	v_add_u32_e32 v12, v12, v2
	s_or_b64 exec, exec, s[78:79]
	s_and_saveexec_b64 s[78:79], s[8:9]
	s_cbranch_execz .LBB136_59
.LBB136_91:                             ;   in Loop: Header=BB136_52 Depth=1
	v_mov_b32_e32 v2, s84
	ds_read_b32 v2, v2
	s_waitcnt lgkmcnt(0)
	v_add_u32_e32 v12, v12, v2
	s_or_b64 exec, exec, s[78:79]
	s_and_saveexec_b64 s[78:79], s[10:11]
	s_cbranch_execz .LBB136_60
.LBB136_92:                             ;   in Loop: Header=BB136_52 Depth=1
	v_mov_b32_e32 v2, s85
	ds_read_b32 v2, v2
	s_waitcnt lgkmcnt(0)
	v_add_u32_e32 v12, v12, v2
	s_or_b64 exec, exec, s[78:79]
	s_and_saveexec_b64 s[78:79], s[12:13]
	s_cbranch_execz .LBB136_61
.LBB136_93:                             ;   in Loop: Header=BB136_52 Depth=1
	v_mov_b32_e32 v2, s86
	ds_read_b32 v2, v2
	s_waitcnt lgkmcnt(0)
	v_add_u32_e32 v12, v12, v2
	s_or_b64 exec, exec, s[78:79]
	s_and_saveexec_b64 s[78:79], s[14:15]
	s_cbranch_execz .LBB136_62
.LBB136_94:                             ;   in Loop: Header=BB136_52 Depth=1
	v_mov_b32_e32 v2, s87
	ds_read_b32 v2, v2
	s_waitcnt lgkmcnt(0)
	v_add_u32_e32 v12, v12, v2
	s_or_b64 exec, exec, s[78:79]
	s_and_saveexec_b64 s[78:79], s[16:17]
	s_cbranch_execz .LBB136_63
.LBB136_95:                             ;   in Loop: Header=BB136_52 Depth=1
	v_mov_b32_e32 v2, s88
	ds_read_b32 v2, v2
	s_waitcnt lgkmcnt(0)
	v_add_u32_e32 v12, v12, v2
	s_or_b64 exec, exec, s[78:79]
	s_and_saveexec_b64 s[78:79], s[18:19]
	s_cbranch_execz .LBB136_64
.LBB136_96:                             ;   in Loop: Header=BB136_52 Depth=1
	v_mov_b32_e32 v2, s89
	ds_read_b32 v2, v2
	s_waitcnt lgkmcnt(0)
	v_add_u32_e32 v12, v12, v2
	s_or_b64 exec, exec, s[78:79]
	s_and_saveexec_b64 s[78:79], s[20:21]
	s_cbranch_execz .LBB136_65
.LBB136_97:                             ;   in Loop: Header=BB136_52 Depth=1
	v_mov_b32_e32 v2, s90
	ds_read_b32 v2, v2
	s_waitcnt lgkmcnt(0)
	v_add_u32_e32 v12, v12, v2
	s_or_b64 exec, exec, s[78:79]
	s_and_saveexec_b64 s[78:79], s[22:23]
	s_cbranch_execz .LBB136_66
.LBB136_98:                             ;   in Loop: Header=BB136_52 Depth=1
	v_mov_b32_e32 v2, s91
	ds_read_b32 v2, v2
	s_waitcnt lgkmcnt(0)
	v_add_u32_e32 v12, v12, v2
	s_or_b64 exec, exec, s[78:79]
	s_and_saveexec_b64 s[78:79], s[24:25]
	s_cbranch_execz .LBB136_67
.LBB136_99:                             ;   in Loop: Header=BB136_52 Depth=1
	v_mov_b32_e32 v2, s92
	ds_read_b32 v2, v2
	s_waitcnt lgkmcnt(0)
	v_add_u32_e32 v12, v12, v2
	s_or_b64 exec, exec, s[78:79]
	s_and_saveexec_b64 s[78:79], s[26:27]
	s_cbranch_execz .LBB136_68
.LBB136_100:                            ;   in Loop: Header=BB136_52 Depth=1
	v_mov_b32_e32 v2, s93
	ds_read_b32 v2, v2
	s_waitcnt lgkmcnt(0)
	v_add_u32_e32 v12, v12, v2
	s_or_b64 exec, exec, s[78:79]
	s_and_saveexec_b64 s[78:79], s[28:29]
	s_cbranch_execz .LBB136_69
.LBB136_101:                            ;   in Loop: Header=BB136_52 Depth=1
	v_mov_b32_e32 v2, s94
	ds_read_b32 v2, v2
	s_waitcnt lgkmcnt(0)
	v_add_u32_e32 v12, v12, v2
	s_or_b64 exec, exec, s[78:79]
	s_and_saveexec_b64 s[78:79], s[30:31]
	s_cbranch_execz .LBB136_70
.LBB136_102:                            ;   in Loop: Header=BB136_52 Depth=1
	v_mov_b32_e32 v2, s95
	ds_read_b32 v2, v2
	s_waitcnt lgkmcnt(0)
	v_add_u32_e32 v12, v12, v2
	s_or_b64 exec, exec, s[78:79]
	s_and_saveexec_b64 s[78:79], s[34:35]
	s_cbranch_execz .LBB136_71
.LBB136_103:                            ;   in Loop: Header=BB136_52 Depth=1
	v_mov_b32_e32 v2, s96
	ds_read_b32 v2, v2
	s_waitcnt lgkmcnt(0)
	v_add_u32_e32 v12, v12, v2
	s_or_b64 exec, exec, s[78:79]
	s_and_saveexec_b64 s[78:79], s[36:37]
	s_cbranch_execz .LBB136_72
.LBB136_104:                            ;   in Loop: Header=BB136_52 Depth=1
	v_mov_b32_e32 v2, s97
	ds_read_b32 v2, v2
	s_waitcnt lgkmcnt(0)
	v_add_u32_e32 v12, v12, v2
	s_or_b64 exec, exec, s[78:79]
	s_and_saveexec_b64 s[78:79], s[38:39]
	s_cbranch_execz .LBB136_73
.LBB136_105:                            ;   in Loop: Header=BB136_52 Depth=1
	v_mov_b32_e32 v2, s98
	ds_read_b32 v2, v2
	s_waitcnt lgkmcnt(0)
	v_add_u32_e32 v12, v12, v2
	s_or_b64 exec, exec, s[78:79]
	s_and_saveexec_b64 s[78:79], s[40:41]
	s_cbranch_execz .LBB136_74
.LBB136_106:                            ;   in Loop: Header=BB136_52 Depth=1
	v_mov_b32_e32 v2, s99
	ds_read_b32 v2, v2
	s_waitcnt lgkmcnt(0)
	v_add_u32_e32 v12, v12, v2
	s_or_b64 exec, exec, s[78:79]
	s_and_saveexec_b64 s[78:79], s[42:43]
	s_cbranch_execz .LBB136_75
.LBB136_107:                            ;   in Loop: Header=BB136_52 Depth=1
	v_mov_b32_e32 v2, s70
	ds_read_b32 v2, v2
	s_waitcnt lgkmcnt(0)
	v_add_u32_e32 v12, v12, v2
	s_or_b64 exec, exec, s[78:79]
	s_and_saveexec_b64 s[78:79], s[44:45]
	s_cbranch_execz .LBB136_76
.LBB136_108:                            ;   in Loop: Header=BB136_52 Depth=1
	v_mov_b32_e32 v2, s71
	ds_read_b32 v2, v2
	s_waitcnt lgkmcnt(0)
	v_add_u32_e32 v12, v12, v2
	s_or_b64 exec, exec, s[78:79]
	s_and_saveexec_b64 s[78:79], s[46:47]
	s_cbranch_execz .LBB136_77
.LBB136_109:                            ;   in Loop: Header=BB136_52 Depth=1
	v_mov_b32_e32 v2, s74
	ds_read_b32 v2, v2
	s_waitcnt lgkmcnt(0)
	v_add_u32_e32 v12, v12, v2
	s_or_b64 exec, exec, s[78:79]
	s_and_saveexec_b64 s[78:79], s[48:49]
	s_cbranch_execz .LBB136_78
.LBB136_110:                            ;   in Loop: Header=BB136_52 Depth=1
	v_mov_b32_e32 v2, s75
	ds_read_b32 v2, v2
	s_waitcnt lgkmcnt(0)
	v_add_u32_e32 v12, v12, v2
	s_or_b64 exec, exec, s[78:79]
	s_and_saveexec_b64 s[78:79], s[50:51]
	s_cbranch_execz .LBB136_79
.LBB136_111:                            ;   in Loop: Header=BB136_52 Depth=1
	v_mov_b32_e32 v2, s66
	ds_read_b32 v2, v2
	s_waitcnt lgkmcnt(0)
	v_add_u32_e32 v12, v12, v2
	s_or_b64 exec, exec, s[78:79]
	s_and_saveexec_b64 s[78:79], s[52:53]
	s_cbranch_execz .LBB136_80
.LBB136_112:                            ;   in Loop: Header=BB136_52 Depth=1
	v_mov_b32_e32 v2, s68
	ds_read_b32 v2, v2
	s_waitcnt lgkmcnt(0)
	v_add_u32_e32 v12, v12, v2
	s_or_b64 exec, exec, s[78:79]
	s_and_saveexec_b64 s[78:79], s[54:55]
	s_cbranch_execz .LBB136_81
.LBB136_113:                            ;   in Loop: Header=BB136_52 Depth=1
	v_mov_b32_e32 v2, s69
	ds_read_b32 v2, v2
	s_waitcnt lgkmcnt(0)
	v_add_u32_e32 v12, v12, v2
	s_or_b64 exec, exec, s[78:79]
	s_and_saveexec_b64 s[78:79], s[56:57]
	s_cbranch_execz .LBB136_82
.LBB136_114:                            ;   in Loop: Header=BB136_52 Depth=1
	v_mov_b32_e32 v2, s33
	ds_read_b32 v2, v2
	s_waitcnt lgkmcnt(0)
	v_add_u32_e32 v12, v12, v2
	s_or_b64 exec, exec, s[78:79]
	s_and_saveexec_b64 s[78:79], s[58:59]
	s_cbranch_execz .LBB136_83
.LBB136_115:                            ;   in Loop: Header=BB136_52 Depth=1
	v_mov_b32_e32 v2, s67
	ds_read_b32 v2, v2
	s_waitcnt lgkmcnt(0)
	v_add_u32_e32 v12, v12, v2
	s_or_b64 exec, exec, s[78:79]
	v_ashrrev_i32_e32 v13, 31, v12
	s_and_saveexec_b64 s[78:79], s[64:65]
	s_cbranch_execz .LBB136_84
.LBB136_116:                            ;   in Loop: Header=BB136_52 Depth=1
	v_add3_u32 v2, v6, -1, v12
	v_lshl_add_u32 v2, v2, 3, 0
	v_add_u32_e32 v15, 0x40000, v2
	ds_write_b64 v2, v[8:9]
	ds_write2_b32 v15, v10, v11 offset1:1
	s_or_b64 exec, exec, s[78:79]
	s_and_saveexec_b64 s[64:65], vcc
	s_cbranch_execz .LBB136_51
.LBB136_117:                            ;   in Loop: Header=BB136_52 Depth=1
	v_mov_b32_e32 v2, s80
	ds_write_b64 v2, v[12:13]
	s_branch .LBB136_51
.LBB136_118:
	s_or_b64 exec, exec, s[76:77]
	v_readlane_b32 s0, v40, 4
	v_readlane_b32 s1, v40, 5
	s_lshl_b64 s[0:1], s[0:1], 3
	v_readlane_b32 s2, v40, 0
	v_readlane_b32 s3, v40, 1
	s_add_u32 s4, s2, s0
	s_addc_u32 s5, s3, s1
	s_load_dwordx4 s[0:3], s[4:5], 0x0
	v_mov_b32_e32 v1, 0
	s_waitcnt lgkmcnt(0)
	s_sub_u32 s4, s2, s0
	s_subb_u32 s5, s3, s1
	v_cmp_gt_i64_e32 vcc, s[4:5], v[0:1]
	s_and_saveexec_b64 s[6:7], vcc
	s_cbranch_execz .LBB136_128
; %bb.119:
	v_readlane_b32 s8, v40, 6
	v_readlane_b32 s10, v40, 8
	;; [unrolled: 1-line block ×3, first 2 shown]
	s_sub_u32 s8, s0, s10
	s_subb_u32 s9, s1, 0
	s_and_b32 s6, s4, 7
	s_sub_u32 s0, s0, s2
	s_mov_b32 s7, 0
	s_subb_u32 s1, s1, s3
	s_and_b32 s10, s4, -8
	s_cmp_lg_u64 s[6:7], 0
	v_cmp_lt_u64_e64 s[0:1], s[0:1], -7
	s_cselect_b64 s[2:3], -1, 0
	v_readlane_b32 s11, v40, 9
	v_cndmask_b32_e64 v2, 0, 1, s[0:1]
	v_cmp_ne_u32_e64 s[0:1], 1, v2
	v_cndmask_b32_e64 v2, 0, 1, s[2:3]
	s_mov_b32 s11, s5
	s_mov_b64 s[12:13], 0
	v_cmp_ne_u32_e64 s[2:3], 1, v2
	s_mov_b64 s[14:15], 0x400
	s_branch .LBB136_121
.LBB136_120:                            ;   in Loop: Header=BB136_121 Depth=1
	v_readlane_b32 s16, v40, 2
	v_lshl_add_u64 v[0:1], v[0:1], 0, s[14:15]
	v_readlane_b32 s17, v40, 3
	v_cmp_le_i64_e32 vcc, s[4:5], v[0:1]
	s_or_b64 s[12:13], vcc, s[12:13]
	s_waitcnt lgkmcnt(1)
	v_lshl_add_u64 v[4:5], v[6:7], 3, s[16:17]
	s_waitcnt lgkmcnt(0)
	global_store_dwordx2 v[4:5], v[2:3], off
	s_andn2_b64 exec, exec, s[12:13]
	s_cbranch_execz .LBB136_128
.LBB136_121:                            ; =>This Loop Header: Depth=1
                                        ;     Child Loop BB136_123 Depth 2
                                        ;     Child Loop BB136_127 Depth 2
	v_lshl_add_u32 v2, v0, 3, 0
	v_add_u32_e32 v3, 0x40000, v2
	ds_read_b64 v[4:5], v2
	ds_read2_b32 v[2:3], v3 offset1:1
	s_and_b64 vcc, exec, s[0:1]
	v_mov_b64_e32 v[6:7], s[8:9]
	s_mov_b64 s[16:17], 0
	s_cbranch_vccnz .LBB136_125
; %bb.122:                              ;   in Loop: Header=BB136_121 Depth=1
	s_mov_b32 s18, 0
	v_mov_b64_e32 v[6:7], s[8:9]
.LBB136_123:                            ;   Parent Loop BB136_121 Depth=1
                                        ; =>  This Inner Loop Header: Depth=2
	v_mov_b32_e32 v20, s18
	ds_read2_b64 v[8:11], v20 offset1:1
	ds_read2_b64 v[12:15], v20 offset0:2 offset1:3
	ds_read2_b64 v[16:19], v20 offset0:4 offset1:5
	;; [unrolled: 1-line block ×3, first 2 shown]
	v_mov_b32_e32 v25, s7
	s_waitcnt lgkmcnt(3)
	v_cmp_gt_i64_e32 vcc, v[4:5], v[8:9]
	v_mov_b32_e32 v27, s7
	v_mov_b32_e32 v29, s7
	v_cndmask_b32_e64 v24, 0, 1, vcc
	v_cmp_gt_i64_e32 vcc, v[4:5], v[10:11]
	v_lshl_add_u64 v[6:7], v[6:7], 0, v[24:25]
	v_mov_b32_e32 v31, s7
	v_cndmask_b32_e64 v26, 0, 1, vcc
	s_waitcnt lgkmcnt(2)
	v_cmp_gt_i64_e32 vcc, v[4:5], v[12:13]
	v_lshl_add_u64 v[6:7], v[6:7], 0, v[26:27]
	v_mov_b32_e32 v33, s7
	v_cndmask_b32_e64 v28, 0, 1, vcc
	v_cmp_gt_i64_e32 vcc, v[4:5], v[14:15]
	v_lshl_add_u64 v[6:7], v[6:7], 0, v[28:29]
	v_mov_b32_e32 v35, s7
	v_cndmask_b32_e64 v30, 0, 1, vcc
	s_waitcnt lgkmcnt(1)
	v_cmp_gt_i64_e32 vcc, v[4:5], v[16:17]
	v_lshl_add_u64 v[6:7], v[6:7], 0, v[30:31]
	v_mov_b32_e32 v37, s7
	v_cndmask_b32_e64 v32, 0, 1, vcc
	v_cmp_gt_i64_e32 vcc, v[4:5], v[18:19]
	v_lshl_add_u64 v[6:7], v[6:7], 0, v[32:33]
	s_add_u32 s16, s16, 8
	v_cndmask_b32_e64 v34, 0, 1, vcc
	s_waitcnt lgkmcnt(0)
	v_cmp_gt_i64_e32 vcc, v[4:5], v[20:21]
	v_lshl_add_u64 v[6:7], v[6:7], 0, v[34:35]
	v_mov_b32_e32 v39, s7
	v_cndmask_b32_e64 v36, 0, 1, vcc
	v_cmp_gt_i64_e32 vcc, v[4:5], v[22:23]
	s_addc_u32 s17, s17, 0
	s_add_i32 s18, s18, 64
	v_cndmask_b32_e64 v38, 0, 1, vcc
	v_lshl_add_u64 v[6:7], v[6:7], 0, v[36:37]
	s_cmp_eq_u64 s[10:11], s[16:17]
	v_lshl_add_u64 v[6:7], v[6:7], 0, v[38:39]
	s_cbranch_scc0 .LBB136_123
; %bb.124:                              ;   in Loop: Header=BB136_121 Depth=1
	s_mov_b64 s[16:17], s[10:11]
.LBB136_125:                            ;   in Loop: Header=BB136_121 Depth=1
	s_and_b64 vcc, exec, s[2:3]
	s_cbranch_vccnz .LBB136_120
; %bb.126:                              ;   in Loop: Header=BB136_121 Depth=1
	s_lshl_b32 s16, s16, 3
	s_add_i32 s18, s16, 0
	s_mov_b64 s[16:17], s[6:7]
.LBB136_127:                            ;   Parent Loop BB136_121 Depth=1
                                        ; =>  This Inner Loop Header: Depth=2
	v_mov_b32_e32 v8, s18
	ds_read_b64 v[10:11], v8
	s_add_i32 s18, s18, 8
	s_add_u32 s16, s16, -1
	v_mov_b32_e32 v9, s7
	s_addc_u32 s17, s17, -1
	s_waitcnt lgkmcnt(0)
	v_cmp_gt_i64_e32 vcc, v[4:5], v[10:11]
	s_cmp_lg_u64 s[16:17], 0
	s_nop 0
	v_cndmask_b32_e64 v8, 0, 1, vcc
	v_lshl_add_u64 v[6:7], v[6:7], 0, v[8:9]
	s_cbranch_scc1 .LBB136_127
	s_branch .LBB136_120
.LBB136_128:
	s_endpgm
	.section	.rodata,"a",@progbits
	.p2align	6, 0x0
	.amdhsa_kernel _ZN9rocsparseL41csrgemm_numeric_fill_block_per_row_kernelILj1024ELj64ELj32768ELj137ELj32Ell21rocsparse_complex_numIfEEEvT5_PKS3_S5_NS_24const_host_device_scalarIT6_EEPKT4_S5_PKS7_SB_S5_SD_S8_SB_S5_SD_SB_S5_PS7_21rocsparse_index_base_SF_SF_SF_bbb
		.amdhsa_group_segment_fixed_size 0
		.amdhsa_private_segment_fixed_size 0
		.amdhsa_kernarg_size 156
		.amdhsa_user_sgpr_count 2
		.amdhsa_user_sgpr_dispatch_ptr 0
		.amdhsa_user_sgpr_queue_ptr 0
		.amdhsa_user_sgpr_kernarg_segment_ptr 1
		.amdhsa_user_sgpr_dispatch_id 0
		.amdhsa_user_sgpr_kernarg_preload_length 0
		.amdhsa_user_sgpr_kernarg_preload_offset 0
		.amdhsa_user_sgpr_private_segment_size 0
		.amdhsa_uses_dynamic_stack 0
		.amdhsa_enable_private_segment 0
		.amdhsa_system_sgpr_workgroup_id_x 1
		.amdhsa_system_sgpr_workgroup_id_y 0
		.amdhsa_system_sgpr_workgroup_id_z 0
		.amdhsa_system_sgpr_workgroup_info 0
		.amdhsa_system_vgpr_workitem_id 0
		.amdhsa_next_free_vgpr 41
		.amdhsa_next_free_sgpr 100
		.amdhsa_accum_offset 44
		.amdhsa_reserve_vcc 1
		.amdhsa_float_round_mode_32 0
		.amdhsa_float_round_mode_16_64 0
		.amdhsa_float_denorm_mode_32 3
		.amdhsa_float_denorm_mode_16_64 3
		.amdhsa_dx10_clamp 1
		.amdhsa_ieee_mode 1
		.amdhsa_fp16_overflow 0
		.amdhsa_tg_split 0
		.amdhsa_exception_fp_ieee_invalid_op 0
		.amdhsa_exception_fp_denorm_src 0
		.amdhsa_exception_fp_ieee_div_zero 0
		.amdhsa_exception_fp_ieee_overflow 0
		.amdhsa_exception_fp_ieee_underflow 0
		.amdhsa_exception_fp_ieee_inexact 0
		.amdhsa_exception_int_div_zero 0
	.end_amdhsa_kernel
	.section	.text._ZN9rocsparseL41csrgemm_numeric_fill_block_per_row_kernelILj1024ELj64ELj32768ELj137ELj32Ell21rocsparse_complex_numIfEEEvT5_PKS3_S5_NS_24const_host_device_scalarIT6_EEPKT4_S5_PKS7_SB_S5_SD_S8_SB_S5_SD_SB_S5_PS7_21rocsparse_index_base_SF_SF_SF_bbb,"axG",@progbits,_ZN9rocsparseL41csrgemm_numeric_fill_block_per_row_kernelILj1024ELj64ELj32768ELj137ELj32Ell21rocsparse_complex_numIfEEEvT5_PKS3_S5_NS_24const_host_device_scalarIT6_EEPKT4_S5_PKS7_SB_S5_SD_S8_SB_S5_SD_SB_S5_PS7_21rocsparse_index_base_SF_SF_SF_bbb,comdat
.Lfunc_end136:
	.size	_ZN9rocsparseL41csrgemm_numeric_fill_block_per_row_kernelILj1024ELj64ELj32768ELj137ELj32Ell21rocsparse_complex_numIfEEEvT5_PKS3_S5_NS_24const_host_device_scalarIT6_EEPKT4_S5_PKS7_SB_S5_SD_S8_SB_S5_SD_SB_S5_PS7_21rocsparse_index_base_SF_SF_SF_bbb, .Lfunc_end136-_ZN9rocsparseL41csrgemm_numeric_fill_block_per_row_kernelILj1024ELj64ELj32768ELj137ELj32Ell21rocsparse_complex_numIfEEEvT5_PKS3_S5_NS_24const_host_device_scalarIT6_EEPKT4_S5_PKS7_SB_S5_SD_S8_SB_S5_SD_SB_S5_PS7_21rocsparse_index_base_SF_SF_SF_bbb
                                        ; -- End function
	.set _ZN9rocsparseL41csrgemm_numeric_fill_block_per_row_kernelILj1024ELj64ELj32768ELj137ELj32Ell21rocsparse_complex_numIfEEEvT5_PKS3_S5_NS_24const_host_device_scalarIT6_EEPKT4_S5_PKS7_SB_S5_SD_S8_SB_S5_SD_SB_S5_PS7_21rocsparse_index_base_SF_SF_SF_bbb.num_vgpr, 41
	.set _ZN9rocsparseL41csrgemm_numeric_fill_block_per_row_kernelILj1024ELj64ELj32768ELj137ELj32Ell21rocsparse_complex_numIfEEEvT5_PKS3_S5_NS_24const_host_device_scalarIT6_EEPKT4_S5_PKS7_SB_S5_SD_S8_SB_S5_SD_SB_S5_PS7_21rocsparse_index_base_SF_SF_SF_bbb.num_agpr, 0
	.set _ZN9rocsparseL41csrgemm_numeric_fill_block_per_row_kernelILj1024ELj64ELj32768ELj137ELj32Ell21rocsparse_complex_numIfEEEvT5_PKS3_S5_NS_24const_host_device_scalarIT6_EEPKT4_S5_PKS7_SB_S5_SD_S8_SB_S5_SD_SB_S5_PS7_21rocsparse_index_base_SF_SF_SF_bbb.numbered_sgpr, 100
	.set _ZN9rocsparseL41csrgemm_numeric_fill_block_per_row_kernelILj1024ELj64ELj32768ELj137ELj32Ell21rocsparse_complex_numIfEEEvT5_PKS3_S5_NS_24const_host_device_scalarIT6_EEPKT4_S5_PKS7_SB_S5_SD_S8_SB_S5_SD_SB_S5_PS7_21rocsparse_index_base_SF_SF_SF_bbb.num_named_barrier, 0
	.set _ZN9rocsparseL41csrgemm_numeric_fill_block_per_row_kernelILj1024ELj64ELj32768ELj137ELj32Ell21rocsparse_complex_numIfEEEvT5_PKS3_S5_NS_24const_host_device_scalarIT6_EEPKT4_S5_PKS7_SB_S5_SD_S8_SB_S5_SD_SB_S5_PS7_21rocsparse_index_base_SF_SF_SF_bbb.private_seg_size, 0
	.set _ZN9rocsparseL41csrgemm_numeric_fill_block_per_row_kernelILj1024ELj64ELj32768ELj137ELj32Ell21rocsparse_complex_numIfEEEvT5_PKS3_S5_NS_24const_host_device_scalarIT6_EEPKT4_S5_PKS7_SB_S5_SD_S8_SB_S5_SD_SB_S5_PS7_21rocsparse_index_base_SF_SF_SF_bbb.uses_vcc, 1
	.set _ZN9rocsparseL41csrgemm_numeric_fill_block_per_row_kernelILj1024ELj64ELj32768ELj137ELj32Ell21rocsparse_complex_numIfEEEvT5_PKS3_S5_NS_24const_host_device_scalarIT6_EEPKT4_S5_PKS7_SB_S5_SD_S8_SB_S5_SD_SB_S5_PS7_21rocsparse_index_base_SF_SF_SF_bbb.uses_flat_scratch, 0
	.set _ZN9rocsparseL41csrgemm_numeric_fill_block_per_row_kernelILj1024ELj64ELj32768ELj137ELj32Ell21rocsparse_complex_numIfEEEvT5_PKS3_S5_NS_24const_host_device_scalarIT6_EEPKT4_S5_PKS7_SB_S5_SD_S8_SB_S5_SD_SB_S5_PS7_21rocsparse_index_base_SF_SF_SF_bbb.has_dyn_sized_stack, 0
	.set _ZN9rocsparseL41csrgemm_numeric_fill_block_per_row_kernelILj1024ELj64ELj32768ELj137ELj32Ell21rocsparse_complex_numIfEEEvT5_PKS3_S5_NS_24const_host_device_scalarIT6_EEPKT4_S5_PKS7_SB_S5_SD_S8_SB_S5_SD_SB_S5_PS7_21rocsparse_index_base_SF_SF_SF_bbb.has_recursion, 0
	.set _ZN9rocsparseL41csrgemm_numeric_fill_block_per_row_kernelILj1024ELj64ELj32768ELj137ELj32Ell21rocsparse_complex_numIfEEEvT5_PKS3_S5_NS_24const_host_device_scalarIT6_EEPKT4_S5_PKS7_SB_S5_SD_S8_SB_S5_SD_SB_S5_PS7_21rocsparse_index_base_SF_SF_SF_bbb.has_indirect_call, 0
	.section	.AMDGPU.csdata,"",@progbits
; Kernel info:
; codeLenInByte = 4792
; TotalNumSgprs: 106
; NumVgprs: 41
; NumAgprs: 0
; TotalNumVgprs: 41
; ScratchSize: 0
; MemoryBound: 0
; FloatMode: 240
; IeeeMode: 1
; LDSByteSize: 0 bytes/workgroup (compile time only)
; SGPRBlocks: 13
; VGPRBlocks: 5
; NumSGPRsForWavesPerEU: 106
; NumVGPRsForWavesPerEU: 41
; AccumOffset: 44
; Occupancy: 7
; WaveLimiterHint : 1
; COMPUTE_PGM_RSRC2:SCRATCH_EN: 0
; COMPUTE_PGM_RSRC2:USER_SGPR: 2
; COMPUTE_PGM_RSRC2:TRAP_HANDLER: 0
; COMPUTE_PGM_RSRC2:TGID_X_EN: 1
; COMPUTE_PGM_RSRC2:TGID_Y_EN: 0
; COMPUTE_PGM_RSRC2:TGID_Z_EN: 0
; COMPUTE_PGM_RSRC2:TIDIG_COMP_CNT: 0
; COMPUTE_PGM_RSRC3_GFX90A:ACCUM_OFFSET: 10
; COMPUTE_PGM_RSRC3_GFX90A:TG_SPLIT: 0
	.section	.text._ZN9rocsparseL41csrgemm_numeric_fill_block_per_row_kernelILj1024ELj64ELj32768ELj137ELj64Ell21rocsparse_complex_numIfEEEvT5_PKS3_S5_NS_24const_host_device_scalarIT6_EEPKT4_S5_PKS7_SB_S5_SD_S8_SB_S5_SD_SB_S5_PS7_21rocsparse_index_base_SF_SF_SF_bbb,"axG",@progbits,_ZN9rocsparseL41csrgemm_numeric_fill_block_per_row_kernelILj1024ELj64ELj32768ELj137ELj64Ell21rocsparse_complex_numIfEEEvT5_PKS3_S5_NS_24const_host_device_scalarIT6_EEPKT4_S5_PKS7_SB_S5_SD_S8_SB_S5_SD_SB_S5_PS7_21rocsparse_index_base_SF_SF_SF_bbb,comdat
	.globl	_ZN9rocsparseL41csrgemm_numeric_fill_block_per_row_kernelILj1024ELj64ELj32768ELj137ELj64Ell21rocsparse_complex_numIfEEEvT5_PKS3_S5_NS_24const_host_device_scalarIT6_EEPKT4_S5_PKS7_SB_S5_SD_S8_SB_S5_SD_SB_S5_PS7_21rocsparse_index_base_SF_SF_SF_bbb ; -- Begin function _ZN9rocsparseL41csrgemm_numeric_fill_block_per_row_kernelILj1024ELj64ELj32768ELj137ELj64Ell21rocsparse_complex_numIfEEEvT5_PKS3_S5_NS_24const_host_device_scalarIT6_EEPKT4_S5_PKS7_SB_S5_SD_S8_SB_S5_SD_SB_S5_PS7_21rocsparse_index_base_SF_SF_SF_bbb
	.p2align	8
	.type	_ZN9rocsparseL41csrgemm_numeric_fill_block_per_row_kernelILj1024ELj64ELj32768ELj137ELj64Ell21rocsparse_complex_numIfEEEvT5_PKS3_S5_NS_24const_host_device_scalarIT6_EEPKT4_S5_PKS7_SB_S5_SD_S8_SB_S5_SD_SB_S5_PS7_21rocsparse_index_base_SF_SF_SF_bbb,@function
_ZN9rocsparseL41csrgemm_numeric_fill_block_per_row_kernelILj1024ELj64ELj32768ELj137ELj64Ell21rocsparse_complex_numIfEEEvT5_PKS3_S5_NS_24const_host_device_scalarIT6_EEPKT4_S5_PKS7_SB_S5_SD_S8_SB_S5_SD_SB_S5_PS7_21rocsparse_index_base_SF_SF_SF_bbb: ; @_ZN9rocsparseL41csrgemm_numeric_fill_block_per_row_kernelILj1024ELj64ELj32768ELj137ELj64Ell21rocsparse_complex_numIfEEEvT5_PKS3_S5_NS_24const_host_device_scalarIT6_EEPKT4_S5_PKS7_SB_S5_SD_S8_SB_S5_SD_SB_S5_PS7_21rocsparse_index_base_SF_SF_SF_bbb
; %bb.0:
	s_load_dwordx2 s[40:41], s[0:1], 0x70
	s_load_dwordx4 s[20:23], s[0:1], 0x50
	s_load_dword s3, s[0:1], 0x98
	s_load_dwordx4 s[28:31], s[0:1], 0x8
	s_load_dwordx8 s[8:15], s[0:1], 0x20
	s_load_dwordx2 s[34:35], s[0:1], 0x80
	s_load_dwordx4 s[36:39], s[0:1], 0x88
	s_waitcnt lgkmcnt(0)
	s_bitcmp1_b32 s3, 0
	s_cselect_b64 s[48:49], -1, 0
	s_bitcmp1_b32 s3, 16
	s_cselect_b64 s[4:5], -1, 0
	s_xor_b64 s[4:5], s[4:5], -1
	v_cndmask_b32_e64 v1, 0, 1, s[4:5]
	s_mov_b32 s7, 0
	s_bitcmp0_b32 s3, 0
	v_cmp_ne_u32_e64 s[4:5], 1, v1
	s_mov_b32 s59, 0
	s_cbranch_scc1 .LBB137_5
; %bb.1:
	s_load_dwordx2 s[6:7], s[0:1], 0x18
	s_and_b64 vcc, exec, s[4:5]
	s_waitcnt lgkmcnt(0)
	s_mov_b32 s59, s6
	s_cbranch_vccnz .LBB137_3
; %bb.2:
	s_load_dword s59, s[6:7], 0x0
.LBB137_3:
	s_and_b64 vcc, exec, s[4:5]
	s_cbranch_vccnz .LBB137_5
; %bb.4:
	s_load_dword s7, s[6:7], 0x4
.LBB137_5:
	s_nop 0
	s_load_dwordx4 s[16:19], s[0:1], 0x60
	s_load_dwordx4 s[24:27], s[0:1], 0x40
	s_bitcmp1_b32 s3, 8
	s_cselect_b64 s[46:47], -1, 0
	s_bfe_u32 s3, s3, 0x10008
	s_mov_b32 s33, 0
	s_cmp_eq_u32 s3, 0
	s_mov_b32 s58, 0
	s_cbranch_scc1 .LBB137_11
; %bb.6:
	s_and_b64 vcc, exec, s[4:5]
	s_mov_b32 s33, s20
	s_cbranch_vccnz .LBB137_8
; %bb.7:
	s_load_dword s33, s[20:21], 0x0
.LBB137_8:
	s_and_b64 vcc, exec, s[4:5]
	s_cbranch_vccnz .LBB137_10
; %bb.9:
	s_load_dword s21, s[20:21], 0x4
.LBB137_10:
	s_waitcnt lgkmcnt(0)
	s_mov_b32 s58, s21
.LBB137_11:
	s_load_dwordx2 s[42:43], s[0:1], 0x0
	v_or_b32_e32 v1, 0xfffffc00, v0
	v_lshl_add_u32 v20, v0, 3, 0
	s_mov_b64 s[0:1], 0
	v_mov_b32_e32 v2, 0
	s_waitcnt lgkmcnt(0)
	v_mov_b64_e32 v[6:7], s[42:43]
	s_movk_i32 s3, 0x7bff
	v_mov_b32_e32 v3, v20
	v_mov_b32_e32 v4, v1
.LBB137_12:                             ; =>This Inner Loop Header: Depth=1
	v_add_u32_e32 v4, 0x400, v4
	v_cmp_lt_u32_e32 vcc, s3, v4
	ds_write_b64 v3, v[6:7]
	v_add_u32_e32 v5, 0x40000, v3
	v_add_u32_e32 v3, 0x2000, v3
	s_or_b64 s[0:1], vcc, s[0:1]
	ds_write2_b32 v5, v2, v2 offset1:1
	s_andn2_b64 exec, exec, s[0:1]
	s_cbranch_execnz .LBB137_12
; %bb.13:
	s_or_b64 exec, exec, s[0:1]
	s_waitcnt lgkmcnt(0)
	s_barrier
	s_load_dwordx2 s[0:1], s[28:29], 0x0
	s_mov_b32 s3, 0
	v_lshrrev_b32_e32 v21, 6, v0
	s_waitcnt lgkmcnt(0)
	s_lshl_b64 s[0:1], s[0:1], 3
	s_add_u32 s4, s30, s0
	s_addc_u32 s5, s31, s1
	s_lshl_b64 s[0:1], s[2:3], 3
	s_add_u32 s0, s4, s0
	s_addc_u32 s1, s5, s1
	s_load_dwordx2 s[44:45], s[0:1], 0x0
	s_and_b64 vcc, exec, s[48:49]
	s_cbranch_vccz .LBB137_33
; %bb.14:
	s_waitcnt lgkmcnt(0)
	s_lshl_b64 s[0:1], s[44:45], 3
	s_add_u32 s0, s8, s0
	s_addc_u32 s1, s9, s1
	s_load_dwordx4 s[28:31], s[0:1], 0x0
	v_subrev_co_u32_e32 v2, vcc, s36, v21
	s_nop 1
	v_subb_co_u32_e64 v3, s[0:1], 0, 0, vcc
	s_waitcnt lgkmcnt(0)
	s_sub_u32 s0, s30, s36
	s_subb_u32 s1, s31, 0
	v_lshl_add_u64 v[2:3], s[28:29], 0, v[2:3]
	v_cmp_gt_i64_e32 vcc, s[0:1], v[2:3]
	s_and_saveexec_b64 s[2:3], vcc
	s_cbranch_execz .LBB137_32
; %bb.15:
	v_and_b32_e32 v4, 63, v0
	v_subrev_co_u32_e32 v4, vcc, s37, v4
	s_mov_b32 s6, s37
	s_nop 0
	v_subb_co_u32_e64 v5, s[4:5], 0, 0, vcc
	s_mov_b64 s[4:5], 0
	s_movk_i32 s37, 0x89
	s_branch .LBB137_17
.LBB137_16:                             ;   in Loop: Header=BB137_17 Depth=1
	s_or_b64 exec, exec, s[8:9]
	v_lshl_add_u64 v[2:3], v[2:3], 0, 16
	v_cmp_le_i64_e32 vcc, s[0:1], v[2:3]
	s_or_b64 s[4:5], vcc, s[4:5]
	s_andn2_b64 exec, exec, s[4:5]
	s_cbranch_execz .LBB137_32
.LBB137_17:                             ; =>This Loop Header: Depth=1
                                        ;     Child Loop BB137_21 Depth 2
                                        ;       Child Loop BB137_24 Depth 3
	v_lshl_add_u64 v[6:7], v[2:3], 3, s[10:11]
	global_load_dwordx2 v[6:7], v[6:7], off
	s_waitcnt vmcnt(0)
	v_subrev_co_u32_e32 v6, vcc, s36, v6
	s_nop 1
	v_subbrev_co_u32_e32 v7, vcc, 0, v7, vcc
	v_lshl_add_u64 v[6:7], v[6:7], 3, s[14:15]
	global_load_dwordx4 v[8:11], v[6:7], off
	s_waitcnt vmcnt(0)
	v_subrev_co_u32_e32 v6, vcc, s6, v10
	s_nop 1
	v_subbrev_co_u32_e32 v7, vcc, 0, v11, vcc
	v_lshl_add_u64 v[8:9], v[8:9], 0, v[4:5]
	v_cmp_lt_i64_e32 vcc, v[8:9], v[6:7]
	s_and_saveexec_b64 s[8:9], vcc
	s_cbranch_execz .LBB137_16
; %bb.18:                               ;   in Loop: Header=BB137_17 Depth=1
	v_lshl_add_u64 v[10:11], v[2:3], 3, s[12:13]
	global_load_dwordx2 v[10:11], v[10:11], off
	s_mov_b64 s[20:21], 0
	s_waitcnt vmcnt(0)
	v_mul_f32_e64 v22, v11, -s7
	v_mul_f32_e32 v23, s59, v11
	v_fmac_f32_e32 v22, s59, v10
	v_fmac_f32_e32 v23, s7, v10
	s_branch .LBB137_21
.LBB137_19:                             ;   in Loop: Header=BB137_21 Depth=2
	s_or_b64 exec, exec, s[30:31]
.LBB137_20:                             ;   in Loop: Header=BB137_21 Depth=2
	s_or_b64 exec, exec, s[28:29]
	s_waitcnt vmcnt(0)
	v_mul_f32_e64 v13, v11, -v23
	v_mul_f32_e32 v11, v22, v11
	v_fmac_f32_e32 v13, v22, v10
	v_fmac_f32_e32 v11, v23, v10
	v_lshl_add_u32 v10, v12, 3, 0
	v_add_u32_e32 v10, 0x40000, v10
	ds_add_f32 v10, v13
	ds_add_f32 v10, v11 offset:4
	v_lshl_add_u64 v[8:9], v[8:9], 0, 64
	v_cmp_ge_i64_e32 vcc, v[8:9], v[6:7]
	s_or_b64 s[20:21], vcc, s[20:21]
	s_andn2_b64 exec, exec, s[20:21]
	s_cbranch_execz .LBB137_16
.LBB137_21:                             ;   Parent Loop BB137_17 Depth=1
                                        ; =>  This Loop Header: Depth=2
                                        ;       Child Loop BB137_24 Depth 3
	v_lshlrev_b64 v[10:11], 3, v[8:9]
	v_lshl_add_u64 v[12:13], s[24:25], 0, v[10:11]
	global_load_dwordx2 v[12:13], v[12:13], off
	v_lshl_add_u64 v[10:11], s[26:27], 0, v[10:11]
	global_load_dwordx2 v[10:11], v[10:11], off
	s_waitcnt vmcnt(1)
	v_subrev_co_u32_e32 v14, vcc, s6, v12
	v_mul_lo_u32 v12, v14, s37
	v_and_b32_e32 v12, 0x7fff, v12
	v_lshl_add_u32 v24, v12, 3, 0
	ds_read_b64 v[18:19], v24
	v_subbrev_co_u32_e32 v15, vcc, 0, v13, vcc
	s_waitcnt lgkmcnt(0)
	v_cmp_ne_u64_e32 vcc, v[18:19], v[14:15]
	s_and_saveexec_b64 s[28:29], vcc
	s_cbranch_execz .LBB137_20
; %bb.22:                               ;   in Loop: Header=BB137_21 Depth=2
	s_mov_b64 s[30:31], 0
                                        ; implicit-def: $sgpr48_sgpr49
                                        ; implicit-def: $sgpr50_sgpr51
	s_branch .LBB137_24
.LBB137_23:                             ;   in Loop: Header=BB137_24 Depth=3
	s_or_b64 exec, exec, s[56:57]
	s_and_b64 s[52:53], exec, s[54:55]
	s_or_b64 s[30:31], s[52:53], s[30:31]
	s_andn2_b64 s[48:49], s[48:49], exec
	s_and_b64 s[52:53], s[50:51], exec
	s_or_b64 s[48:49], s[48:49], s[52:53]
	s_andn2_b64 exec, exec, s[30:31]
	s_cbranch_execz .LBB137_30
.LBB137_24:                             ;   Parent Loop BB137_17 Depth=1
                                        ;     Parent Loop BB137_21 Depth=2
                                        ; =>    This Inner Loop Header: Depth=3
	v_mov_b64_e32 v[16:17], v[12:13]
	v_cmp_ne_u64_e32 vcc, s[42:43], v[18:19]
	s_mov_b64 s[52:53], 0
                                        ; implicit-def: $vgpr12_vgpr13
	s_and_saveexec_b64 s[54:55], vcc
	s_xor_b64 s[54:55], exec, s[54:55]
; %bb.25:                               ;   in Loop: Header=BB137_24 Depth=3
	v_add_u32_e32 v12, 1, v16
	s_mov_b64 s[52:53], exec
	v_and_b32_e32 v12, 0x7fff, v12
                                        ; implicit-def: $vgpr24
; %bb.26:                               ;   in Loop: Header=BB137_24 Depth=3
	s_andn2_saveexec_b64 s[54:55], s[54:55]
	s_cbranch_execz .LBB137_28
; %bb.27:                               ;   in Loop: Header=BB137_24 Depth=3
	v_mov_b64_e32 v[12:13], s[42:43]
	ds_cmpst_rtn_b64 v[12:13], v24, v[12:13], v[14:15]
	s_andn2_b64 s[52:53], s[52:53], exec
	s_waitcnt lgkmcnt(0)
	v_cmp_ne_u64_e32 vcc, s[42:43], v[12:13]
	s_and_b64 s[56:57], vcc, exec
	s_or_b64 s[52:53], s[52:53], s[56:57]
	v_mov_b64_e32 v[12:13], v[16:17]
.LBB137_28:                             ;   in Loop: Header=BB137_24 Depth=3
	s_or_b64 exec, exec, s[54:55]
	s_mov_b64 s[54:55], -1
	s_or_b64 s[50:51], s[50:51], exec
                                        ; implicit-def: $vgpr24
                                        ; implicit-def: $vgpr18_vgpr19
	s_and_saveexec_b64 s[56:57], s[52:53]
	s_cbranch_execz .LBB137_23
; %bb.29:                               ;   in Loop: Header=BB137_24 Depth=3
	v_lshl_add_u32 v24, v12, 3, 0
	ds_read_b64 v[18:19], v24
	s_andn2_b64 s[50:51], s[50:51], exec
	s_waitcnt lgkmcnt(0)
	v_cmp_eq_u64_e32 vcc, v[18:19], v[14:15]
	s_orn2_b64 s[54:55], vcc, exec
	s_branch .LBB137_23
.LBB137_30:                             ;   in Loop: Header=BB137_21 Depth=2
	s_or_b64 exec, exec, s[30:31]
	s_and_saveexec_b64 s[30:31], s[48:49]
	s_xor_b64 s[30:31], exec, s[30:31]
	s_cbranch_execz .LBB137_19
; %bb.31:                               ;   in Loop: Header=BB137_21 Depth=2
	v_mov_b32_e32 v12, v16
	s_branch .LBB137_19
.LBB137_32:
	s_or_b64 exec, exec, s[2:3]
.LBB137_33:
	s_andn2_b64 vcc, exec, s[46:47]
	s_cbranch_vccnz .LBB137_50
; %bb.34:
	s_waitcnt lgkmcnt(0)
	s_lshl_b64 s[0:1], s[44:45], 3
	s_add_u32 s0, s22, s0
	s_addc_u32 s1, s23, s1
	s_load_dwordx4 s[4:7], s[0:1], 0x0
	v_subrev_co_u32_e32 v2, vcc, s39, v0
	s_waitcnt lgkmcnt(0)
	s_sub_u32 s0, s6, s39
	v_subb_co_u32_e64 v3, s[2:3], 0, 0, vcc
	s_subb_u32 s1, s7, 0
	v_lshl_add_u64 v[2:3], s[4:5], 0, v[2:3]
	v_cmp_gt_i64_e32 vcc, s[0:1], v[2:3]
	s_and_saveexec_b64 s[2:3], vcc
	s_cbranch_execz .LBB137_49
; %bb.35:
	s_mov_b32 s26, s39
	s_mov_b64 s[4:5], 0
	s_movk_i32 s27, 0x89
	s_mov_b64 s[6:7], 0x400
	s_branch .LBB137_38
.LBB137_36:                             ;   in Loop: Header=BB137_38 Depth=1
	s_or_b64 exec, exec, s[10:11]
.LBB137_37:                             ;   in Loop: Header=BB137_38 Depth=1
	s_or_b64 exec, exec, s[8:9]
	s_waitcnt vmcnt(0)
	v_mul_f32_e64 v7, v5, -s58
	v_mul_f32_e32 v5, s33, v5
	v_fmac_f32_e32 v7, s33, v4
	v_fmac_f32_e32 v5, s58, v4
	v_lshl_add_u32 v4, v6, 3, 0
	v_add_u32_e32 v4, 0x40000, v4
	ds_add_f32 v4, v7
	ds_add_f32 v4, v5 offset:4
	v_lshl_add_u64 v[2:3], v[2:3], 0, s[6:7]
	v_cmp_le_i64_e32 vcc, s[0:1], v[2:3]
	s_or_b64 s[4:5], vcc, s[4:5]
	s_andn2_b64 exec, exec, s[4:5]
	s_cbranch_execz .LBB137_49
.LBB137_38:                             ; =>This Loop Header: Depth=1
                                        ;     Child Loop BB137_41 Depth 2
	v_lshlrev_b64 v[4:5], 3, v[2:3]
	v_lshl_add_u64 v[6:7], s[16:17], 0, v[4:5]
	global_load_dwordx2 v[6:7], v[6:7], off
	v_lshl_add_u64 v[4:5], s[18:19], 0, v[4:5]
	global_load_dwordx2 v[4:5], v[4:5], off
	s_waitcnt vmcnt(1)
	v_subrev_co_u32_e32 v8, vcc, s26, v6
	v_mul_lo_u32 v6, v8, s27
	v_and_b32_e32 v6, 0x7fff, v6
	v_lshl_add_u32 v14, v6, 3, 0
	ds_read_b64 v[12:13], v14
	v_subbrev_co_u32_e32 v9, vcc, 0, v7, vcc
	s_waitcnt lgkmcnt(0)
	v_cmp_ne_u64_e32 vcc, v[12:13], v[8:9]
	s_and_saveexec_b64 s[8:9], vcc
	s_cbranch_execz .LBB137_37
; %bb.39:                               ;   in Loop: Header=BB137_38 Depth=1
	s_mov_b64 s[10:11], 0
                                        ; implicit-def: $sgpr12_sgpr13
                                        ; implicit-def: $sgpr14_sgpr15
	s_branch .LBB137_41
.LBB137_40:                             ;   in Loop: Header=BB137_41 Depth=2
	s_or_b64 exec, exec, s[24:25]
	s_and_b64 s[20:21], exec, s[22:23]
	s_or_b64 s[10:11], s[20:21], s[10:11]
	s_andn2_b64 s[12:13], s[12:13], exec
	s_and_b64 s[20:21], s[14:15], exec
	s_or_b64 s[12:13], s[12:13], s[20:21]
	s_andn2_b64 exec, exec, s[10:11]
	s_cbranch_execz .LBB137_47
.LBB137_41:                             ;   Parent Loop BB137_38 Depth=1
                                        ; =>  This Inner Loop Header: Depth=2
	v_mov_b64_e32 v[10:11], v[6:7]
	v_cmp_ne_u64_e32 vcc, s[42:43], v[12:13]
	s_mov_b64 s[20:21], 0
                                        ; implicit-def: $vgpr6_vgpr7
	s_and_saveexec_b64 s[22:23], vcc
	s_xor_b64 s[22:23], exec, s[22:23]
; %bb.42:                               ;   in Loop: Header=BB137_41 Depth=2
	v_add_u32_e32 v6, 1, v10
	s_mov_b64 s[20:21], exec
	v_and_b32_e32 v6, 0x7fff, v6
                                        ; implicit-def: $vgpr14
; %bb.43:                               ;   in Loop: Header=BB137_41 Depth=2
	s_andn2_saveexec_b64 s[22:23], s[22:23]
	s_cbranch_execz .LBB137_45
; %bb.44:                               ;   in Loop: Header=BB137_41 Depth=2
	v_mov_b64_e32 v[6:7], s[42:43]
	ds_cmpst_rtn_b64 v[6:7], v14, v[6:7], v[8:9]
	s_andn2_b64 s[20:21], s[20:21], exec
	s_waitcnt lgkmcnt(0)
	v_cmp_ne_u64_e32 vcc, s[42:43], v[6:7]
	s_and_b64 s[24:25], vcc, exec
	s_or_b64 s[20:21], s[20:21], s[24:25]
	v_mov_b64_e32 v[6:7], v[10:11]
.LBB137_45:                             ;   in Loop: Header=BB137_41 Depth=2
	s_or_b64 exec, exec, s[22:23]
	s_mov_b64 s[22:23], -1
	s_or_b64 s[14:15], s[14:15], exec
                                        ; implicit-def: $vgpr14
                                        ; implicit-def: $vgpr12_vgpr13
	s_and_saveexec_b64 s[24:25], s[20:21]
	s_cbranch_execz .LBB137_40
; %bb.46:                               ;   in Loop: Header=BB137_41 Depth=2
	v_lshl_add_u32 v14, v6, 3, 0
	ds_read_b64 v[12:13], v14
	s_andn2_b64 s[14:15], s[14:15], exec
	s_waitcnt lgkmcnt(0)
	v_cmp_eq_u64_e32 vcc, v[12:13], v[8:9]
	s_orn2_b64 s[22:23], vcc, exec
	s_branch .LBB137_40
.LBB137_47:                             ;   in Loop: Header=BB137_38 Depth=1
	s_or_b64 exec, exec, s[10:11]
	s_and_saveexec_b64 s[10:11], s[12:13]
	s_xor_b64 s[10:11], exec, s[10:11]
	s_cbranch_execz .LBB137_36
; %bb.48:                               ;   in Loop: Header=BB137_38 Depth=1
	v_mov_b32_e32 v6, v10
	s_branch .LBB137_36
.LBB137_49:
	s_or_b64 exec, exec, s[2:3]
.LBB137_50:
	v_mbcnt_lo_u32_b32 v2, -1, 0
	v_mbcnt_hi_u32_b32 v2, -1, v2
	v_sub_u32_e32 v2, 63, v2
	s_add_i32 s33, 0, 0x80000
	s_movk_i32 s0, 0x3ff
	s_movk_i32 s2, 0x7f
	;; [unrolled: 1-line block ×15, first 2 shown]
	s_add_i32 s61, 0, 0x80078
	v_mov_b32_e32 v3, 0
	v_lshrrev_b64 v[4:5], v2, -1
	v_lshl_add_u32 v14, v21, 3, s33
	v_cmp_eq_u32_e32 vcc, s0, v0
	v_cmp_lt_u32_e64 s[0:1], 63, v0
	v_cmp_lt_u32_e64 s[2:3], s2, v0
	v_cmp_lt_u32_e64 s[4:5], s4, v0
	v_cmp_lt_u32_e64 s[6:7], s6, v0
	v_cmp_lt_u32_e64 s[8:9], s8, v0
	v_cmp_lt_u32_e64 s[10:11], s10, v0
	v_cmp_lt_u32_e64 s[12:13], s12, v0
	v_cmp_lt_u32_e64 s[14:15], s14, v0
	v_cmp_lt_u32_e64 s[16:17], s16, v0
	v_cmp_lt_u32_e64 s[18:19], s18, v0
	v_cmp_lt_u32_e64 s[20:21], s20, v0
	v_cmp_lt_u32_e64 s[22:23], s22, v0
	v_cmp_lt_u32_e64 s[24:25], s24, v0
	v_cmp_lt_u32_e64 s[26:27], s26, v0
	v_cmp_lt_u32_e64 s[28:29], s28, v0
	s_mov_b64 s[36:37], 0
	v_mov_b64_e32 v[6:7], 0
	s_add_i32 s39, 0, 0x80008
	s_add_i32 s48, 0, 0x80010
	;; [unrolled: 1-line block ×14, first 2 shown]
	v_mov_b32_e32 v15, s61
	s_movk_i32 s62, 0x7bff
	s_waitcnt lgkmcnt(0)
	s_barrier
	s_branch .LBB137_52
.LBB137_51:                             ;   in Loop: Header=BB137_52 Depth=1
	s_or_b64 exec, exec, s[30:31]
	s_waitcnt lgkmcnt(0)
	s_barrier
	ds_read_b64 v[8:9], v15
	v_add_u32_e32 v1, 0x400, v1
	v_cmp_lt_u32_e64 s[30:31], s62, v1
	s_or_b64 s[36:37], s[30:31], s[36:37]
	v_add_u32_e32 v20, 0x2000, v20
	s_waitcnt lgkmcnt(0)
	v_lshl_add_u64 v[6:7], v[8:9], 0, v[6:7]
	s_andn2_b64 exec, exec, s[36:37]
	s_cbranch_execz .LBB137_86
.LBB137_52:                             ; =>This Inner Loop Header: Depth=1
	ds_read_b64 v[8:9], v20
	v_add_u32_e32 v2, 0x40000, v20
	ds_read2_b32 v[10:11], v2 offset1:1
	s_waitcnt lgkmcnt(0)
	s_barrier
	v_cmp_gt_i64_e64 s[30:31], s[42:43], v[8:9]
	s_bcnt1_i32_b64 s46, s[30:31]
	v_mov_b32_e32 v2, s46
	v_and_b32_e32 v13, s30, v4
	v_and_b32_e32 v12, s31, v5
	v_bcnt_u32_b32 v13, v13, 0
	v_bcnt_u32_b32 v12, v12, v13
	ds_write_b64 v14, v[2:3]
	s_waitcnt lgkmcnt(0)
	s_barrier
	s_and_saveexec_b64 s[46:47], s[0:1]
	s_cbranch_execnz .LBB137_69
; %bb.53:                               ;   in Loop: Header=BB137_52 Depth=1
	s_or_b64 exec, exec, s[46:47]
	s_and_saveexec_b64 s[46:47], s[2:3]
	s_cbranch_execnz .LBB137_70
.LBB137_54:                             ;   in Loop: Header=BB137_52 Depth=1
	s_or_b64 exec, exec, s[46:47]
	s_and_saveexec_b64 s[46:47], s[4:5]
	s_cbranch_execnz .LBB137_71
.LBB137_55:                             ;   in Loop: Header=BB137_52 Depth=1
	s_or_b64 exec, exec, s[46:47]
	s_and_saveexec_b64 s[46:47], s[6:7]
	s_cbranch_execnz .LBB137_72
.LBB137_56:                             ;   in Loop: Header=BB137_52 Depth=1
	s_or_b64 exec, exec, s[46:47]
	s_and_saveexec_b64 s[46:47], s[8:9]
	s_cbranch_execnz .LBB137_73
.LBB137_57:                             ;   in Loop: Header=BB137_52 Depth=1
	s_or_b64 exec, exec, s[46:47]
	s_and_saveexec_b64 s[46:47], s[10:11]
	s_cbranch_execnz .LBB137_74
.LBB137_58:                             ;   in Loop: Header=BB137_52 Depth=1
	s_or_b64 exec, exec, s[46:47]
	s_and_saveexec_b64 s[46:47], s[12:13]
	s_cbranch_execnz .LBB137_75
.LBB137_59:                             ;   in Loop: Header=BB137_52 Depth=1
	s_or_b64 exec, exec, s[46:47]
	s_and_saveexec_b64 s[46:47], s[14:15]
	s_cbranch_execnz .LBB137_76
.LBB137_60:                             ;   in Loop: Header=BB137_52 Depth=1
	s_or_b64 exec, exec, s[46:47]
	s_and_saveexec_b64 s[46:47], s[16:17]
	s_cbranch_execnz .LBB137_77
.LBB137_61:                             ;   in Loop: Header=BB137_52 Depth=1
	s_or_b64 exec, exec, s[46:47]
	s_and_saveexec_b64 s[46:47], s[18:19]
	s_cbranch_execnz .LBB137_78
.LBB137_62:                             ;   in Loop: Header=BB137_52 Depth=1
	s_or_b64 exec, exec, s[46:47]
	s_and_saveexec_b64 s[46:47], s[20:21]
	s_cbranch_execnz .LBB137_79
.LBB137_63:                             ;   in Loop: Header=BB137_52 Depth=1
	s_or_b64 exec, exec, s[46:47]
	s_and_saveexec_b64 s[46:47], s[22:23]
	s_cbranch_execnz .LBB137_80
.LBB137_64:                             ;   in Loop: Header=BB137_52 Depth=1
	s_or_b64 exec, exec, s[46:47]
	s_and_saveexec_b64 s[46:47], s[24:25]
	s_cbranch_execnz .LBB137_81
.LBB137_65:                             ;   in Loop: Header=BB137_52 Depth=1
	s_or_b64 exec, exec, s[46:47]
	s_and_saveexec_b64 s[46:47], s[26:27]
	s_cbranch_execnz .LBB137_82
.LBB137_66:                             ;   in Loop: Header=BB137_52 Depth=1
	s_or_b64 exec, exec, s[46:47]
	s_and_saveexec_b64 s[46:47], s[28:29]
	s_cbranch_execnz .LBB137_83
.LBB137_67:                             ;   in Loop: Header=BB137_52 Depth=1
	s_or_b64 exec, exec, s[46:47]
	v_ashrrev_i32_e32 v13, 31, v12
	s_and_saveexec_b64 s[46:47], s[30:31]
	s_cbranch_execnz .LBB137_84
.LBB137_68:                             ;   in Loop: Header=BB137_52 Depth=1
	s_or_b64 exec, exec, s[46:47]
	s_and_saveexec_b64 s[30:31], vcc
	s_cbranch_execz .LBB137_51
	s_branch .LBB137_85
.LBB137_69:                             ;   in Loop: Header=BB137_52 Depth=1
	v_mov_b32_e32 v2, s33
	ds_read_b32 v2, v2
	s_waitcnt lgkmcnt(0)
	v_add_u32_e32 v12, v2, v12
	s_or_b64 exec, exec, s[46:47]
	s_and_saveexec_b64 s[46:47], s[2:3]
	s_cbranch_execz .LBB137_54
.LBB137_70:                             ;   in Loop: Header=BB137_52 Depth=1
	v_mov_b32_e32 v2, s39
	ds_read_b32 v2, v2
	s_waitcnt lgkmcnt(0)
	v_add_u32_e32 v12, v12, v2
	s_or_b64 exec, exec, s[46:47]
	s_and_saveexec_b64 s[46:47], s[4:5]
	s_cbranch_execz .LBB137_55
.LBB137_71:                             ;   in Loop: Header=BB137_52 Depth=1
	v_mov_b32_e32 v2, s48
	ds_read_b32 v2, v2
	s_waitcnt lgkmcnt(0)
	v_add_u32_e32 v12, v12, v2
	s_or_b64 exec, exec, s[46:47]
	s_and_saveexec_b64 s[46:47], s[6:7]
	s_cbranch_execz .LBB137_56
.LBB137_72:                             ;   in Loop: Header=BB137_52 Depth=1
	v_mov_b32_e32 v2, s49
	ds_read_b32 v2, v2
	s_waitcnt lgkmcnt(0)
	v_add_u32_e32 v12, v12, v2
	s_or_b64 exec, exec, s[46:47]
	s_and_saveexec_b64 s[46:47], s[8:9]
	s_cbranch_execz .LBB137_57
.LBB137_73:                             ;   in Loop: Header=BB137_52 Depth=1
	v_mov_b32_e32 v2, s50
	ds_read_b32 v2, v2
	s_waitcnt lgkmcnt(0)
	v_add_u32_e32 v12, v12, v2
	s_or_b64 exec, exec, s[46:47]
	s_and_saveexec_b64 s[46:47], s[10:11]
	s_cbranch_execz .LBB137_58
.LBB137_74:                             ;   in Loop: Header=BB137_52 Depth=1
	v_mov_b32_e32 v2, s51
	ds_read_b32 v2, v2
	s_waitcnt lgkmcnt(0)
	v_add_u32_e32 v12, v12, v2
	s_or_b64 exec, exec, s[46:47]
	s_and_saveexec_b64 s[46:47], s[12:13]
	s_cbranch_execz .LBB137_59
.LBB137_75:                             ;   in Loop: Header=BB137_52 Depth=1
	v_mov_b32_e32 v2, s52
	ds_read_b32 v2, v2
	s_waitcnt lgkmcnt(0)
	v_add_u32_e32 v12, v12, v2
	s_or_b64 exec, exec, s[46:47]
	s_and_saveexec_b64 s[46:47], s[14:15]
	s_cbranch_execz .LBB137_60
.LBB137_76:                             ;   in Loop: Header=BB137_52 Depth=1
	v_mov_b32_e32 v2, s53
	ds_read_b32 v2, v2
	s_waitcnt lgkmcnt(0)
	v_add_u32_e32 v12, v12, v2
	s_or_b64 exec, exec, s[46:47]
	s_and_saveexec_b64 s[46:47], s[16:17]
	s_cbranch_execz .LBB137_61
.LBB137_77:                             ;   in Loop: Header=BB137_52 Depth=1
	v_mov_b32_e32 v2, s54
	ds_read_b32 v2, v2
	s_waitcnt lgkmcnt(0)
	v_add_u32_e32 v12, v12, v2
	s_or_b64 exec, exec, s[46:47]
	s_and_saveexec_b64 s[46:47], s[18:19]
	s_cbranch_execz .LBB137_62
.LBB137_78:                             ;   in Loop: Header=BB137_52 Depth=1
	v_mov_b32_e32 v2, s55
	ds_read_b32 v2, v2
	s_waitcnt lgkmcnt(0)
	v_add_u32_e32 v12, v12, v2
	s_or_b64 exec, exec, s[46:47]
	s_and_saveexec_b64 s[46:47], s[20:21]
	s_cbranch_execz .LBB137_63
.LBB137_79:                             ;   in Loop: Header=BB137_52 Depth=1
	v_mov_b32_e32 v2, s56
	ds_read_b32 v2, v2
	s_waitcnt lgkmcnt(0)
	v_add_u32_e32 v12, v12, v2
	s_or_b64 exec, exec, s[46:47]
	s_and_saveexec_b64 s[46:47], s[22:23]
	s_cbranch_execz .LBB137_64
.LBB137_80:                             ;   in Loop: Header=BB137_52 Depth=1
	v_mov_b32_e32 v2, s57
	ds_read_b32 v2, v2
	s_waitcnt lgkmcnt(0)
	v_add_u32_e32 v12, v12, v2
	s_or_b64 exec, exec, s[46:47]
	s_and_saveexec_b64 s[46:47], s[24:25]
	s_cbranch_execz .LBB137_65
.LBB137_81:                             ;   in Loop: Header=BB137_52 Depth=1
	v_mov_b32_e32 v2, s58
	ds_read_b32 v2, v2
	s_waitcnt lgkmcnt(0)
	v_add_u32_e32 v12, v12, v2
	s_or_b64 exec, exec, s[46:47]
	s_and_saveexec_b64 s[46:47], s[26:27]
	s_cbranch_execz .LBB137_66
.LBB137_82:                             ;   in Loop: Header=BB137_52 Depth=1
	v_mov_b32_e32 v2, s59
	ds_read_b32 v2, v2
	s_waitcnt lgkmcnt(0)
	v_add_u32_e32 v12, v12, v2
	s_or_b64 exec, exec, s[46:47]
	s_and_saveexec_b64 s[46:47], s[28:29]
	s_cbranch_execz .LBB137_67
.LBB137_83:                             ;   in Loop: Header=BB137_52 Depth=1
	v_mov_b32_e32 v2, s60
	ds_read_b32 v2, v2
	s_waitcnt lgkmcnt(0)
	v_add_u32_e32 v12, v12, v2
	s_or_b64 exec, exec, s[46:47]
	v_ashrrev_i32_e32 v13, 31, v12
	s_and_saveexec_b64 s[46:47], s[30:31]
	s_cbranch_execz .LBB137_68
.LBB137_84:                             ;   in Loop: Header=BB137_52 Depth=1
	v_add3_u32 v2, v6, -1, v12
	v_lshl_add_u32 v2, v2, 3, 0
	v_add_u32_e32 v16, 0x40000, v2
	ds_write_b64 v2, v[8:9]
	ds_write2_b32 v16, v10, v11 offset1:1
	s_or_b64 exec, exec, s[46:47]
	s_and_saveexec_b64 s[30:31], vcc
	s_cbranch_execz .LBB137_51
.LBB137_85:                             ;   in Loop: Header=BB137_52 Depth=1
	v_mov_b32_e32 v2, s61
	ds_write_b64 v2, v[12:13]
	s_branch .LBB137_51
.LBB137_86:
	s_or_b64 exec, exec, s[36:37]
	s_lshl_b64 s[0:1], s[44:45], 3
	s_add_u32 s4, s40, s0
	s_addc_u32 s5, s41, s1
	s_load_dwordx4 s[0:3], s[4:5], 0x0
	v_mov_b32_e32 v1, 0
	s_waitcnt lgkmcnt(0)
	s_sub_u32 s4, s2, s0
	s_subb_u32 s5, s3, s1
	v_cmp_gt_i64_e32 vcc, s[4:5], v[0:1]
	s_and_saveexec_b64 s[6:7], vcc
	s_cbranch_execz .LBB137_96
; %bb.87:
	s_sub_u32 s8, s0, s38
	s_subb_u32 s9, s1, 0
	s_and_b32 s6, s4, 7
	s_sub_u32 s0, s0, s2
	s_mov_b32 s7, 0
	s_subb_u32 s1, s1, s3
	s_and_b32 s10, s4, -8
	s_cmp_lg_u64 s[6:7], 0
	v_cmp_lt_u64_e64 s[0:1], s[0:1], -7
	s_cselect_b64 s[2:3], -1, 0
	s_mov_b32 s11, s5
	v_cndmask_b32_e64 v2, 0, 1, s[0:1]
	v_cmp_ne_u32_e64 s[0:1], 1, v2
	v_cndmask_b32_e64 v2, 0, 1, s[2:3]
	s_mov_b64 s[12:13], 0
	v_cmp_ne_u32_e64 s[2:3], 1, v2
	s_mov_b64 s[14:15], 0x400
	s_branch .LBB137_89
.LBB137_88:                             ;   in Loop: Header=BB137_89 Depth=1
	v_lshl_add_u64 v[0:1], v[0:1], 0, s[14:15]
	v_cmp_le_i64_e32 vcc, s[4:5], v[0:1]
	s_waitcnt lgkmcnt(1)
	v_lshl_add_u64 v[4:5], v[6:7], 3, s[34:35]
	s_or_b64 s[12:13], vcc, s[12:13]
	s_waitcnt lgkmcnt(0)
	global_store_dwordx2 v[4:5], v[2:3], off
	s_andn2_b64 exec, exec, s[12:13]
	s_cbranch_execz .LBB137_96
.LBB137_89:                             ; =>This Loop Header: Depth=1
                                        ;     Child Loop BB137_91 Depth 2
                                        ;     Child Loop BB137_95 Depth 2
	v_lshl_add_u32 v2, v0, 3, 0
	v_add_u32_e32 v3, 0x40000, v2
	ds_read_b64 v[4:5], v2
	ds_read2_b32 v[2:3], v3 offset1:1
	s_and_b64 vcc, exec, s[0:1]
	v_mov_b64_e32 v[6:7], s[8:9]
	s_mov_b64 s[16:17], 0
	s_cbranch_vccnz .LBB137_93
; %bb.90:                               ;   in Loop: Header=BB137_89 Depth=1
	s_mov_b32 s18, 0
	v_mov_b64_e32 v[6:7], s[8:9]
.LBB137_91:                             ;   Parent Loop BB137_89 Depth=1
                                        ; =>  This Inner Loop Header: Depth=2
	v_mov_b32_e32 v20, s18
	ds_read2_b64 v[8:11], v20 offset1:1
	ds_read2_b64 v[12:15], v20 offset0:2 offset1:3
	ds_read2_b64 v[16:19], v20 offset0:4 offset1:5
	;; [unrolled: 1-line block ×3, first 2 shown]
	v_mov_b32_e32 v25, s7
	s_waitcnt lgkmcnt(3)
	v_cmp_gt_i64_e32 vcc, v[4:5], v[8:9]
	v_mov_b32_e32 v27, s7
	v_mov_b32_e32 v29, s7
	v_cndmask_b32_e64 v24, 0, 1, vcc
	v_cmp_gt_i64_e32 vcc, v[4:5], v[10:11]
	v_lshl_add_u64 v[6:7], v[6:7], 0, v[24:25]
	v_mov_b32_e32 v31, s7
	v_cndmask_b32_e64 v26, 0, 1, vcc
	s_waitcnt lgkmcnt(2)
	v_cmp_gt_i64_e32 vcc, v[4:5], v[12:13]
	v_lshl_add_u64 v[6:7], v[6:7], 0, v[26:27]
	v_mov_b32_e32 v33, s7
	v_cndmask_b32_e64 v28, 0, 1, vcc
	v_cmp_gt_i64_e32 vcc, v[4:5], v[14:15]
	v_lshl_add_u64 v[6:7], v[6:7], 0, v[28:29]
	v_mov_b32_e32 v35, s7
	v_cndmask_b32_e64 v30, 0, 1, vcc
	s_waitcnt lgkmcnt(1)
	v_cmp_gt_i64_e32 vcc, v[4:5], v[16:17]
	v_lshl_add_u64 v[6:7], v[6:7], 0, v[30:31]
	v_mov_b32_e32 v37, s7
	v_cndmask_b32_e64 v32, 0, 1, vcc
	v_cmp_gt_i64_e32 vcc, v[4:5], v[18:19]
	v_lshl_add_u64 v[6:7], v[6:7], 0, v[32:33]
	s_add_u32 s16, s16, 8
	v_cndmask_b32_e64 v34, 0, 1, vcc
	s_waitcnt lgkmcnt(0)
	v_cmp_gt_i64_e32 vcc, v[4:5], v[20:21]
	v_lshl_add_u64 v[6:7], v[6:7], 0, v[34:35]
	v_mov_b32_e32 v39, s7
	v_cndmask_b32_e64 v36, 0, 1, vcc
	v_cmp_gt_i64_e32 vcc, v[4:5], v[22:23]
	s_addc_u32 s17, s17, 0
	s_add_i32 s18, s18, 64
	v_cndmask_b32_e64 v38, 0, 1, vcc
	v_lshl_add_u64 v[6:7], v[6:7], 0, v[36:37]
	s_cmp_eq_u64 s[10:11], s[16:17]
	v_lshl_add_u64 v[6:7], v[6:7], 0, v[38:39]
	s_cbranch_scc0 .LBB137_91
; %bb.92:                               ;   in Loop: Header=BB137_89 Depth=1
	s_mov_b64 s[16:17], s[10:11]
.LBB137_93:                             ;   in Loop: Header=BB137_89 Depth=1
	s_and_b64 vcc, exec, s[2:3]
	s_cbranch_vccnz .LBB137_88
; %bb.94:                               ;   in Loop: Header=BB137_89 Depth=1
	s_lshl_b32 s16, s16, 3
	s_add_i32 s18, s16, 0
	s_mov_b64 s[16:17], s[6:7]
.LBB137_95:                             ;   Parent Loop BB137_89 Depth=1
                                        ; =>  This Inner Loop Header: Depth=2
	v_mov_b32_e32 v8, s18
	ds_read_b64 v[10:11], v8
	s_add_i32 s18, s18, 8
	s_add_u32 s16, s16, -1
	v_mov_b32_e32 v9, s7
	s_addc_u32 s17, s17, -1
	s_waitcnt lgkmcnt(0)
	v_cmp_gt_i64_e32 vcc, v[4:5], v[10:11]
	s_cmp_lg_u64 s[16:17], 0
	s_nop 0
	v_cndmask_b32_e64 v8, 0, 1, vcc
	v_lshl_add_u64 v[6:7], v[6:7], 0, v[8:9]
	s_cbranch_scc1 .LBB137_95
	s_branch .LBB137_88
.LBB137_96:
	s_endpgm
	.section	.rodata,"a",@progbits
	.p2align	6, 0x0
	.amdhsa_kernel _ZN9rocsparseL41csrgemm_numeric_fill_block_per_row_kernelILj1024ELj64ELj32768ELj137ELj64Ell21rocsparse_complex_numIfEEEvT5_PKS3_S5_NS_24const_host_device_scalarIT6_EEPKT4_S5_PKS7_SB_S5_SD_S8_SB_S5_SD_SB_S5_PS7_21rocsparse_index_base_SF_SF_SF_bbb
		.amdhsa_group_segment_fixed_size 0
		.amdhsa_private_segment_fixed_size 0
		.amdhsa_kernarg_size 156
		.amdhsa_user_sgpr_count 2
		.amdhsa_user_sgpr_dispatch_ptr 0
		.amdhsa_user_sgpr_queue_ptr 0
		.amdhsa_user_sgpr_kernarg_segment_ptr 1
		.amdhsa_user_sgpr_dispatch_id 0
		.amdhsa_user_sgpr_kernarg_preload_length 0
		.amdhsa_user_sgpr_kernarg_preload_offset 0
		.amdhsa_user_sgpr_private_segment_size 0
		.amdhsa_uses_dynamic_stack 0
		.amdhsa_enable_private_segment 0
		.amdhsa_system_sgpr_workgroup_id_x 1
		.amdhsa_system_sgpr_workgroup_id_y 0
		.amdhsa_system_sgpr_workgroup_id_z 0
		.amdhsa_system_sgpr_workgroup_info 0
		.amdhsa_system_vgpr_workitem_id 0
		.amdhsa_next_free_vgpr 40
		.amdhsa_next_free_sgpr 63
		.amdhsa_accum_offset 40
		.amdhsa_reserve_vcc 1
		.amdhsa_float_round_mode_32 0
		.amdhsa_float_round_mode_16_64 0
		.amdhsa_float_denorm_mode_32 3
		.amdhsa_float_denorm_mode_16_64 3
		.amdhsa_dx10_clamp 1
		.amdhsa_ieee_mode 1
		.amdhsa_fp16_overflow 0
		.amdhsa_tg_split 0
		.amdhsa_exception_fp_ieee_invalid_op 0
		.amdhsa_exception_fp_denorm_src 0
		.amdhsa_exception_fp_ieee_div_zero 0
		.amdhsa_exception_fp_ieee_overflow 0
		.amdhsa_exception_fp_ieee_underflow 0
		.amdhsa_exception_fp_ieee_inexact 0
		.amdhsa_exception_int_div_zero 0
	.end_amdhsa_kernel
	.section	.text._ZN9rocsparseL41csrgemm_numeric_fill_block_per_row_kernelILj1024ELj64ELj32768ELj137ELj64Ell21rocsparse_complex_numIfEEEvT5_PKS3_S5_NS_24const_host_device_scalarIT6_EEPKT4_S5_PKS7_SB_S5_SD_S8_SB_S5_SD_SB_S5_PS7_21rocsparse_index_base_SF_SF_SF_bbb,"axG",@progbits,_ZN9rocsparseL41csrgemm_numeric_fill_block_per_row_kernelILj1024ELj64ELj32768ELj137ELj64Ell21rocsparse_complex_numIfEEEvT5_PKS3_S5_NS_24const_host_device_scalarIT6_EEPKT4_S5_PKS7_SB_S5_SD_S8_SB_S5_SD_SB_S5_PS7_21rocsparse_index_base_SF_SF_SF_bbb,comdat
.Lfunc_end137:
	.size	_ZN9rocsparseL41csrgemm_numeric_fill_block_per_row_kernelILj1024ELj64ELj32768ELj137ELj64Ell21rocsparse_complex_numIfEEEvT5_PKS3_S5_NS_24const_host_device_scalarIT6_EEPKT4_S5_PKS7_SB_S5_SD_S8_SB_S5_SD_SB_S5_PS7_21rocsparse_index_base_SF_SF_SF_bbb, .Lfunc_end137-_ZN9rocsparseL41csrgemm_numeric_fill_block_per_row_kernelILj1024ELj64ELj32768ELj137ELj64Ell21rocsparse_complex_numIfEEEvT5_PKS3_S5_NS_24const_host_device_scalarIT6_EEPKT4_S5_PKS7_SB_S5_SD_S8_SB_S5_SD_SB_S5_PS7_21rocsparse_index_base_SF_SF_SF_bbb
                                        ; -- End function
	.set _ZN9rocsparseL41csrgemm_numeric_fill_block_per_row_kernelILj1024ELj64ELj32768ELj137ELj64Ell21rocsparse_complex_numIfEEEvT5_PKS3_S5_NS_24const_host_device_scalarIT6_EEPKT4_S5_PKS7_SB_S5_SD_S8_SB_S5_SD_SB_S5_PS7_21rocsparse_index_base_SF_SF_SF_bbb.num_vgpr, 40
	.set _ZN9rocsparseL41csrgemm_numeric_fill_block_per_row_kernelILj1024ELj64ELj32768ELj137ELj64Ell21rocsparse_complex_numIfEEEvT5_PKS3_S5_NS_24const_host_device_scalarIT6_EEPKT4_S5_PKS7_SB_S5_SD_S8_SB_S5_SD_SB_S5_PS7_21rocsparse_index_base_SF_SF_SF_bbb.num_agpr, 0
	.set _ZN9rocsparseL41csrgemm_numeric_fill_block_per_row_kernelILj1024ELj64ELj32768ELj137ELj64Ell21rocsparse_complex_numIfEEEvT5_PKS3_S5_NS_24const_host_device_scalarIT6_EEPKT4_S5_PKS7_SB_S5_SD_S8_SB_S5_SD_SB_S5_PS7_21rocsparse_index_base_SF_SF_SF_bbb.numbered_sgpr, 63
	.set _ZN9rocsparseL41csrgemm_numeric_fill_block_per_row_kernelILj1024ELj64ELj32768ELj137ELj64Ell21rocsparse_complex_numIfEEEvT5_PKS3_S5_NS_24const_host_device_scalarIT6_EEPKT4_S5_PKS7_SB_S5_SD_S8_SB_S5_SD_SB_S5_PS7_21rocsparse_index_base_SF_SF_SF_bbb.num_named_barrier, 0
	.set _ZN9rocsparseL41csrgemm_numeric_fill_block_per_row_kernelILj1024ELj64ELj32768ELj137ELj64Ell21rocsparse_complex_numIfEEEvT5_PKS3_S5_NS_24const_host_device_scalarIT6_EEPKT4_S5_PKS7_SB_S5_SD_S8_SB_S5_SD_SB_S5_PS7_21rocsparse_index_base_SF_SF_SF_bbb.private_seg_size, 0
	.set _ZN9rocsparseL41csrgemm_numeric_fill_block_per_row_kernelILj1024ELj64ELj32768ELj137ELj64Ell21rocsparse_complex_numIfEEEvT5_PKS3_S5_NS_24const_host_device_scalarIT6_EEPKT4_S5_PKS7_SB_S5_SD_S8_SB_S5_SD_SB_S5_PS7_21rocsparse_index_base_SF_SF_SF_bbb.uses_vcc, 1
	.set _ZN9rocsparseL41csrgemm_numeric_fill_block_per_row_kernelILj1024ELj64ELj32768ELj137ELj64Ell21rocsparse_complex_numIfEEEvT5_PKS3_S5_NS_24const_host_device_scalarIT6_EEPKT4_S5_PKS7_SB_S5_SD_S8_SB_S5_SD_SB_S5_PS7_21rocsparse_index_base_SF_SF_SF_bbb.uses_flat_scratch, 0
	.set _ZN9rocsparseL41csrgemm_numeric_fill_block_per_row_kernelILj1024ELj64ELj32768ELj137ELj64Ell21rocsparse_complex_numIfEEEvT5_PKS3_S5_NS_24const_host_device_scalarIT6_EEPKT4_S5_PKS7_SB_S5_SD_S8_SB_S5_SD_SB_S5_PS7_21rocsparse_index_base_SF_SF_SF_bbb.has_dyn_sized_stack, 0
	.set _ZN9rocsparseL41csrgemm_numeric_fill_block_per_row_kernelILj1024ELj64ELj32768ELj137ELj64Ell21rocsparse_complex_numIfEEEvT5_PKS3_S5_NS_24const_host_device_scalarIT6_EEPKT4_S5_PKS7_SB_S5_SD_S8_SB_S5_SD_SB_S5_PS7_21rocsparse_index_base_SF_SF_SF_bbb.has_recursion, 0
	.set _ZN9rocsparseL41csrgemm_numeric_fill_block_per_row_kernelILj1024ELj64ELj32768ELj137ELj64Ell21rocsparse_complex_numIfEEEvT5_PKS3_S5_NS_24const_host_device_scalarIT6_EEPKT4_S5_PKS7_SB_S5_SD_S8_SB_S5_SD_SB_S5_PS7_21rocsparse_index_base_SF_SF_SF_bbb.has_indirect_call, 0
	.section	.AMDGPU.csdata,"",@progbits
; Kernel info:
; codeLenInByte = 3496
; TotalNumSgprs: 69
; NumVgprs: 40
; NumAgprs: 0
; TotalNumVgprs: 40
; ScratchSize: 0
; MemoryBound: 0
; FloatMode: 240
; IeeeMode: 1
; LDSByteSize: 0 bytes/workgroup (compile time only)
; SGPRBlocks: 8
; VGPRBlocks: 4
; NumSGPRsForWavesPerEU: 69
; NumVGPRsForWavesPerEU: 40
; AccumOffset: 40
; Occupancy: 8
; WaveLimiterHint : 1
; COMPUTE_PGM_RSRC2:SCRATCH_EN: 0
; COMPUTE_PGM_RSRC2:USER_SGPR: 2
; COMPUTE_PGM_RSRC2:TRAP_HANDLER: 0
; COMPUTE_PGM_RSRC2:TGID_X_EN: 1
; COMPUTE_PGM_RSRC2:TGID_Y_EN: 0
; COMPUTE_PGM_RSRC2:TGID_Z_EN: 0
; COMPUTE_PGM_RSRC2:TIDIG_COMP_CNT: 0
; COMPUTE_PGM_RSRC3_GFX90A:ACCUM_OFFSET: 9
; COMPUTE_PGM_RSRC3_GFX90A:TG_SPLIT: 0
	.section	.text._ZN9rocsparseL51csrgemm_numeric_fill_block_per_row_multipass_kernelILj512ELj16ELj2048ELj32Ell21rocsparse_complex_numIfEEEvT4_PKS3_S5_NS_24const_host_device_scalarIT5_EEPKT3_S5_PKS7_SB_S5_SD_S8_SB_S5_SD_SB_S5_PS7_PS9_21rocsparse_index_base_SG_SG_SG_bbb,"axG",@progbits,_ZN9rocsparseL51csrgemm_numeric_fill_block_per_row_multipass_kernelILj512ELj16ELj2048ELj32Ell21rocsparse_complex_numIfEEEvT4_PKS3_S5_NS_24const_host_device_scalarIT5_EEPKT3_S5_PKS7_SB_S5_SD_S8_SB_S5_SD_SB_S5_PS7_PS9_21rocsparse_index_base_SG_SG_SG_bbb,comdat
	.globl	_ZN9rocsparseL51csrgemm_numeric_fill_block_per_row_multipass_kernelILj512ELj16ELj2048ELj32Ell21rocsparse_complex_numIfEEEvT4_PKS3_S5_NS_24const_host_device_scalarIT5_EEPKT3_S5_PKS7_SB_S5_SD_S8_SB_S5_SD_SB_S5_PS7_PS9_21rocsparse_index_base_SG_SG_SG_bbb ; -- Begin function _ZN9rocsparseL51csrgemm_numeric_fill_block_per_row_multipass_kernelILj512ELj16ELj2048ELj32Ell21rocsparse_complex_numIfEEEvT4_PKS3_S5_NS_24const_host_device_scalarIT5_EEPKT3_S5_PKS7_SB_S5_SD_S8_SB_S5_SD_SB_S5_PS7_PS9_21rocsparse_index_base_SG_SG_SG_bbb
	.p2align	8
	.type	_ZN9rocsparseL51csrgemm_numeric_fill_block_per_row_multipass_kernelILj512ELj16ELj2048ELj32Ell21rocsparse_complex_numIfEEEvT4_PKS3_S5_NS_24const_host_device_scalarIT5_EEPKT3_S5_PKS7_SB_S5_SD_S8_SB_S5_SD_SB_S5_PS7_PS9_21rocsparse_index_base_SG_SG_SG_bbb,@function
_ZN9rocsparseL51csrgemm_numeric_fill_block_per_row_multipass_kernelILj512ELj16ELj2048ELj32Ell21rocsparse_complex_numIfEEEvT4_PKS3_S5_NS_24const_host_device_scalarIT5_EEPKT3_S5_PKS7_SB_S5_SD_S8_SB_S5_SD_SB_S5_PS7_PS9_21rocsparse_index_base_SG_SG_SG_bbb: ; @_ZN9rocsparseL51csrgemm_numeric_fill_block_per_row_multipass_kernelILj512ELj16ELj2048ELj32Ell21rocsparse_complex_numIfEEEvT4_PKS3_S5_NS_24const_host_device_scalarIT5_EEPKT3_S5_PKS7_SB_S5_SD_S8_SB_S5_SD_SB_S5_PS7_PS9_21rocsparse_index_base_SG_SG_SG_bbb
; %bb.0:
	s_load_dwordx8 s[44:51], s[0:1], 0x80
	s_load_dwordx4 s[40:43], s[0:1], 0x68
	s_load_dwordx2 s[12:13], s[0:1], 0x58
	s_load_dword s3, s[0:1], 0xa0
	s_load_dwordx4 s[8:11], s[0:1], 0x8
	s_load_dwordx2 s[14:15], s[0:1], 0x20
	s_load_dwordx4 s[56:59], s[0:1], 0x48
	s_load_dwordx2 s[60:61], s[0:1], 0x38
	s_waitcnt lgkmcnt(0)
	s_bitcmp1_b32 s3, 0
	s_cselect_b64 s[6:7], -1, 0
	s_bitcmp1_b32 s3, 16
	s_cselect_b64 s[4:5], -1, 0
	s_xor_b64 s[16:17], s[4:5], -1
	s_mov_b32 s63, 0
	s_bitcmp0_b32 s3, 0
	s_mov_b32 s33, 0
	s_cbranch_scc1 .LBB138_5
; %bb.1:
	s_load_dwordx2 s[62:63], s[0:1], 0x18
	v_cndmask_b32_e64 v1, 0, 1, s[16:17]
	v_cmp_ne_u32_e64 s[4:5], 1, v1
	s_andn2_b64 vcc, exec, s[16:17]
	s_waitcnt lgkmcnt(0)
	s_mov_b32 s33, s62
	s_cbranch_vccnz .LBB138_3
; %bb.2:
	s_load_dword s33, s[62:63], 0x0
.LBB138_3:
	s_and_b64 vcc, exec, s[4:5]
	s_cbranch_vccnz .LBB138_5
; %bb.4:
	s_load_dword s63, s[62:63], 0x4
.LBB138_5:
	s_nop 0
	s_load_dwordx2 s[4:5], s[0:1], 0x60
	s_load_dwordx4 s[52:55], s[0:1], 0x28
	s_load_dwordx2 s[66:67], s[0:1], 0x40
	s_bitcmp1_b32 s3, 8
                                        ; implicit-def: $vgpr46 : SGPR spill to VGPR lane
	s_cselect_b64 s[68:69], -1, 0
	s_bfe_u32 s3, s3, 0x10008
	s_waitcnt lgkmcnt(0)
	v_writelane_b32 v46, s4, 0
	s_mov_b32 s62, 0
	s_cmp_eq_u32 s3, 0
	s_mov_b32 s98, 0
	v_writelane_b32 v46, s5, 1
	s_cbranch_scc1 .LBB138_11
; %bb.6:
	v_cndmask_b32_e64 v1, 0, 1, s[16:17]
	v_cmp_ne_u32_e64 s[4:5], 1, v1
	s_andn2_b64 vcc, exec, s[16:17]
	s_mov_b32 s62, s58
	s_cbranch_vccnz .LBB138_8
; %bb.7:
	s_load_dword s62, s[58:59], 0x0
.LBB138_8:
	s_and_b64 vcc, exec, s[4:5]
	s_cbranch_vccnz .LBB138_10
; %bb.9:
	s_load_dword s59, s[58:59], 0x4
.LBB138_10:
	s_waitcnt lgkmcnt(0)
	s_mov_b32 s98, s59
.LBB138_11:
	s_load_dwordx2 s[4:5], s[8:9], 0x0
	s_mov_b32 s3, 0
	v_cndmask_b32_e64 v1, 0, 1, s[6:7]
	s_mov_b64 s[58:59], 0
	s_waitcnt lgkmcnt(0)
	s_lshl_b64 s[4:5], s[4:5], 3
	s_add_u32 s4, s10, s4
	s_addc_u32 s5, s11, s5
	s_lshl_b64 s[2:3], s[2:3], 3
	s_add_u32 s2, s4, s2
	s_addc_u32 s3, s5, s3
	s_load_dwordx2 s[8:9], s[2:3], 0x0
	v_cmp_ne_u32_e64 s[2:3], 1, v1
	s_andn2_b64 vcc, exec, s[6:7]
	s_mov_b64 s[4:5], 0
	s_cbranch_vccz .LBB138_14
; %bb.12:
	s_and_b64 vcc, exec, s[2:3]
	s_cbranch_vccz .LBB138_15
.LBB138_13:
	s_load_dwordx2 s[70:71], s[0:1], 0x0
	s_waitcnt lgkmcnt(0)
	v_cmp_lt_i64_e64 s[0:1], s[70:71], 1
	s_and_b64 vcc, exec, s[0:1]
	s_cbranch_vccz .LBB138_16
	s_branch .LBB138_70
.LBB138_14:
	s_waitcnt lgkmcnt(0)
	s_lshl_b64 s[4:5], s[8:9], 3
	s_add_u32 s4, s14, s4
	s_addc_u32 s5, s15, s5
	s_load_dwordx2 s[4:5], s[4:5], 0x0
	s_waitcnt lgkmcnt(0)
	s_sub_u32 s4, s4, s48
	s_subb_u32 s5, s5, 0
	s_and_b64 vcc, exec, s[2:3]
	s_cbranch_vccnz .LBB138_13
.LBB138_15:
	s_waitcnt lgkmcnt(0)
	s_lshl_b64 s[2:3], s[8:9], 3
	s_add_u32 s2, s14, s2
	s_addc_u32 s3, s15, s3
	s_load_dwordx2 s[2:3], s[2:3], 0x8
	s_waitcnt lgkmcnt(0)
	s_sub_u32 s58, s2, s48
	s_subb_u32 s59, s3, 0
	s_load_dwordx2 s[70:71], s[0:1], 0x0
	s_waitcnt lgkmcnt(0)
	v_cmp_lt_i64_e64 s[0:1], s[70:71], 1
	s_and_b64 vcc, exec, s[0:1]
	s_cbranch_vccnz .LBB138_70
.LBB138_16:
	s_lshl_b64 s[8:9], s[8:9], 3
	s_add_u32 s0, s42, s8
	s_addc_u32 s1, s43, s9
	s_load_dwordx2 s[2:3], s[0:1], 0x0
	v_lshrrev_b32_e32 v2, 4, v0
	v_mov_b32_e32 v3, 0
	v_lshl_add_u64 v[4:5], s[4:5], 0, v[2:3]
	v_and_b32_e32 v1, 15, v0
	s_waitcnt lgkmcnt(0)
	s_sub_u32 s38, s2, s50
	s_subb_u32 s39, s3, 0
	v_cmp_gt_i64_e32 vcc, s[58:59], v[4:5]
	s_add_u32 s42, s12, s8
	v_mov_b32_e32 v2, v1
	v_cmp_eq_u32_e64 s[2:3], 15, v1
	s_addc_u32 s43, s13, s9
	s_mov_b32 s99, s51
	v_subrev_co_u32_e64 v6, s[4:5], s51, v0
	v_mbcnt_lo_u32_b32 v1, -1, 0
	s_and_b64 s[50:51], s[6:7], vcc
	v_mbcnt_hi_u32_b32 v1, -1, v1
	s_add_u32 s56, s56, 4
	v_subb_co_u32_e64 v7, s[4:5], 0, 0, s[4:5]
	v_sub_u32_e32 v1, 63, v1
	s_addc_u32 s57, s57, 0
	v_lshrrev_b64 v[8:9], v1, -1
	v_lshrrev_b32_e32 v1, 3, v0
	s_movk_i32 s4, 0x1ff
	s_movk_i32 s10, 0x60
	;; [unrolled: 1-line block ×14, first 2 shown]
	s_add_u32 s72, s40, 4
	v_cmp_eq_u32_e64 s[0:1], 0, v0
	v_and_b32_e32 v34, 60, v1
	v_cmp_eq_u32_e64 s[4:5], s4, v0
	v_cmp_gt_u32_e64 s[6:7], 32, v0
	v_cmp_gt_u32_e64 s[8:9], 64, v0
	;; [unrolled: 1-line block ×15, first 2 shown]
	v_or_b32_e32 v35, 0xfffffe00, v0
	v_lshlrev_b32_e32 v36, 3, v0
	s_addc_u32 s73, s41, 0
	v_mov_b64_e32 v[10:11], 0
	v_mov_b64_e32 v[12:13], 0x800
	;; [unrolled: 1-line block ×3, first 2 shown]
	v_mov_b32_e32 v40, v3
	v_mov_b32_e32 v41, v3
	s_movk_i32 s64, 0x5ff
	v_mov_b64_e32 v[42:43], s[70:71]
	v_mov_b32_e32 v37, 1
	s_mov_b64 s[74:75], 0x80
	s_mov_b64 s[76:77], 0x200
	;; [unrolled: 1-line block ×4, first 2 shown]
	s_branch .LBB138_18
.LBB138_17:                             ;   in Loop: Header=BB138_18 Depth=1
	s_or_b64 exec, exec, s[38:39]
	ds_read_b64 v[10:11], v3 offset:18432
	s_waitcnt lgkmcnt(0)
	s_barrier
	v_cmp_le_i64_e32 vcc, s[70:71], v[10:11]
	v_lshl_add_u64 v[12:13], v[10:11], 0, s[80:81]
	s_cbranch_vccnz .LBB138_70
.LBB138_18:                             ; =>This Loop Header: Depth=1
                                        ;     Child Loop BB138_19 Depth 2
                                        ;     Child Loop BB138_25 Depth 2
                                        ;       Child Loop BB138_33 Depth 3
                                        ;     Child Loop BB138_49 Depth 2
                                        ;     Child Loop BB138_61 Depth 2
	;; [unrolled: 1-line block ×3, first 2 shown]
	s_mov_b64 s[38:39], 0
	v_mov_b32_e32 v14, v36
	v_mov_b32_e32 v15, v35
.LBB138_19:                             ;   Parent Loop BB138_18 Depth=1
                                        ; =>  This Inner Loop Header: Depth=2
	ds_write_b8 v15, v3 offset:16896
	ds_write_b64 v14, v[40:41]
	v_add_u32_e32 v15, 0x200, v15
	v_cmp_lt_u32_e32 vcc, s64, v15
	s_or_b64 s[38:39], vcc, s[38:39]
	v_add_u32_e32 v14, 0x1000, v14
	s_andn2_b64 exec, exec, s[38:39]
	s_cbranch_execnz .LBB138_19
; %bb.20:                               ;   in Loop: Header=BB138_18 Depth=1
	s_or_b64 exec, exec, s[38:39]
	s_and_saveexec_b64 s[38:39], s[0:1]
; %bb.21:                               ;   in Loop: Header=BB138_18 Depth=1
	ds_write_b64 v3, v[42:43] offset:18432
; %bb.22:                               ;   in Loop: Header=BB138_18 Depth=1
	s_or_b64 exec, exec, s[38:39]
	v_mov_b64_e32 v[14:15], s[70:71]
	s_waitcnt lgkmcnt(0)
	s_barrier
	s_and_saveexec_b64 s[82:83], s[50:51]
	s_cbranch_execz .LBB138_45
; %bb.23:                               ;   in Loop: Header=BB138_18 Depth=1
	s_mov_b64 s[84:85], 0
	v_cmp_ne_u64_e64 s[38:39], 0, v[10:11]
	v_mov_b64_e32 v[14:15], s[70:71]
	v_mov_b64_e32 v[16:17], v[4:5]
	s_branch .LBB138_25
.LBB138_24:                             ;   in Loop: Header=BB138_25 Depth=2
	s_or_b64 exec, exec, s[40:41]
	v_lshl_add_u64 v[16:17], v[16:17], 0, 32
	v_cmp_le_i64_e32 vcc, s[58:59], v[16:17]
	s_or_b64 s[84:85], vcc, s[84:85]
	s_andn2_b64 exec, exec, s[84:85]
	s_cbranch_execz .LBB138_44
.LBB138_25:                             ;   Parent Loop BB138_18 Depth=1
                                        ; =>  This Loop Header: Depth=2
                                        ;       Child Loop BB138_33 Depth 3
	v_lshlrev_b64 v[18:19], 3, v[16:17]
	v_lshl_add_u64 v[20:21], s[52:53], 0, v[18:19]
	v_lshl_add_u64 v[18:19], s[54:55], 0, v[18:19]
	global_load_dwordx2 v[22:23], v[20:21], off
	global_load_dwordx2 v[24:25], v[18:19], off
	s_and_b64 vcc, exec, s[38:39]
	v_lshl_add_u64 v[18:19], v[16:17], 3, s[46:47]
	s_cbranch_vccz .LBB138_27
; %bb.26:                               ;   in Loop: Header=BB138_25 Depth=2
	global_load_dwordx2 v[20:21], v[18:19], off
	s_mov_b64 s[40:41], 0
	s_branch .LBB138_28
.LBB138_27:                             ;   in Loop: Header=BB138_25 Depth=2
	s_mov_b64 s[40:41], -1
                                        ; implicit-def: $vgpr20_vgpr21
.LBB138_28:                             ;   in Loop: Header=BB138_25 Depth=2
	s_waitcnt vmcnt(1)
	v_subrev_co_u32_e32 v22, vcc, s48, v22
	s_nop 1
	v_subbrev_co_u32_e32 v23, vcc, 0, v23, vcc
	s_andn2_b64 vcc, exec, s[40:41]
	v_lshl_add_u64 v[22:23], v[22:23], 3, s[60:61]
	s_cbranch_vccnz .LBB138_30
; %bb.29:                               ;   in Loop: Header=BB138_25 Depth=2
	global_load_dwordx2 v[20:21], v[22:23], off
	s_waitcnt vmcnt(0)
	v_subrev_co_u32_e32 v20, vcc, s49, v20
	s_nop 1
	v_subbrev_co_u32_e32 v21, vcc, 0, v21, vcc
.LBB138_30:                             ;   in Loop: Header=BB138_25 Depth=2
	global_load_dwordx2 v[22:23], v[22:23], off offset:8
	s_waitcnt vmcnt(1)
	v_lshl_add_u64 v[20:21], v[20:21], 0, v[2:3]
	s_waitcnt vmcnt(0)
	v_subrev_co_u32_e32 v22, vcc, s49, v22
	s_nop 1
	v_subbrev_co_u32_e32 v23, vcc, 0, v23, vcc
	v_cmp_lt_i64_e32 vcc, v[20:21], v[22:23]
	s_and_saveexec_b64 s[86:87], vcc
	s_cbranch_execz .LBB138_42
; %bb.31:                               ;   in Loop: Header=BB138_25 Depth=2
	v_mul_f32_e64 v38, v25, -s63
	v_mul_f32_e32 v39, s33, v25
	v_fmac_f32_e32 v38, s33, v24
	v_fmac_f32_e32 v39, s63, v24
	v_lshlrev_b64 v[24:25], 3, v[20:21]
	v_lshl_add_u64 v[26:27], s[66:67], 0, v[24:25]
	v_lshl_add_u64 v[28:29], s[56:57], 0, v[24:25]
	s_mov_b64 s[90:91], 0
	v_mov_b64_e32 v[32:33], v[20:21]
                                        ; implicit-def: $sgpr88_sgpr89
                                        ; implicit-def: $sgpr92_sgpr93
	s_branch .LBB138_33
.LBB138_32:                             ;   in Loop: Header=BB138_33 Depth=3
	s_or_b64 exec, exec, s[96:97]
	s_and_b64 s[40:41], exec, s[94:95]
	s_or_b64 s[90:91], s[40:41], s[90:91]
	s_andn2_b64 s[40:41], s[88:89], exec
	s_and_b64 s[88:89], s[92:93], exec
	s_or_b64 s[88:89], s[40:41], s[88:89]
	s_andn2_b64 exec, exec, s[90:91]
	s_cbranch_execz .LBB138_39
.LBB138_33:                             ;   Parent Loop BB138_18 Depth=1
                                        ;     Parent Loop BB138_25 Depth=2
                                        ; =>    This Inner Loop Header: Depth=3
	global_load_dwordx2 v[30:31], v[26:27], off
	v_mov_b64_e32 v[24:25], v[32:33]
	s_waitcnt vmcnt(0)
	v_subrev_co_u32_e32 v30, vcc, s49, v30
	s_nop 1
	v_subbrev_co_u32_e32 v31, vcc, 0, v31, vcc
	v_cmp_lt_i64_e32 vcc, v[30:31], v[10:11]
	v_cmp_ge_i64_e64 s[40:41], v[30:31], v[12:13]
	s_or_b64 s[94:95], vcc, s[40:41]
	s_mov_b64 s[40:41], 0
	s_and_saveexec_b64 s[96:97], s[94:95]
	s_xor_b64 s[94:95], exec, s[96:97]
; %bb.34:                               ;   in Loop: Header=BB138_33 Depth=3
	v_cmp_lt_i64_e32 vcc, v[30:31], v[12:13]
	s_and_b64 s[40:41], vcc, exec
; %bb.35:                               ;   in Loop: Header=BB138_33 Depth=3
	s_andn2_saveexec_b64 s[94:95], s[94:95]
	s_cbranch_execz .LBB138_37
; %bb.36:                               ;   in Loop: Header=BB138_33 Depth=3
	global_load_dwordx2 v[32:33], v[28:29], off offset:-4
	v_sub_u32_e32 v44, v30, v10
	ds_write_b8 v44, v37 offset:16384
	v_lshlrev_b32_e32 v44, 3, v44
	s_or_b64 s[40:41], s[40:41], exec
	s_waitcnt vmcnt(0)
	v_mul_f32_e64 v45, v33, -v39
	v_mul_f32_e32 v33, v38, v33
	v_fmac_f32_e32 v45, v38, v32
	v_fmac_f32_e32 v33, v39, v32
	ds_add_f32 v44, v45
	ds_add_f32 v44, v33 offset:4
.LBB138_37:                             ;   in Loop: Header=BB138_33 Depth=3
	s_or_b64 exec, exec, s[94:95]
	s_mov_b64 s[94:95], -1
	s_or_b64 s[92:93], s[92:93], exec
                                        ; implicit-def: $vgpr32_vgpr33
	s_and_saveexec_b64 s[96:97], s[40:41]
	s_cbranch_execz .LBB138_32
; %bb.38:                               ;   in Loop: Header=BB138_33 Depth=3
	v_lshl_add_u64 v[32:33], v[24:25], 0, 16
	v_cmp_ge_i64_e32 vcc, v[32:33], v[22:23]
	v_lshl_add_u64 v[26:27], v[26:27], 0, s[74:75]
	v_lshl_add_u64 v[28:29], v[28:29], 0, s[74:75]
	s_andn2_b64 s[92:93], s[92:93], exec
	s_orn2_b64 s[94:95], vcc, exec
	s_branch .LBB138_32
.LBB138_39:                             ;   in Loop: Header=BB138_25 Depth=2
	s_or_b64 exec, exec, s[90:91]
	s_and_saveexec_b64 s[40:41], s[88:89]
	s_xor_b64 s[40:41], exec, s[40:41]
; %bb.40:                               ;   in Loop: Header=BB138_25 Depth=2
	v_cmp_lt_i64_e32 vcc, v[30:31], v[14:15]
	v_mov_b64_e32 v[20:21], v[24:25]
	s_nop 0
	v_cndmask_b32_e32 v15, v15, v31, vcc
	v_cndmask_b32_e32 v14, v14, v30, vcc
; %bb.41:                               ;   in Loop: Header=BB138_25 Depth=2
	s_or_b64 exec, exec, s[40:41]
.LBB138_42:                             ;   in Loop: Header=BB138_25 Depth=2
	s_or_b64 exec, exec, s[86:87]
	v_mov_b32_dpp v22, v20 row_shr:1 row_mask:0xf bank_mask:0xf
	v_mov_b32_dpp v23, v21 row_shr:1 row_mask:0xf bank_mask:0xf
	v_cmp_lt_i64_e32 vcc, v[22:23], v[20:21]
	s_nop 1
	v_cndmask_b32_e32 v21, v21, v23, vcc
	v_cndmask_b32_e32 v20, v20, v22, vcc
	s_nop 0
	v_mov_b32_dpp v23, v21 row_shr:2 row_mask:0xf bank_mask:0xf
	v_mov_b32_dpp v22, v20 row_shr:2 row_mask:0xf bank_mask:0xf
	v_cmp_lt_i64_e32 vcc, v[22:23], v[20:21]
	s_nop 1
	v_cndmask_b32_e32 v21, v21, v23, vcc
	v_cndmask_b32_e32 v20, v20, v22, vcc
	s_nop 0
	;; [unrolled: 7-line block ×3, first 2 shown]
	v_mov_b32_dpp v24, v21 row_shr:8 row_mask:0xf bank_mask:0xc
	v_mov_b32_dpp v22, v20 row_shr:8 row_mask:0xf bank_mask:0xc
	s_and_saveexec_b64 s[40:41], s[2:3]
	s_cbranch_execz .LBB138_24
; %bb.43:                               ;   in Loop: Header=BB138_25 Depth=2
	v_mov_b32_e32 v23, v24
	v_cmp_lt_i64_e32 vcc, v[22:23], v[20:21]
	s_nop 1
	v_cndmask_b32_e32 v21, v21, v24, vcc
	v_cndmask_b32_e32 v20, v20, v22, vcc
	global_store_dwordx2 v[18:19], v[20:21], off
	s_branch .LBB138_24
.LBB138_44:                             ;   in Loop: Header=BB138_18 Depth=1
	s_or_b64 exec, exec, s[84:85]
.LBB138_45:                             ;   in Loop: Header=BB138_18 Depth=1
	s_or_b64 exec, exec, s[82:83]
	s_andn2_b64 vcc, exec, s[68:69]
	s_cbranch_vccnz .LBB138_59
; %bb.46:                               ;   in Loop: Header=BB138_18 Depth=1
	s_load_dwordx4 s[84:87], s[42:43], 0x0
	s_waitcnt lgkmcnt(0)
	s_sub_u32 s82, s86, s99
	s_subb_u32 s83, s87, 0
	v_lshl_add_u64 v[16:17], s[84:85], 0, v[6:7]
	v_cmp_gt_i64_e32 vcc, s[82:83], v[16:17]
	s_and_saveexec_b64 s[40:41], vcc
	s_cbranch_execz .LBB138_58
; %bb.47:                               ;   in Loop: Header=BB138_18 Depth=1
	v_readlane_b32 s38, v46, 0
	v_lshlrev_b64 v[20:21], 3, v[16:17]
	v_readlane_b32 s39, v46, 1
	s_mov_b64 s[84:85], 0
                                        ; implicit-def: $sgpr86_sgpr87
                                        ; implicit-def: $sgpr88_sgpr89
	s_nop 0
	v_lshl_add_u64 v[18:19], s[38:39], 0, v[20:21]
	v_lshl_add_u64 v[20:21], s[72:73], 0, v[20:21]
	s_branch .LBB138_49
.LBB138_48:                             ;   in Loop: Header=BB138_49 Depth=2
	s_or_b64 exec, exec, s[92:93]
	s_and_b64 s[38:39], exec, s[90:91]
	s_or_b64 s[84:85], s[38:39], s[84:85]
	s_andn2_b64 s[38:39], s[86:87], exec
	s_and_b64 s[86:87], s[88:89], exec
	s_or_b64 s[86:87], s[38:39], s[86:87]
	s_andn2_b64 exec, exec, s[84:85]
	s_cbranch_execz .LBB138_55
.LBB138_49:                             ;   Parent Loop BB138_18 Depth=1
                                        ; =>  This Inner Loop Header: Depth=2
	global_load_dwordx2 v[22:23], v[18:19], off
	s_waitcnt vmcnt(0)
	v_subrev_co_u32_e32 v22, vcc, s99, v22
	s_nop 1
	v_subbrev_co_u32_e32 v23, vcc, 0, v23, vcc
	v_cmp_lt_i64_e32 vcc, v[22:23], v[10:11]
	v_cmp_ge_i64_e64 s[38:39], v[22:23], v[12:13]
	s_or_b64 s[90:91], vcc, s[38:39]
	s_mov_b64 s[38:39], 0
	s_and_saveexec_b64 s[92:93], s[90:91]
	s_xor_b64 s[90:91], exec, s[92:93]
; %bb.50:                               ;   in Loop: Header=BB138_49 Depth=2
	v_cmp_lt_i64_e32 vcc, v[22:23], v[12:13]
	s_and_b64 s[38:39], vcc, exec
; %bb.51:                               ;   in Loop: Header=BB138_49 Depth=2
	s_andn2_saveexec_b64 s[90:91], s[90:91]
	s_cbranch_execz .LBB138_53
; %bb.52:                               ;   in Loop: Header=BB138_49 Depth=2
	global_load_dwordx2 v[24:25], v[20:21], off offset:-4
	v_sub_u32_e32 v26, v22, v10
	ds_write_b8 v26, v37 offset:16384
	v_lshlrev_b32_e32 v26, 3, v26
	s_or_b64 s[38:39], s[38:39], exec
	s_waitcnt vmcnt(0)
	v_mul_f32_e64 v27, v25, -s98
	v_mul_f32_e32 v25, s62, v25
	v_fmac_f32_e32 v27, s62, v24
	v_fmac_f32_e32 v25, s98, v24
	ds_add_f32 v26, v27
	ds_add_f32 v26, v25 offset:4
.LBB138_53:                             ;   in Loop: Header=BB138_49 Depth=2
	s_or_b64 exec, exec, s[90:91]
	s_mov_b64 s[90:91], -1
	s_or_b64 s[88:89], s[88:89], exec
	s_and_saveexec_b64 s[92:93], s[38:39]
	s_cbranch_execz .LBB138_48
; %bb.54:                               ;   in Loop: Header=BB138_49 Depth=2
	v_lshl_add_u64 v[16:17], v[16:17], 0, s[76:77]
	v_cmp_le_i64_e32 vcc, s[82:83], v[16:17]
	v_lshl_add_u64 v[18:19], v[18:19], 0, s[78:79]
	v_lshl_add_u64 v[20:21], v[20:21], 0, s[78:79]
	s_andn2_b64 s[88:89], s[88:89], exec
	s_orn2_b64 s[90:91], vcc, exec
	s_branch .LBB138_48
.LBB138_55:                             ;   in Loop: Header=BB138_18 Depth=1
	s_or_b64 exec, exec, s[84:85]
	s_and_saveexec_b64 s[38:39], s[86:87]
	s_xor_b64 s[38:39], exec, s[38:39]
; %bb.56:                               ;   in Loop: Header=BB138_18 Depth=1
	v_cmp_lt_i64_e32 vcc, v[22:23], v[14:15]
	s_nop 1
	v_cndmask_b32_e32 v15, v15, v23, vcc
	v_cndmask_b32_e32 v14, v14, v22, vcc
; %bb.57:                               ;   in Loop: Header=BB138_18 Depth=1
	s_or_b64 exec, exec, s[38:39]
.LBB138_58:                             ;   in Loop: Header=BB138_18 Depth=1
	s_or_b64 exec, exec, s[40:41]
.LBB138_59:                             ;   in Loop: Header=BB138_18 Depth=1
	v_mov_b32_dpp v10, v14 row_shr:1 row_mask:0xf bank_mask:0xf
	v_mov_b32_dpp v11, v15 row_shr:1 row_mask:0xf bank_mask:0xf
	v_cmp_lt_i64_e32 vcc, v[10:11], v[14:15]
	s_nop 1
	v_cndmask_b32_e32 v11, v15, v11, vcc
	v_cndmask_b32_e32 v10, v14, v10, vcc
	s_nop 0
	v_mov_b32_dpp v13, v11 row_shr:2 row_mask:0xf bank_mask:0xf
	v_mov_b32_dpp v12, v10 row_shr:2 row_mask:0xf bank_mask:0xf
	v_cmp_lt_i64_e32 vcc, v[12:13], v[10:11]
	s_nop 1
	v_cndmask_b32_e32 v11, v11, v13, vcc
	v_cndmask_b32_e32 v10, v10, v12, vcc
	s_nop 0
	;; [unrolled: 7-line block ×3, first 2 shown]
	v_mov_b32_dpp v14, v11 row_shr:8 row_mask:0xf bank_mask:0xc
	v_mov_b32_dpp v12, v10 row_shr:8 row_mask:0xf bank_mask:0xc
	s_and_saveexec_b64 s[38:39], s[2:3]
	s_cbranch_execz .LBB138_64
; %bb.60:                               ;   in Loop: Header=BB138_18 Depth=1
	v_mov_b32_e32 v13, v14
	v_cmp_lt_i64_e32 vcc, v[12:13], v[10:11]
	s_mov_b64 s[82:83], exec
	s_mov_b64 s[40:41], -1
	v_cndmask_b32_e32 v11, v11, v14, vcc
	v_cndmask_b32_e32 v10, v10, v12, vcc
.LBB138_61:                             ;   Parent Loop BB138_18 Depth=1
                                        ; =>  This Inner Loop Header: Depth=2
	s_ff1_i32_b64 s65, s[82:83]
	v_readlane_b32 s86, v11, s65
	v_readlane_b32 s87, v10, s65
	s_nop 0
	v_mov_b32_e32 v13, s86
	v_mov_b32_e32 v12, s87
	v_cmp_lt_u64_e32 vcc, s[40:41], v[12:13]
	s_and_b64 s[84:85], vcc, exec
	s_cselect_b32 s41, s41, s86
	s_cselect_b32 s40, s40, s87
	s_lshl_b64 s[84:85], 1, s65
	s_andn2_b64 s[82:83], s[82:83], s[84:85]
	s_cmp_lg_u64 s[82:83], 0
	s_cbranch_scc1 .LBB138_61
; %bb.62:                               ;   in Loop: Header=BB138_18 Depth=1
	v_mbcnt_lo_u32_b32 v10, exec_lo, 0
	v_mbcnt_hi_u32_b32 v10, exec_hi, v10
	v_cmp_eq_u32_e32 vcc, 0, v10
	s_and_saveexec_b64 s[82:83], vcc
	s_xor_b64 s[82:83], exec, s[82:83]
; %bb.63:                               ;   in Loop: Header=BB138_18 Depth=1
	v_mov_b64_e32 v[10:11], s[40:41]
	ds_min_u64 v3, v[10:11] offset:18432
.LBB138_64:                             ;   in Loop: Header=BB138_18 Depth=1
	s_or_b64 exec, exec, s[38:39]
	s_mov_b64 s[38:39], 0
	v_mov_b32_e32 v14, v36
	v_mov_b32_e32 v15, v35
	s_waitcnt lgkmcnt(0)
	s_barrier
	s_branch .LBB138_66
.LBB138_65:                             ;   in Loop: Header=BB138_66 Depth=2
	s_or_b64 exec, exec, s[40:41]
	s_waitcnt lgkmcnt(0)
	s_barrier
	ds_read_b32 v10, v3 offset:60
	v_add_u32_e32 v15, 0x200, v15
	v_cmp_lt_u32_e32 vcc, s64, v15
	s_or_b64 s[38:39], vcc, s[38:39]
	v_add_u32_e32 v14, 0x1000, v14
	s_waitcnt lgkmcnt(0)
	v_ashrrev_i32_e32 v11, 31, v10
	v_lshl_add_u64 v[0:1], v[0:1], 0, v[10:11]
	s_andn2_b64 exec, exec, s[38:39]
	s_cbranch_execz .LBB138_17
.LBB138_66:                             ;   Parent Loop BB138_18 Depth=1
                                        ; =>  This Inner Loop Header: Depth=2
	ds_read_u8 v13, v15 offset:16896
	ds_read_b64 v[10:11], v14
	s_waitcnt lgkmcnt(0)
	s_barrier
	v_cmp_ne_u16_e32 vcc, 0, v13
	s_bcnt1_i32_b64 s40, vcc
	v_and_b32_e32 v13, 1, v13
	v_and_b32_e32 v16, vcc_lo, v8
	v_bcnt_u32_b32 v20, v16, 0
	v_mov_b32_e32 v16, s40
	ds_write_b32 v34, v16
	s_waitcnt lgkmcnt(0)
	s_barrier
	ds_read_b128 v[16:19], v3
	v_and_b32_e32 v12, vcc_hi, v9
	v_bcnt_u32_b32 v12, v12, v20
	ds_read_b128 v[20:23], v3 offset:16
	ds_read_b128 v[24:27], v3 offset:32
	ds_read_b96 v[28:30], v3 offset:48
	v_cmp_eq_u32_e32 vcc, 1, v13
	s_waitcnt lgkmcnt(3)
	v_cndmask_b32_e64 v16, v16, 0, s[6:7]
	v_add_u32_e32 v12, v16, v12
	v_cndmask_b32_e64 v16, v17, 0, s[8:9]
	v_cndmask_b32_e64 v17, v18, 0, s[10:11]
	v_add3_u32 v12, v12, v16, v17
	v_cndmask_b32_e64 v16, v19, 0, s[12:13]
	s_waitcnt lgkmcnt(2)
	v_cndmask_b32_e64 v17, v20, 0, s[14:15]
	v_add3_u32 v12, v12, v16, v17
	v_cndmask_b32_e64 v16, v21, 0, s[16:17]
	v_cndmask_b32_e64 v17, v22, 0, s[18:19]
	v_add3_u32 v12, v12, v16, v17
	v_cndmask_b32_e64 v16, v23, 0, s[20:21]
	s_waitcnt lgkmcnt(1)
	v_cndmask_b32_e64 v17, v24, 0, s[22:23]
	v_add3_u32 v12, v12, v16, v17
	;; [unrolled: 7-line block ×3, first 2 shown]
	v_cndmask_b32_e64 v16, v29, 0, s[34:35]
	v_cndmask_b32_e64 v17, v30, 0, s[36:37]
	v_add3_u32 v12, v12, v16, v17
	s_and_saveexec_b64 s[40:41], vcc
	s_cbranch_execz .LBB138_68
; %bb.67:                               ;   in Loop: Header=BB138_66 Depth=2
	v_lshl_add_u64 v[16:17], v[0:1], 3, s[44:45]
	v_ashrrev_i32_e32 v13, 31, v12
	v_lshl_add_u64 v[16:17], v[12:13], 3, v[16:17]
	global_store_dwordx2 v[16:17], v[10:11], off offset:-8
.LBB138_68:                             ;   in Loop: Header=BB138_66 Depth=2
	s_or_b64 exec, exec, s[40:41]
	s_and_saveexec_b64 s[40:41], s[4:5]
	s_cbranch_execz .LBB138_65
; %bb.69:                               ;   in Loop: Header=BB138_66 Depth=2
	ds_write_b32 v3, v12 offset:60
	s_branch .LBB138_65
.LBB138_70:
	s_endpgm
	.section	.rodata,"a",@progbits
	.p2align	6, 0x0
	.amdhsa_kernel _ZN9rocsparseL51csrgemm_numeric_fill_block_per_row_multipass_kernelILj512ELj16ELj2048ELj32Ell21rocsparse_complex_numIfEEEvT4_PKS3_S5_NS_24const_host_device_scalarIT5_EEPKT3_S5_PKS7_SB_S5_SD_S8_SB_S5_SD_SB_S5_PS7_PS9_21rocsparse_index_base_SG_SG_SG_bbb
		.amdhsa_group_segment_fixed_size 18440
		.amdhsa_private_segment_fixed_size 0
		.amdhsa_kernarg_size 164
		.amdhsa_user_sgpr_count 2
		.amdhsa_user_sgpr_dispatch_ptr 0
		.amdhsa_user_sgpr_queue_ptr 0
		.amdhsa_user_sgpr_kernarg_segment_ptr 1
		.amdhsa_user_sgpr_dispatch_id 0
		.amdhsa_user_sgpr_kernarg_preload_length 0
		.amdhsa_user_sgpr_kernarg_preload_offset 0
		.amdhsa_user_sgpr_private_segment_size 0
		.amdhsa_uses_dynamic_stack 0
		.amdhsa_enable_private_segment 0
		.amdhsa_system_sgpr_workgroup_id_x 1
		.amdhsa_system_sgpr_workgroup_id_y 0
		.amdhsa_system_sgpr_workgroup_id_z 0
		.amdhsa_system_sgpr_workgroup_info 0
		.amdhsa_system_vgpr_workitem_id 0
		.amdhsa_next_free_vgpr 47
		.amdhsa_next_free_sgpr 100
		.amdhsa_accum_offset 48
		.amdhsa_reserve_vcc 1
		.amdhsa_float_round_mode_32 0
		.amdhsa_float_round_mode_16_64 0
		.amdhsa_float_denorm_mode_32 3
		.amdhsa_float_denorm_mode_16_64 3
		.amdhsa_dx10_clamp 1
		.amdhsa_ieee_mode 1
		.amdhsa_fp16_overflow 0
		.amdhsa_tg_split 0
		.amdhsa_exception_fp_ieee_invalid_op 0
		.amdhsa_exception_fp_denorm_src 0
		.amdhsa_exception_fp_ieee_div_zero 0
		.amdhsa_exception_fp_ieee_overflow 0
		.amdhsa_exception_fp_ieee_underflow 0
		.amdhsa_exception_fp_ieee_inexact 0
		.amdhsa_exception_int_div_zero 0
	.end_amdhsa_kernel
	.section	.text._ZN9rocsparseL51csrgemm_numeric_fill_block_per_row_multipass_kernelILj512ELj16ELj2048ELj32Ell21rocsparse_complex_numIfEEEvT4_PKS3_S5_NS_24const_host_device_scalarIT5_EEPKT3_S5_PKS7_SB_S5_SD_S8_SB_S5_SD_SB_S5_PS7_PS9_21rocsparse_index_base_SG_SG_SG_bbb,"axG",@progbits,_ZN9rocsparseL51csrgemm_numeric_fill_block_per_row_multipass_kernelILj512ELj16ELj2048ELj32Ell21rocsparse_complex_numIfEEEvT4_PKS3_S5_NS_24const_host_device_scalarIT5_EEPKT3_S5_PKS7_SB_S5_SD_S8_SB_S5_SD_SB_S5_PS7_PS9_21rocsparse_index_base_SG_SG_SG_bbb,comdat
.Lfunc_end138:
	.size	_ZN9rocsparseL51csrgemm_numeric_fill_block_per_row_multipass_kernelILj512ELj16ELj2048ELj32Ell21rocsparse_complex_numIfEEEvT4_PKS3_S5_NS_24const_host_device_scalarIT5_EEPKT3_S5_PKS7_SB_S5_SD_S8_SB_S5_SD_SB_S5_PS7_PS9_21rocsparse_index_base_SG_SG_SG_bbb, .Lfunc_end138-_ZN9rocsparseL51csrgemm_numeric_fill_block_per_row_multipass_kernelILj512ELj16ELj2048ELj32Ell21rocsparse_complex_numIfEEEvT4_PKS3_S5_NS_24const_host_device_scalarIT5_EEPKT3_S5_PKS7_SB_S5_SD_S8_SB_S5_SD_SB_S5_PS7_PS9_21rocsparse_index_base_SG_SG_SG_bbb
                                        ; -- End function
	.set _ZN9rocsparseL51csrgemm_numeric_fill_block_per_row_multipass_kernelILj512ELj16ELj2048ELj32Ell21rocsparse_complex_numIfEEEvT4_PKS3_S5_NS_24const_host_device_scalarIT5_EEPKT3_S5_PKS7_SB_S5_SD_S8_SB_S5_SD_SB_S5_PS7_PS9_21rocsparse_index_base_SG_SG_SG_bbb.num_vgpr, 47
	.set _ZN9rocsparseL51csrgemm_numeric_fill_block_per_row_multipass_kernelILj512ELj16ELj2048ELj32Ell21rocsparse_complex_numIfEEEvT4_PKS3_S5_NS_24const_host_device_scalarIT5_EEPKT3_S5_PKS7_SB_S5_SD_S8_SB_S5_SD_SB_S5_PS7_PS9_21rocsparse_index_base_SG_SG_SG_bbb.num_agpr, 0
	.set _ZN9rocsparseL51csrgemm_numeric_fill_block_per_row_multipass_kernelILj512ELj16ELj2048ELj32Ell21rocsparse_complex_numIfEEEvT4_PKS3_S5_NS_24const_host_device_scalarIT5_EEPKT3_S5_PKS7_SB_S5_SD_S8_SB_S5_SD_SB_S5_PS7_PS9_21rocsparse_index_base_SG_SG_SG_bbb.numbered_sgpr, 100
	.set _ZN9rocsparseL51csrgemm_numeric_fill_block_per_row_multipass_kernelILj512ELj16ELj2048ELj32Ell21rocsparse_complex_numIfEEEvT4_PKS3_S5_NS_24const_host_device_scalarIT5_EEPKT3_S5_PKS7_SB_S5_SD_S8_SB_S5_SD_SB_S5_PS7_PS9_21rocsparse_index_base_SG_SG_SG_bbb.num_named_barrier, 0
	.set _ZN9rocsparseL51csrgemm_numeric_fill_block_per_row_multipass_kernelILj512ELj16ELj2048ELj32Ell21rocsparse_complex_numIfEEEvT4_PKS3_S5_NS_24const_host_device_scalarIT5_EEPKT3_S5_PKS7_SB_S5_SD_S8_SB_S5_SD_SB_S5_PS7_PS9_21rocsparse_index_base_SG_SG_SG_bbb.private_seg_size, 0
	.set _ZN9rocsparseL51csrgemm_numeric_fill_block_per_row_multipass_kernelILj512ELj16ELj2048ELj32Ell21rocsparse_complex_numIfEEEvT4_PKS3_S5_NS_24const_host_device_scalarIT5_EEPKT3_S5_PKS7_SB_S5_SD_S8_SB_S5_SD_SB_S5_PS7_PS9_21rocsparse_index_base_SG_SG_SG_bbb.uses_vcc, 1
	.set _ZN9rocsparseL51csrgemm_numeric_fill_block_per_row_multipass_kernelILj512ELj16ELj2048ELj32Ell21rocsparse_complex_numIfEEEvT4_PKS3_S5_NS_24const_host_device_scalarIT5_EEPKT3_S5_PKS7_SB_S5_SD_S8_SB_S5_SD_SB_S5_PS7_PS9_21rocsparse_index_base_SG_SG_SG_bbb.uses_flat_scratch, 0
	.set _ZN9rocsparseL51csrgemm_numeric_fill_block_per_row_multipass_kernelILj512ELj16ELj2048ELj32Ell21rocsparse_complex_numIfEEEvT4_PKS3_S5_NS_24const_host_device_scalarIT5_EEPKT3_S5_PKS7_SB_S5_SD_S8_SB_S5_SD_SB_S5_PS7_PS9_21rocsparse_index_base_SG_SG_SG_bbb.has_dyn_sized_stack, 0
	.set _ZN9rocsparseL51csrgemm_numeric_fill_block_per_row_multipass_kernelILj512ELj16ELj2048ELj32Ell21rocsparse_complex_numIfEEEvT4_PKS3_S5_NS_24const_host_device_scalarIT5_EEPKT3_S5_PKS7_SB_S5_SD_S8_SB_S5_SD_SB_S5_PS7_PS9_21rocsparse_index_base_SG_SG_SG_bbb.has_recursion, 0
	.set _ZN9rocsparseL51csrgemm_numeric_fill_block_per_row_multipass_kernelILj512ELj16ELj2048ELj32Ell21rocsparse_complex_numIfEEEvT4_PKS3_S5_NS_24const_host_device_scalarIT5_EEPKT3_S5_PKS7_SB_S5_SD_S8_SB_S5_SD_SB_S5_PS7_PS9_21rocsparse_index_base_SG_SG_SG_bbb.has_indirect_call, 0
	.section	.AMDGPU.csdata,"",@progbits
; Kernel info:
; codeLenInByte = 2928
; TotalNumSgprs: 106
; NumVgprs: 47
; NumAgprs: 0
; TotalNumVgprs: 47
; ScratchSize: 0
; MemoryBound: 0
; FloatMode: 240
; IeeeMode: 1
; LDSByteSize: 18440 bytes/workgroup (compile time only)
; SGPRBlocks: 13
; VGPRBlocks: 5
; NumSGPRsForWavesPerEU: 106
; NumVGPRsForWavesPerEU: 47
; AccumOffset: 48
; Occupancy: 7
; WaveLimiterHint : 1
; COMPUTE_PGM_RSRC2:SCRATCH_EN: 0
; COMPUTE_PGM_RSRC2:USER_SGPR: 2
; COMPUTE_PGM_RSRC2:TRAP_HANDLER: 0
; COMPUTE_PGM_RSRC2:TGID_X_EN: 1
; COMPUTE_PGM_RSRC2:TGID_Y_EN: 0
; COMPUTE_PGM_RSRC2:TGID_Z_EN: 0
; COMPUTE_PGM_RSRC2:TIDIG_COMP_CNT: 0
; COMPUTE_PGM_RSRC3_GFX90A:ACCUM_OFFSET: 11
; COMPUTE_PGM_RSRC3_GFX90A:TG_SPLIT: 0
	.section	.text._ZN9rocsparseL51csrgemm_numeric_fill_block_per_row_multipass_kernelILj512ELj16ELj2048ELj64Ell21rocsparse_complex_numIfEEEvT4_PKS3_S5_NS_24const_host_device_scalarIT5_EEPKT3_S5_PKS7_SB_S5_SD_S8_SB_S5_SD_SB_S5_PS7_PS9_21rocsparse_index_base_SG_SG_SG_bbb,"axG",@progbits,_ZN9rocsparseL51csrgemm_numeric_fill_block_per_row_multipass_kernelILj512ELj16ELj2048ELj64Ell21rocsparse_complex_numIfEEEvT4_PKS3_S5_NS_24const_host_device_scalarIT5_EEPKT3_S5_PKS7_SB_S5_SD_S8_SB_S5_SD_SB_S5_PS7_PS9_21rocsparse_index_base_SG_SG_SG_bbb,comdat
	.globl	_ZN9rocsparseL51csrgemm_numeric_fill_block_per_row_multipass_kernelILj512ELj16ELj2048ELj64Ell21rocsparse_complex_numIfEEEvT4_PKS3_S5_NS_24const_host_device_scalarIT5_EEPKT3_S5_PKS7_SB_S5_SD_S8_SB_S5_SD_SB_S5_PS7_PS9_21rocsparse_index_base_SG_SG_SG_bbb ; -- Begin function _ZN9rocsparseL51csrgemm_numeric_fill_block_per_row_multipass_kernelILj512ELj16ELj2048ELj64Ell21rocsparse_complex_numIfEEEvT4_PKS3_S5_NS_24const_host_device_scalarIT5_EEPKT3_S5_PKS7_SB_S5_SD_S8_SB_S5_SD_SB_S5_PS7_PS9_21rocsparse_index_base_SG_SG_SG_bbb
	.p2align	8
	.type	_ZN9rocsparseL51csrgemm_numeric_fill_block_per_row_multipass_kernelILj512ELj16ELj2048ELj64Ell21rocsparse_complex_numIfEEEvT4_PKS3_S5_NS_24const_host_device_scalarIT5_EEPKT3_S5_PKS7_SB_S5_SD_S8_SB_S5_SD_SB_S5_PS7_PS9_21rocsparse_index_base_SG_SG_SG_bbb,@function
_ZN9rocsparseL51csrgemm_numeric_fill_block_per_row_multipass_kernelILj512ELj16ELj2048ELj64Ell21rocsparse_complex_numIfEEEvT4_PKS3_S5_NS_24const_host_device_scalarIT5_EEPKT3_S5_PKS7_SB_S5_SD_S8_SB_S5_SD_SB_S5_PS7_PS9_21rocsparse_index_base_SG_SG_SG_bbb: ; @_ZN9rocsparseL51csrgemm_numeric_fill_block_per_row_multipass_kernelILj512ELj16ELj2048ELj64Ell21rocsparse_complex_numIfEEEvT4_PKS3_S5_NS_24const_host_device_scalarIT5_EEPKT3_S5_PKS7_SB_S5_SD_S8_SB_S5_SD_SB_S5_PS7_PS9_21rocsparse_index_base_SG_SG_SG_bbb
; %bb.0:
	s_load_dwordx8 s[24:31], s[0:1], 0x80
	s_load_dwordx4 s[20:23], s[0:1], 0x68
	s_load_dwordx2 s[12:13], s[0:1], 0x58
	s_load_dword s3, s[0:1], 0xa0
	s_load_dwordx4 s[8:11], s[0:1], 0x8
	s_load_dwordx2 s[14:15], s[0:1], 0x20
	s_load_dwordx4 s[40:43], s[0:1], 0x48
	s_load_dwordx2 s[34:35], s[0:1], 0x38
	s_waitcnt lgkmcnt(0)
	s_bitcmp1_b32 s3, 0
	s_cselect_b64 s[6:7], -1, 0
	s_bitcmp1_b32 s3, 16
	s_cselect_b64 s[4:5], -1, 0
	s_xor_b64 s[16:17], s[4:5], -1
	s_mov_b32 s45, 0
	s_bitcmp0_b32 s3, 0
	s_mov_b32 s33, 0
	s_cbranch_scc1 .LBB139_5
; %bb.1:
	s_load_dwordx2 s[44:45], s[0:1], 0x18
	v_cndmask_b32_e64 v1, 0, 1, s[16:17]
	v_cmp_ne_u32_e64 s[4:5], 1, v1
	s_andn2_b64 vcc, exec, s[16:17]
	s_waitcnt lgkmcnt(0)
	s_mov_b32 s33, s44
	s_cbranch_vccnz .LBB139_3
; %bb.2:
	s_load_dword s33, s[44:45], 0x0
.LBB139_3:
	s_and_b64 vcc, exec, s[4:5]
	s_cbranch_vccnz .LBB139_5
; %bb.4:
	s_load_dword s45, s[44:45], 0x4
.LBB139_5:
	s_nop 0
	s_load_dwordx2 s[46:47], s[0:1], 0x60
	s_load_dwordx4 s[36:39], s[0:1], 0x28
	s_load_dwordx2 s[48:49], s[0:1], 0x40
	s_bitcmp1_b32 s3, 8
	s_cselect_b64 s[50:51], -1, 0
	s_bfe_u32 s3, s3, 0x10008
	s_mov_b32 s44, 0
	s_cmp_eq_u32 s3, 0
	s_mov_b32 s82, 0
	s_cbranch_scc1 .LBB139_11
; %bb.6:
	v_cndmask_b32_e64 v1, 0, 1, s[16:17]
	v_cmp_ne_u32_e64 s[4:5], 1, v1
	s_andn2_b64 vcc, exec, s[16:17]
	s_mov_b32 s44, s42
	s_cbranch_vccnz .LBB139_8
; %bb.7:
	s_load_dword s44, s[42:43], 0x0
.LBB139_8:
	s_and_b64 vcc, exec, s[4:5]
	s_cbranch_vccnz .LBB139_10
; %bb.9:
	s_load_dword s43, s[42:43], 0x4
.LBB139_10:
	s_waitcnt lgkmcnt(0)
	s_mov_b32 s82, s43
.LBB139_11:
	s_load_dwordx2 s[4:5], s[8:9], 0x0
	s_mov_b32 s3, 0
	v_cndmask_b32_e64 v1, 0, 1, s[6:7]
	s_mov_b64 s[42:43], 0
	s_waitcnt lgkmcnt(0)
	s_lshl_b64 s[4:5], s[4:5], 3
	s_add_u32 s4, s10, s4
	s_addc_u32 s5, s11, s5
	s_lshl_b64 s[2:3], s[2:3], 3
	s_add_u32 s2, s4, s2
	s_addc_u32 s3, s5, s3
	s_load_dwordx2 s[8:9], s[2:3], 0x0
	v_cmp_ne_u32_e64 s[2:3], 1, v1
	s_andn2_b64 vcc, exec, s[6:7]
	s_mov_b64 s[4:5], 0
	s_cbranch_vccz .LBB139_14
; %bb.12:
	s_and_b64 vcc, exec, s[2:3]
	s_cbranch_vccz .LBB139_15
.LBB139_13:
	s_load_dwordx2 s[52:53], s[0:1], 0x0
	s_waitcnt lgkmcnt(0)
	v_cmp_lt_i64_e64 s[0:1], s[52:53], 1
	s_and_b64 vcc, exec, s[0:1]
	s_cbranch_vccz .LBB139_16
	s_branch .LBB139_70
.LBB139_14:
	s_waitcnt lgkmcnt(0)
	s_lshl_b64 s[4:5], s[8:9], 3
	s_add_u32 s4, s14, s4
	s_addc_u32 s5, s15, s5
	s_load_dwordx2 s[4:5], s[4:5], 0x0
	s_waitcnt lgkmcnt(0)
	s_sub_u32 s4, s4, s28
	s_subb_u32 s5, s5, 0
	s_and_b64 vcc, exec, s[2:3]
	s_cbranch_vccnz .LBB139_13
.LBB139_15:
	s_waitcnt lgkmcnt(0)
	s_lshl_b64 s[2:3], s[8:9], 3
	s_add_u32 s2, s14, s2
	s_addc_u32 s3, s15, s3
	s_load_dwordx2 s[2:3], s[2:3], 0x8
	s_waitcnt lgkmcnt(0)
	s_sub_u32 s42, s2, s28
	s_subb_u32 s43, s3, 0
	s_load_dwordx2 s[52:53], s[0:1], 0x0
	s_waitcnt lgkmcnt(0)
	v_cmp_lt_i64_e64 s[0:1], s[52:53], 1
	s_and_b64 vcc, exec, s[0:1]
	s_cbranch_vccnz .LBB139_70
.LBB139_16:
	s_lshl_b64 s[8:9], s[8:9], 3
	s_add_u32 s0, s22, s8
	s_addc_u32 s1, s23, s9
	s_load_dwordx2 s[2:3], s[0:1], 0x0
	v_mov_b32_e32 v3, 0
	v_lshrrev_b32_e32 v10, 4, v0
	v_mov_b32_e32 v11, v3
	v_lshl_add_u64 v[4:5], s[4:5], 0, v[10:11]
	s_waitcnt lgkmcnt(0)
	s_sub_u32 s22, s2, s30
	s_subb_u32 s23, s3, 0
	v_cmp_gt_i64_e32 vcc, s[42:43], v[4:5]
	s_add_u32 s54, s12, s8
	s_addc_u32 s55, s13, s9
	s_mov_b32 s83, s31
	v_subrev_co_u32_e64 v6, s[4:5], s31, v0
	s_and_b64 s[30:31], s[6:7], vcc
	v_mbcnt_lo_u32_b32 v1, -1, 0
	s_add_u32 s40, s40, 4
	v_subb_co_u32_e64 v7, s[4:5], 0, 0, s[4:5]
	v_mbcnt_hi_u32_b32 v1, -1, v1
	s_addc_u32 s41, s41, 0
	v_and_b32_e32 v2, 15, v0
	v_sub_u32_e32 v1, 63, v1
	s_movk_i32 s4, 0x1ff
	s_movk_i32 s8, 0x80
	;; [unrolled: 1-line block ×7, first 2 shown]
	s_add_u32 s56, s20, 4
	v_cmp_eq_u32_e64 s[0:1], 0, v0
	v_cmp_eq_u32_e64 s[2:3], 15, v2
	v_lshrrev_b64 v[8:9], v1, -1
	v_and_b32_e32 v34, 28, v10
	v_cmp_eq_u32_e64 s[4:5], s4, v0
	v_cmp_gt_u32_e64 s[6:7], 64, v0
	v_cmp_gt_u32_e64 s[8:9], s8, v0
	v_cmp_gt_u32_e64 s[10:11], s10, v0
	v_cmp_gt_u32_e64 s[12:13], s12, v0
	v_cmp_gt_u32_e64 s[14:15], s14, v0
	v_cmp_gt_u32_e64 s[16:17], s16, v0
	v_cmp_gt_u32_e64 s[18:19], s18, v0
	v_or_b32_e32 v35, 0xfffffe00, v0
	v_lshlrev_b32_e32 v36, 3, v0
	s_addc_u32 s57, s21, 0
	v_mov_b64_e32 v[10:11], 0
	v_mov_b64_e32 v[12:13], 0x800
	;; [unrolled: 1-line block ×3, first 2 shown]
	v_mov_b32_e32 v40, v3
	v_mov_b32_e32 v41, v3
	s_movk_i32 s84, 0x5ff
	v_mov_b64_e32 v[42:43], s[52:53]
	v_mov_b32_e32 v37, 1
	s_mov_b64 s[58:59], 0x80
	s_mov_b64 s[60:61], 0x200
	;; [unrolled: 1-line block ×4, first 2 shown]
	s_branch .LBB139_18
.LBB139_17:                             ;   in Loop: Header=BB139_18 Depth=1
	s_or_b64 exec, exec, s[20:21]
	ds_read_b64 v[10:11], v3 offset:18432
	s_waitcnt lgkmcnt(0)
	s_barrier
	v_cmp_le_i64_e32 vcc, s[52:53], v[10:11]
	v_lshl_add_u64 v[12:13], v[10:11], 0, s[64:65]
	s_cbranch_vccnz .LBB139_70
.LBB139_18:                             ; =>This Loop Header: Depth=1
                                        ;     Child Loop BB139_19 Depth 2
                                        ;     Child Loop BB139_25 Depth 2
                                        ;       Child Loop BB139_33 Depth 3
                                        ;     Child Loop BB139_49 Depth 2
                                        ;     Child Loop BB139_61 Depth 2
	;; [unrolled: 1-line block ×3, first 2 shown]
	s_mov_b64 s[20:21], 0
	v_mov_b32_e32 v14, v36
	v_mov_b32_e32 v15, v35
.LBB139_19:                             ;   Parent Loop BB139_18 Depth=1
                                        ; =>  This Inner Loop Header: Depth=2
	ds_write_b8 v15, v3 offset:16896
	ds_write_b64 v14, v[40:41]
	v_add_u32_e32 v15, 0x200, v15
	v_cmp_lt_u32_e32 vcc, s84, v15
	s_or_b64 s[20:21], vcc, s[20:21]
	v_add_u32_e32 v14, 0x1000, v14
	s_andn2_b64 exec, exec, s[20:21]
	s_cbranch_execnz .LBB139_19
; %bb.20:                               ;   in Loop: Header=BB139_18 Depth=1
	s_or_b64 exec, exec, s[20:21]
	s_and_saveexec_b64 s[20:21], s[0:1]
; %bb.21:                               ;   in Loop: Header=BB139_18 Depth=1
	ds_write_b64 v3, v[42:43] offset:18432
; %bb.22:                               ;   in Loop: Header=BB139_18 Depth=1
	s_or_b64 exec, exec, s[20:21]
	v_mov_b64_e32 v[14:15], s[52:53]
	s_waitcnt lgkmcnt(0)
	s_barrier
	s_and_saveexec_b64 s[66:67], s[30:31]
	s_cbranch_execz .LBB139_45
; %bb.23:                               ;   in Loop: Header=BB139_18 Depth=1
	s_mov_b64 s[68:69], 0
	v_cmp_ne_u64_e64 s[20:21], 0, v[10:11]
	v_mov_b64_e32 v[14:15], s[52:53]
	v_mov_b64_e32 v[16:17], v[4:5]
	s_branch .LBB139_25
.LBB139_24:                             ;   in Loop: Header=BB139_25 Depth=2
	s_or_b64 exec, exec, s[22:23]
	v_lshl_add_u64 v[16:17], v[16:17], 0, 32
	v_cmp_le_i64_e32 vcc, s[42:43], v[16:17]
	s_or_b64 s[68:69], vcc, s[68:69]
	s_andn2_b64 exec, exec, s[68:69]
	s_cbranch_execz .LBB139_44
.LBB139_25:                             ;   Parent Loop BB139_18 Depth=1
                                        ; =>  This Loop Header: Depth=2
                                        ;       Child Loop BB139_33 Depth 3
	v_lshlrev_b64 v[18:19], 3, v[16:17]
	v_lshl_add_u64 v[20:21], s[36:37], 0, v[18:19]
	v_lshl_add_u64 v[18:19], s[38:39], 0, v[18:19]
	global_load_dwordx2 v[22:23], v[20:21], off
	global_load_dwordx2 v[24:25], v[18:19], off
	s_and_b64 vcc, exec, s[20:21]
	v_lshl_add_u64 v[18:19], v[16:17], 3, s[26:27]
	s_cbranch_vccz .LBB139_27
; %bb.26:                               ;   in Loop: Header=BB139_25 Depth=2
	global_load_dwordx2 v[20:21], v[18:19], off
	s_mov_b64 s[22:23], 0
	s_branch .LBB139_28
.LBB139_27:                             ;   in Loop: Header=BB139_25 Depth=2
	s_mov_b64 s[22:23], -1
                                        ; implicit-def: $vgpr20_vgpr21
.LBB139_28:                             ;   in Loop: Header=BB139_25 Depth=2
	s_waitcnt vmcnt(1)
	v_subrev_co_u32_e32 v22, vcc, s28, v22
	s_nop 1
	v_subbrev_co_u32_e32 v23, vcc, 0, v23, vcc
	s_andn2_b64 vcc, exec, s[22:23]
	v_lshl_add_u64 v[22:23], v[22:23], 3, s[34:35]
	s_cbranch_vccnz .LBB139_30
; %bb.29:                               ;   in Loop: Header=BB139_25 Depth=2
	global_load_dwordx2 v[20:21], v[22:23], off
	s_waitcnt vmcnt(0)
	v_subrev_co_u32_e32 v20, vcc, s29, v20
	s_nop 1
	v_subbrev_co_u32_e32 v21, vcc, 0, v21, vcc
.LBB139_30:                             ;   in Loop: Header=BB139_25 Depth=2
	global_load_dwordx2 v[22:23], v[22:23], off offset:8
	s_waitcnt vmcnt(1)
	v_lshl_add_u64 v[20:21], v[20:21], 0, v[2:3]
	s_waitcnt vmcnt(0)
	v_subrev_co_u32_e32 v22, vcc, s29, v22
	s_nop 1
	v_subbrev_co_u32_e32 v23, vcc, 0, v23, vcc
	v_cmp_lt_i64_e32 vcc, v[20:21], v[22:23]
	s_and_saveexec_b64 s[70:71], vcc
	s_cbranch_execz .LBB139_42
; %bb.31:                               ;   in Loop: Header=BB139_25 Depth=2
	v_mul_f32_e64 v38, v25, -s45
	v_mul_f32_e32 v39, s33, v25
	v_fmac_f32_e32 v38, s33, v24
	v_fmac_f32_e32 v39, s45, v24
	v_lshlrev_b64 v[24:25], 3, v[20:21]
	v_lshl_add_u64 v[26:27], s[48:49], 0, v[24:25]
	v_lshl_add_u64 v[28:29], s[40:41], 0, v[24:25]
	s_mov_b64 s[74:75], 0
	v_mov_b64_e32 v[32:33], v[20:21]
                                        ; implicit-def: $sgpr72_sgpr73
                                        ; implicit-def: $sgpr76_sgpr77
	s_branch .LBB139_33
.LBB139_32:                             ;   in Loop: Header=BB139_33 Depth=3
	s_or_b64 exec, exec, s[80:81]
	s_and_b64 s[22:23], exec, s[78:79]
	s_or_b64 s[74:75], s[22:23], s[74:75]
	s_andn2_b64 s[22:23], s[72:73], exec
	s_and_b64 s[72:73], s[76:77], exec
	s_or_b64 s[72:73], s[22:23], s[72:73]
	s_andn2_b64 exec, exec, s[74:75]
	s_cbranch_execz .LBB139_39
.LBB139_33:                             ;   Parent Loop BB139_18 Depth=1
                                        ;     Parent Loop BB139_25 Depth=2
                                        ; =>    This Inner Loop Header: Depth=3
	global_load_dwordx2 v[30:31], v[26:27], off
	v_mov_b64_e32 v[24:25], v[32:33]
	s_waitcnt vmcnt(0)
	v_subrev_co_u32_e32 v30, vcc, s29, v30
	s_nop 1
	v_subbrev_co_u32_e32 v31, vcc, 0, v31, vcc
	v_cmp_lt_i64_e32 vcc, v[30:31], v[10:11]
	v_cmp_ge_i64_e64 s[22:23], v[30:31], v[12:13]
	s_or_b64 s[78:79], vcc, s[22:23]
	s_mov_b64 s[22:23], 0
	s_and_saveexec_b64 s[80:81], s[78:79]
	s_xor_b64 s[78:79], exec, s[80:81]
; %bb.34:                               ;   in Loop: Header=BB139_33 Depth=3
	v_cmp_lt_i64_e32 vcc, v[30:31], v[12:13]
	s_and_b64 s[22:23], vcc, exec
; %bb.35:                               ;   in Loop: Header=BB139_33 Depth=3
	s_andn2_saveexec_b64 s[78:79], s[78:79]
	s_cbranch_execz .LBB139_37
; %bb.36:                               ;   in Loop: Header=BB139_33 Depth=3
	global_load_dwordx2 v[32:33], v[28:29], off offset:-4
	v_sub_u32_e32 v44, v30, v10
	ds_write_b8 v44, v37 offset:16384
	v_lshlrev_b32_e32 v44, 3, v44
	s_or_b64 s[22:23], s[22:23], exec
	s_waitcnt vmcnt(0)
	v_mul_f32_e64 v45, v33, -v39
	v_mul_f32_e32 v33, v38, v33
	v_fmac_f32_e32 v45, v38, v32
	v_fmac_f32_e32 v33, v39, v32
	ds_add_f32 v44, v45
	ds_add_f32 v44, v33 offset:4
.LBB139_37:                             ;   in Loop: Header=BB139_33 Depth=3
	s_or_b64 exec, exec, s[78:79]
	s_mov_b64 s[78:79], -1
	s_or_b64 s[76:77], s[76:77], exec
                                        ; implicit-def: $vgpr32_vgpr33
	s_and_saveexec_b64 s[80:81], s[22:23]
	s_cbranch_execz .LBB139_32
; %bb.38:                               ;   in Loop: Header=BB139_33 Depth=3
	v_lshl_add_u64 v[32:33], v[24:25], 0, 16
	v_cmp_ge_i64_e32 vcc, v[32:33], v[22:23]
	v_lshl_add_u64 v[26:27], v[26:27], 0, s[58:59]
	v_lshl_add_u64 v[28:29], v[28:29], 0, s[58:59]
	s_andn2_b64 s[76:77], s[76:77], exec
	s_orn2_b64 s[78:79], vcc, exec
	s_branch .LBB139_32
.LBB139_39:                             ;   in Loop: Header=BB139_25 Depth=2
	s_or_b64 exec, exec, s[74:75]
	s_and_saveexec_b64 s[22:23], s[72:73]
	s_xor_b64 s[22:23], exec, s[22:23]
; %bb.40:                               ;   in Loop: Header=BB139_25 Depth=2
	v_cmp_lt_i64_e32 vcc, v[30:31], v[14:15]
	v_mov_b64_e32 v[20:21], v[24:25]
	s_nop 0
	v_cndmask_b32_e32 v15, v15, v31, vcc
	v_cndmask_b32_e32 v14, v14, v30, vcc
; %bb.41:                               ;   in Loop: Header=BB139_25 Depth=2
	s_or_b64 exec, exec, s[22:23]
.LBB139_42:                             ;   in Loop: Header=BB139_25 Depth=2
	s_or_b64 exec, exec, s[70:71]
	v_mov_b32_dpp v22, v20 row_shr:1 row_mask:0xf bank_mask:0xf
	v_mov_b32_dpp v23, v21 row_shr:1 row_mask:0xf bank_mask:0xf
	v_cmp_lt_i64_e32 vcc, v[22:23], v[20:21]
	s_nop 1
	v_cndmask_b32_e32 v21, v21, v23, vcc
	v_cndmask_b32_e32 v20, v20, v22, vcc
	s_nop 0
	v_mov_b32_dpp v23, v21 row_shr:2 row_mask:0xf bank_mask:0xf
	v_mov_b32_dpp v22, v20 row_shr:2 row_mask:0xf bank_mask:0xf
	v_cmp_lt_i64_e32 vcc, v[22:23], v[20:21]
	s_nop 1
	v_cndmask_b32_e32 v21, v21, v23, vcc
	v_cndmask_b32_e32 v20, v20, v22, vcc
	s_nop 0
	;; [unrolled: 7-line block ×3, first 2 shown]
	v_mov_b32_dpp v24, v21 row_shr:8 row_mask:0xf bank_mask:0xc
	v_mov_b32_dpp v22, v20 row_shr:8 row_mask:0xf bank_mask:0xc
	s_and_saveexec_b64 s[22:23], s[2:3]
	s_cbranch_execz .LBB139_24
; %bb.43:                               ;   in Loop: Header=BB139_25 Depth=2
	v_mov_b32_e32 v23, v24
	v_cmp_lt_i64_e32 vcc, v[22:23], v[20:21]
	s_nop 1
	v_cndmask_b32_e32 v21, v21, v24, vcc
	v_cndmask_b32_e32 v20, v20, v22, vcc
	global_store_dwordx2 v[18:19], v[20:21], off
	s_branch .LBB139_24
.LBB139_44:                             ;   in Loop: Header=BB139_18 Depth=1
	s_or_b64 exec, exec, s[68:69]
.LBB139_45:                             ;   in Loop: Header=BB139_18 Depth=1
	s_or_b64 exec, exec, s[66:67]
	s_andn2_b64 vcc, exec, s[50:51]
	s_cbranch_vccnz .LBB139_59
; %bb.46:                               ;   in Loop: Header=BB139_18 Depth=1
	s_load_dwordx4 s[20:23], s[54:55], 0x0
	s_waitcnt lgkmcnt(0)
	s_sub_u32 s66, s22, s83
	s_subb_u32 s67, s23, 0
	v_lshl_add_u64 v[16:17], s[20:21], 0, v[6:7]
	v_cmp_gt_i64_e32 vcc, s[66:67], v[16:17]
	s_and_saveexec_b64 s[22:23], vcc
	s_cbranch_execz .LBB139_58
; %bb.47:                               ;   in Loop: Header=BB139_18 Depth=1
	v_lshlrev_b64 v[20:21], 3, v[16:17]
	v_lshl_add_u64 v[18:19], s[46:47], 0, v[20:21]
	v_lshl_add_u64 v[20:21], s[56:57], 0, v[20:21]
	s_mov_b64 s[68:69], 0
                                        ; implicit-def: $sgpr70_sgpr71
                                        ; implicit-def: $sgpr72_sgpr73
	s_branch .LBB139_49
.LBB139_48:                             ;   in Loop: Header=BB139_49 Depth=2
	s_or_b64 exec, exec, s[76:77]
	s_and_b64 s[20:21], exec, s[74:75]
	s_or_b64 s[68:69], s[20:21], s[68:69]
	s_andn2_b64 s[20:21], s[70:71], exec
	s_and_b64 s[70:71], s[72:73], exec
	s_or_b64 s[70:71], s[20:21], s[70:71]
	s_andn2_b64 exec, exec, s[68:69]
	s_cbranch_execz .LBB139_55
.LBB139_49:                             ;   Parent Loop BB139_18 Depth=1
                                        ; =>  This Inner Loop Header: Depth=2
	global_load_dwordx2 v[22:23], v[18:19], off
	s_waitcnt vmcnt(0)
	v_subrev_co_u32_e32 v22, vcc, s83, v22
	s_nop 1
	v_subbrev_co_u32_e32 v23, vcc, 0, v23, vcc
	v_cmp_lt_i64_e32 vcc, v[22:23], v[10:11]
	v_cmp_ge_i64_e64 s[20:21], v[22:23], v[12:13]
	s_or_b64 s[74:75], vcc, s[20:21]
	s_mov_b64 s[20:21], 0
	s_and_saveexec_b64 s[76:77], s[74:75]
	s_xor_b64 s[74:75], exec, s[76:77]
; %bb.50:                               ;   in Loop: Header=BB139_49 Depth=2
	v_cmp_lt_i64_e32 vcc, v[22:23], v[12:13]
	s_and_b64 s[20:21], vcc, exec
; %bb.51:                               ;   in Loop: Header=BB139_49 Depth=2
	s_andn2_saveexec_b64 s[74:75], s[74:75]
	s_cbranch_execz .LBB139_53
; %bb.52:                               ;   in Loop: Header=BB139_49 Depth=2
	global_load_dwordx2 v[24:25], v[20:21], off offset:-4
	v_sub_u32_e32 v26, v22, v10
	ds_write_b8 v26, v37 offset:16384
	v_lshlrev_b32_e32 v26, 3, v26
	s_or_b64 s[20:21], s[20:21], exec
	s_waitcnt vmcnt(0)
	v_mul_f32_e64 v27, v25, -s82
	v_mul_f32_e32 v25, s44, v25
	v_fmac_f32_e32 v27, s44, v24
	v_fmac_f32_e32 v25, s82, v24
	ds_add_f32 v26, v27
	ds_add_f32 v26, v25 offset:4
.LBB139_53:                             ;   in Loop: Header=BB139_49 Depth=2
	s_or_b64 exec, exec, s[74:75]
	s_mov_b64 s[74:75], -1
	s_or_b64 s[72:73], s[72:73], exec
	s_and_saveexec_b64 s[76:77], s[20:21]
	s_cbranch_execz .LBB139_48
; %bb.54:                               ;   in Loop: Header=BB139_49 Depth=2
	v_lshl_add_u64 v[16:17], v[16:17], 0, s[60:61]
	v_cmp_le_i64_e32 vcc, s[66:67], v[16:17]
	v_lshl_add_u64 v[18:19], v[18:19], 0, s[62:63]
	v_lshl_add_u64 v[20:21], v[20:21], 0, s[62:63]
	s_andn2_b64 s[72:73], s[72:73], exec
	s_orn2_b64 s[74:75], vcc, exec
	s_branch .LBB139_48
.LBB139_55:                             ;   in Loop: Header=BB139_18 Depth=1
	s_or_b64 exec, exec, s[68:69]
	s_and_saveexec_b64 s[20:21], s[70:71]
	s_xor_b64 s[20:21], exec, s[20:21]
; %bb.56:                               ;   in Loop: Header=BB139_18 Depth=1
	v_cmp_lt_i64_e32 vcc, v[22:23], v[14:15]
	s_nop 1
	v_cndmask_b32_e32 v15, v15, v23, vcc
	v_cndmask_b32_e32 v14, v14, v22, vcc
; %bb.57:                               ;   in Loop: Header=BB139_18 Depth=1
	s_or_b64 exec, exec, s[20:21]
.LBB139_58:                             ;   in Loop: Header=BB139_18 Depth=1
	s_or_b64 exec, exec, s[22:23]
.LBB139_59:                             ;   in Loop: Header=BB139_18 Depth=1
	v_mov_b32_dpp v10, v14 row_shr:1 row_mask:0xf bank_mask:0xf
	v_mov_b32_dpp v11, v15 row_shr:1 row_mask:0xf bank_mask:0xf
	v_cmp_lt_i64_e32 vcc, v[10:11], v[14:15]
	s_nop 1
	v_cndmask_b32_e32 v11, v15, v11, vcc
	v_cndmask_b32_e32 v10, v14, v10, vcc
	s_nop 0
	v_mov_b32_dpp v13, v11 row_shr:2 row_mask:0xf bank_mask:0xf
	v_mov_b32_dpp v12, v10 row_shr:2 row_mask:0xf bank_mask:0xf
	v_cmp_lt_i64_e32 vcc, v[12:13], v[10:11]
	s_nop 1
	v_cndmask_b32_e32 v11, v11, v13, vcc
	v_cndmask_b32_e32 v10, v10, v12, vcc
	s_nop 0
	;; [unrolled: 7-line block ×3, first 2 shown]
	v_mov_b32_dpp v14, v11 row_shr:8 row_mask:0xf bank_mask:0xc
	v_mov_b32_dpp v12, v10 row_shr:8 row_mask:0xf bank_mask:0xc
	s_and_saveexec_b64 s[20:21], s[2:3]
	s_cbranch_execz .LBB139_64
; %bb.60:                               ;   in Loop: Header=BB139_18 Depth=1
	v_mov_b32_e32 v13, v14
	v_cmp_lt_i64_e32 vcc, v[12:13], v[10:11]
	s_mov_b64 s[66:67], exec
	s_mov_b64 s[22:23], -1
	v_cndmask_b32_e32 v11, v11, v14, vcc
	v_cndmask_b32_e32 v10, v10, v12, vcc
.LBB139_61:                             ;   Parent Loop BB139_18 Depth=1
                                        ; =>  This Inner Loop Header: Depth=2
	s_ff1_i32_b64 s70, s[66:67]
	v_readlane_b32 s71, v11, s70
	v_readlane_b32 s72, v10, s70
	s_nop 0
	v_mov_b32_e32 v13, s71
	v_mov_b32_e32 v12, s72
	v_cmp_lt_u64_e32 vcc, s[22:23], v[12:13]
	s_and_b64 s[68:69], vcc, exec
	s_cselect_b32 s23, s23, s71
	s_cselect_b32 s22, s22, s72
	s_lshl_b64 s[68:69], 1, s70
	s_andn2_b64 s[66:67], s[66:67], s[68:69]
	s_cmp_lg_u64 s[66:67], 0
	s_cbranch_scc1 .LBB139_61
; %bb.62:                               ;   in Loop: Header=BB139_18 Depth=1
	v_mbcnt_lo_u32_b32 v10, exec_lo, 0
	v_mbcnt_hi_u32_b32 v10, exec_hi, v10
	v_cmp_eq_u32_e32 vcc, 0, v10
	s_and_saveexec_b64 s[66:67], vcc
	s_xor_b64 s[66:67], exec, s[66:67]
; %bb.63:                               ;   in Loop: Header=BB139_18 Depth=1
	v_mov_b64_e32 v[10:11], s[22:23]
	ds_min_u64 v3, v[10:11] offset:18432
.LBB139_64:                             ;   in Loop: Header=BB139_18 Depth=1
	s_or_b64 exec, exec, s[20:21]
	s_mov_b64 s[20:21], 0
	v_mov_b32_e32 v14, v36
	v_mov_b32_e32 v15, v35
	s_waitcnt lgkmcnt(0)
	s_barrier
	s_branch .LBB139_66
.LBB139_65:                             ;   in Loop: Header=BB139_66 Depth=2
	s_or_b64 exec, exec, s[22:23]
	s_waitcnt lgkmcnt(0)
	s_barrier
	ds_read_b32 v10, v3 offset:28
	v_add_u32_e32 v15, 0x200, v15
	v_cmp_lt_u32_e32 vcc, s84, v15
	s_or_b64 s[20:21], vcc, s[20:21]
	v_add_u32_e32 v14, 0x1000, v14
	s_waitcnt lgkmcnt(0)
	v_ashrrev_i32_e32 v11, 31, v10
	v_lshl_add_u64 v[0:1], v[0:1], 0, v[10:11]
	s_andn2_b64 exec, exec, s[20:21]
	s_cbranch_execz .LBB139_17
.LBB139_66:                             ;   Parent Loop BB139_18 Depth=1
                                        ; =>  This Inner Loop Header: Depth=2
	ds_read_u8 v13, v15 offset:16896
	ds_read_b64 v[10:11], v14
	s_waitcnt lgkmcnt(0)
	s_barrier
	v_cmp_ne_u16_e32 vcc, 0, v13
	s_bcnt1_i32_b64 s22, vcc
	v_mov_b32_e32 v16, s22
	ds_write_b32 v34, v16
	s_waitcnt lgkmcnt(0)
	s_barrier
	ds_read_b128 v[16:19], v3
	v_and_b32_e32 v20, vcc_lo, v8
	v_and_b32_e32 v12, vcc_hi, v9
	v_bcnt_u32_b32 v20, v20, 0
	v_bcnt_u32_b32 v12, v12, v20
	ds_read_b96 v[20:22], v3 offset:16
	s_waitcnt lgkmcnt(1)
	v_cndmask_b32_e64 v16, v16, 0, s[6:7]
	v_add_u32_e32 v12, v16, v12
	v_cndmask_b32_e64 v16, v17, 0, s[8:9]
	v_cndmask_b32_e64 v17, v18, 0, s[10:11]
	v_add3_u32 v12, v12, v16, v17
	v_cndmask_b32_e64 v16, v19, 0, s[12:13]
	s_waitcnt lgkmcnt(0)
	v_cndmask_b32_e64 v17, v20, 0, s[14:15]
	v_add3_u32 v12, v12, v16, v17
	v_cndmask_b32_e64 v16, v21, 0, s[16:17]
	v_cndmask_b32_e64 v17, v22, 0, s[18:19]
	v_and_b32_e32 v13, 1, v13
	v_add3_u32 v12, v12, v16, v17
	v_cmp_eq_u32_e32 vcc, 1, v13
	s_and_saveexec_b64 s[22:23], vcc
	s_cbranch_execz .LBB139_68
; %bb.67:                               ;   in Loop: Header=BB139_66 Depth=2
	v_lshl_add_u64 v[16:17], v[0:1], 3, s[24:25]
	v_ashrrev_i32_e32 v13, 31, v12
	v_lshl_add_u64 v[16:17], v[12:13], 3, v[16:17]
	global_store_dwordx2 v[16:17], v[10:11], off offset:-8
.LBB139_68:                             ;   in Loop: Header=BB139_66 Depth=2
	s_or_b64 exec, exec, s[22:23]
	s_and_saveexec_b64 s[22:23], s[4:5]
	s_cbranch_execz .LBB139_65
; %bb.69:                               ;   in Loop: Header=BB139_66 Depth=2
	ds_write_b32 v3, v12 offset:28
	s_branch .LBB139_65
.LBB139_70:
	s_endpgm
	.section	.rodata,"a",@progbits
	.p2align	6, 0x0
	.amdhsa_kernel _ZN9rocsparseL51csrgemm_numeric_fill_block_per_row_multipass_kernelILj512ELj16ELj2048ELj64Ell21rocsparse_complex_numIfEEEvT4_PKS3_S5_NS_24const_host_device_scalarIT5_EEPKT3_S5_PKS7_SB_S5_SD_S8_SB_S5_SD_SB_S5_PS7_PS9_21rocsparse_index_base_SG_SG_SG_bbb
		.amdhsa_group_segment_fixed_size 18440
		.amdhsa_private_segment_fixed_size 0
		.amdhsa_kernarg_size 164
		.amdhsa_user_sgpr_count 2
		.amdhsa_user_sgpr_dispatch_ptr 0
		.amdhsa_user_sgpr_queue_ptr 0
		.amdhsa_user_sgpr_kernarg_segment_ptr 1
		.amdhsa_user_sgpr_dispatch_id 0
		.amdhsa_user_sgpr_kernarg_preload_length 0
		.amdhsa_user_sgpr_kernarg_preload_offset 0
		.amdhsa_user_sgpr_private_segment_size 0
		.amdhsa_uses_dynamic_stack 0
		.amdhsa_enable_private_segment 0
		.amdhsa_system_sgpr_workgroup_id_x 1
		.amdhsa_system_sgpr_workgroup_id_y 0
		.amdhsa_system_sgpr_workgroup_id_z 0
		.amdhsa_system_sgpr_workgroup_info 0
		.amdhsa_system_vgpr_workitem_id 0
		.amdhsa_next_free_vgpr 46
		.amdhsa_next_free_sgpr 85
		.amdhsa_accum_offset 48
		.amdhsa_reserve_vcc 1
		.amdhsa_float_round_mode_32 0
		.amdhsa_float_round_mode_16_64 0
		.amdhsa_float_denorm_mode_32 3
		.amdhsa_float_denorm_mode_16_64 3
		.amdhsa_dx10_clamp 1
		.amdhsa_ieee_mode 1
		.amdhsa_fp16_overflow 0
		.amdhsa_tg_split 0
		.amdhsa_exception_fp_ieee_invalid_op 0
		.amdhsa_exception_fp_denorm_src 0
		.amdhsa_exception_fp_ieee_div_zero 0
		.amdhsa_exception_fp_ieee_overflow 0
		.amdhsa_exception_fp_ieee_underflow 0
		.amdhsa_exception_fp_ieee_inexact 0
		.amdhsa_exception_int_div_zero 0
	.end_amdhsa_kernel
	.section	.text._ZN9rocsparseL51csrgemm_numeric_fill_block_per_row_multipass_kernelILj512ELj16ELj2048ELj64Ell21rocsparse_complex_numIfEEEvT4_PKS3_S5_NS_24const_host_device_scalarIT5_EEPKT3_S5_PKS7_SB_S5_SD_S8_SB_S5_SD_SB_S5_PS7_PS9_21rocsparse_index_base_SG_SG_SG_bbb,"axG",@progbits,_ZN9rocsparseL51csrgemm_numeric_fill_block_per_row_multipass_kernelILj512ELj16ELj2048ELj64Ell21rocsparse_complex_numIfEEEvT4_PKS3_S5_NS_24const_host_device_scalarIT5_EEPKT3_S5_PKS7_SB_S5_SD_S8_SB_S5_SD_SB_S5_PS7_PS9_21rocsparse_index_base_SG_SG_SG_bbb,comdat
.Lfunc_end139:
	.size	_ZN9rocsparseL51csrgemm_numeric_fill_block_per_row_multipass_kernelILj512ELj16ELj2048ELj64Ell21rocsparse_complex_numIfEEEvT4_PKS3_S5_NS_24const_host_device_scalarIT5_EEPKT3_S5_PKS7_SB_S5_SD_S8_SB_S5_SD_SB_S5_PS7_PS9_21rocsparse_index_base_SG_SG_SG_bbb, .Lfunc_end139-_ZN9rocsparseL51csrgemm_numeric_fill_block_per_row_multipass_kernelILj512ELj16ELj2048ELj64Ell21rocsparse_complex_numIfEEEvT4_PKS3_S5_NS_24const_host_device_scalarIT5_EEPKT3_S5_PKS7_SB_S5_SD_S8_SB_S5_SD_SB_S5_PS7_PS9_21rocsparse_index_base_SG_SG_SG_bbb
                                        ; -- End function
	.set _ZN9rocsparseL51csrgemm_numeric_fill_block_per_row_multipass_kernelILj512ELj16ELj2048ELj64Ell21rocsparse_complex_numIfEEEvT4_PKS3_S5_NS_24const_host_device_scalarIT5_EEPKT3_S5_PKS7_SB_S5_SD_S8_SB_S5_SD_SB_S5_PS7_PS9_21rocsparse_index_base_SG_SG_SG_bbb.num_vgpr, 46
	.set _ZN9rocsparseL51csrgemm_numeric_fill_block_per_row_multipass_kernelILj512ELj16ELj2048ELj64Ell21rocsparse_complex_numIfEEEvT4_PKS3_S5_NS_24const_host_device_scalarIT5_EEPKT3_S5_PKS7_SB_S5_SD_S8_SB_S5_SD_SB_S5_PS7_PS9_21rocsparse_index_base_SG_SG_SG_bbb.num_agpr, 0
	.set _ZN9rocsparseL51csrgemm_numeric_fill_block_per_row_multipass_kernelILj512ELj16ELj2048ELj64Ell21rocsparse_complex_numIfEEEvT4_PKS3_S5_NS_24const_host_device_scalarIT5_EEPKT3_S5_PKS7_SB_S5_SD_S8_SB_S5_SD_SB_S5_PS7_PS9_21rocsparse_index_base_SG_SG_SG_bbb.numbered_sgpr, 85
	.set _ZN9rocsparseL51csrgemm_numeric_fill_block_per_row_multipass_kernelILj512ELj16ELj2048ELj64Ell21rocsparse_complex_numIfEEEvT4_PKS3_S5_NS_24const_host_device_scalarIT5_EEPKT3_S5_PKS7_SB_S5_SD_S8_SB_S5_SD_SB_S5_PS7_PS9_21rocsparse_index_base_SG_SG_SG_bbb.num_named_barrier, 0
	.set _ZN9rocsparseL51csrgemm_numeric_fill_block_per_row_multipass_kernelILj512ELj16ELj2048ELj64Ell21rocsparse_complex_numIfEEEvT4_PKS3_S5_NS_24const_host_device_scalarIT5_EEPKT3_S5_PKS7_SB_S5_SD_S8_SB_S5_SD_SB_S5_PS7_PS9_21rocsparse_index_base_SG_SG_SG_bbb.private_seg_size, 0
	.set _ZN9rocsparseL51csrgemm_numeric_fill_block_per_row_multipass_kernelILj512ELj16ELj2048ELj64Ell21rocsparse_complex_numIfEEEvT4_PKS3_S5_NS_24const_host_device_scalarIT5_EEPKT3_S5_PKS7_SB_S5_SD_S8_SB_S5_SD_SB_S5_PS7_PS9_21rocsparse_index_base_SG_SG_SG_bbb.uses_vcc, 1
	.set _ZN9rocsparseL51csrgemm_numeric_fill_block_per_row_multipass_kernelILj512ELj16ELj2048ELj64Ell21rocsparse_complex_numIfEEEvT4_PKS3_S5_NS_24const_host_device_scalarIT5_EEPKT3_S5_PKS7_SB_S5_SD_S8_SB_S5_SD_SB_S5_PS7_PS9_21rocsparse_index_base_SG_SG_SG_bbb.uses_flat_scratch, 0
	.set _ZN9rocsparseL51csrgemm_numeric_fill_block_per_row_multipass_kernelILj512ELj16ELj2048ELj64Ell21rocsparse_complex_numIfEEEvT4_PKS3_S5_NS_24const_host_device_scalarIT5_EEPKT3_S5_PKS7_SB_S5_SD_S8_SB_S5_SD_SB_S5_PS7_PS9_21rocsparse_index_base_SG_SG_SG_bbb.has_dyn_sized_stack, 0
	.set _ZN9rocsparseL51csrgemm_numeric_fill_block_per_row_multipass_kernelILj512ELj16ELj2048ELj64Ell21rocsparse_complex_numIfEEEvT4_PKS3_S5_NS_24const_host_device_scalarIT5_EEPKT3_S5_PKS7_SB_S5_SD_S8_SB_S5_SD_SB_S5_PS7_PS9_21rocsparse_index_base_SG_SG_SG_bbb.has_recursion, 0
	.set _ZN9rocsparseL51csrgemm_numeric_fill_block_per_row_multipass_kernelILj512ELj16ELj2048ELj64Ell21rocsparse_complex_numIfEEEvT4_PKS3_S5_NS_24const_host_device_scalarIT5_EEPKT3_S5_PKS7_SB_S5_SD_S8_SB_S5_SD_SB_S5_PS7_PS9_21rocsparse_index_base_SG_SG_SG_bbb.has_indirect_call, 0
	.section	.AMDGPU.csdata,"",@progbits
; Kernel info:
; codeLenInByte = 2672
; TotalNumSgprs: 91
; NumVgprs: 46
; NumAgprs: 0
; TotalNumVgprs: 46
; ScratchSize: 0
; MemoryBound: 0
; FloatMode: 240
; IeeeMode: 1
; LDSByteSize: 18440 bytes/workgroup (compile time only)
; SGPRBlocks: 11
; VGPRBlocks: 5
; NumSGPRsForWavesPerEU: 91
; NumVGPRsForWavesPerEU: 46
; AccumOffset: 48
; Occupancy: 8
; WaveLimiterHint : 1
; COMPUTE_PGM_RSRC2:SCRATCH_EN: 0
; COMPUTE_PGM_RSRC2:USER_SGPR: 2
; COMPUTE_PGM_RSRC2:TRAP_HANDLER: 0
; COMPUTE_PGM_RSRC2:TGID_X_EN: 1
; COMPUTE_PGM_RSRC2:TGID_Y_EN: 0
; COMPUTE_PGM_RSRC2:TGID_Z_EN: 0
; COMPUTE_PGM_RSRC2:TIDIG_COMP_CNT: 0
; COMPUTE_PGM_RSRC3_GFX90A:ACCUM_OFFSET: 11
; COMPUTE_PGM_RSRC3_GFX90A:TG_SPLIT: 0
	.section	.text._ZN9rocsparseL38csrgemm_numeric_fill_wf_per_row_kernelILj256ELj8ELj16ELj137Ell21rocsparse_complex_numIdEEEvT4_S3_PKS3_S5_NS_24const_host_device_scalarIT5_EEPKT3_S5_PKS7_SB_S5_SD_S8_SB_S5_SD_SB_S5_PS7_21rocsparse_index_base_SF_SF_SF_bbb,"axG",@progbits,_ZN9rocsparseL38csrgemm_numeric_fill_wf_per_row_kernelILj256ELj8ELj16ELj137Ell21rocsparse_complex_numIdEEEvT4_S3_PKS3_S5_NS_24const_host_device_scalarIT5_EEPKT3_S5_PKS7_SB_S5_SD_S8_SB_S5_SD_SB_S5_PS7_21rocsparse_index_base_SF_SF_SF_bbb,comdat
	.globl	_ZN9rocsparseL38csrgemm_numeric_fill_wf_per_row_kernelILj256ELj8ELj16ELj137Ell21rocsparse_complex_numIdEEEvT4_S3_PKS3_S5_NS_24const_host_device_scalarIT5_EEPKT3_S5_PKS7_SB_S5_SD_S8_SB_S5_SD_SB_S5_PS7_21rocsparse_index_base_SF_SF_SF_bbb ; -- Begin function _ZN9rocsparseL38csrgemm_numeric_fill_wf_per_row_kernelILj256ELj8ELj16ELj137Ell21rocsparse_complex_numIdEEEvT4_S3_PKS3_S5_NS_24const_host_device_scalarIT5_EEPKT3_S5_PKS7_SB_S5_SD_S8_SB_S5_SD_SB_S5_PS7_21rocsparse_index_base_SF_SF_SF_bbb
	.p2align	8
	.type	_ZN9rocsparseL38csrgemm_numeric_fill_wf_per_row_kernelILj256ELj8ELj16ELj137Ell21rocsparse_complex_numIdEEEvT4_S3_PKS3_S5_NS_24const_host_device_scalarIT5_EEPKT3_S5_PKS7_SB_S5_SD_S8_SB_S5_SD_SB_S5_PS7_21rocsparse_index_base_SF_SF_SF_bbb,@function
_ZN9rocsparseL38csrgemm_numeric_fill_wf_per_row_kernelILj256ELj8ELj16ELj137Ell21rocsparse_complex_numIdEEEvT4_S3_PKS3_S5_NS_24const_host_device_scalarIT5_EEPKT3_S5_PKS7_SB_S5_SD_S8_SB_S5_SD_SB_S5_PS7_21rocsparse_index_base_SF_SF_SF_bbb: ; @_ZN9rocsparseL38csrgemm_numeric_fill_wf_per_row_kernelILj256ELj8ELj16ELj137Ell21rocsparse_complex_numIdEEEvT4_S3_PKS3_S5_NS_24const_host_device_scalarIT5_EEPKT3_S5_PKS7_SB_S5_SD_S8_SB_S5_SD_SB_S5_PS7_21rocsparse_index_base_SF_SF_SF_bbb
; %bb.0:
	s_load_dword s3, s[0:1], 0xb0
	s_load_dwordx4 s[24:27], s[0:1], 0xa0
	s_load_dwordx4 s[8:11], s[0:1], 0x20
	;; [unrolled: 1-line block ×3, first 2 shown]
	v_mov_b64_e32 v[4:5], 0
	s_waitcnt lgkmcnt(0)
	s_bitcmp1_b32 s3, 0
	s_cselect_b64 s[46:47], -1, 0
	s_bitcmp1_b32 s3, 16
	s_cselect_b64 s[6:7], -1, 0
	s_xor_b64 s[4:5], s[6:7], -1
	v_mov_b64_e32 v[2:3], s[8:9]
	v_cndmask_b32_e64 v1, 0, 1, s[4:5]
	scratch_store_dwordx2 off, v[2:3], off
	v_mov_b64_e32 v[2:3], s[40:41]
	s_bitcmp0_b32 s3, 0
	v_cmp_ne_u32_e64 s[4:5], 1, v1
	v_mov_b64_e32 v[10:11], 0
	v_mov_b64_e32 v[12:13], 0
	scratch_store_dwordx2 off, v[2:3], off offset:8
	s_cbranch_scc1 .LBB140_3
; %bb.1:
	s_mov_b64 s[12:13], src_private_base
	s_and_b64 s[14:15], s[6:7], exec
	s_cselect_b32 s12, s13, s9
	s_cselect_b32 s13, 0, s8
	v_mov_b32_e32 v2, s13
	v_mov_b32_e32 v3, s12
	flat_load_dwordx2 v[10:11], v[2:3]
	s_and_b64 vcc, exec, s[4:5]
	v_mov_b64_e32 v[12:13], s[10:11]
	s_cbranch_vccnz .LBB140_3
; %bb.2:
	v_mov_b64_e32 v[2:3], s[8:9]
	flat_load_dwordx2 v[12:13], v[2:3] offset:8
.LBB140_3:
	s_load_dwordx2 s[34:35], s[0:1], 0x98
	s_load_dwordx8 s[8:15], s[0:1], 0x70
	s_load_dwordx4 s[28:31], s[0:1], 0x50
	s_load_dwordx4 s[36:39], s[0:1], 0x10
	s_load_dwordx8 s[16:23], s[0:1], 0x30
	s_bitcmp1_b32 s3, 8
	s_cselect_b64 s[44:45], -1, 0
	s_bfe_u32 s3, s3, 0x10008
	s_cmp_eq_u32 s3, 0
	v_mov_b64_e32 v[6:7], 0
	s_cbranch_scc1 .LBB140_6
; %bb.4:
	s_mov_b64 s[48:49], src_private_base
	s_and_b64 s[6:7], s[6:7], exec
	s_cselect_b32 s3, s49, s41
	s_cselect_b32 s6, 8, s40
	v_mov_b32_e32 v2, s6
	v_mov_b32_e32 v3, s3
	flat_load_dwordx2 v[6:7], v[2:3]
	s_and_b64 vcc, exec, s[4:5]
	v_mov_b64_e32 v[4:5], s[42:43]
	s_cbranch_vccnz .LBB140_6
; %bb.5:
	v_mov_b64_e32 v[2:3], s[40:41]
	flat_load_dwordx2 v[4:5], v[2:3] offset:8
.LBB140_6:
	s_load_dwordx4 s[4:7], s[0:1], 0x0
	v_and_b32_e32 v39, 7, v0
	v_lshrrev_b32_e32 v0, 3, v0
	v_lshlrev_b32_e32 v1, 4, v39
	v_lshl_or_b32 v35, v0, 8, v1
	v_lshlrev_b32_e32 v1, 7, v0
	v_lshlrev_b32_e32 v2, 3, v39
	s_movk_i32 s0, 0x2000
	v_or_b32_e32 v34, -8, v39
	v_or3_b32 v36, v1, v2, s0
	v_mov_b32_e32 v14, 0
	s_mov_b64 s[0:1], 0
	s_waitcnt lgkmcnt(0)
	v_mov_b64_e32 v[8:9], s[6:7]
	v_mov_b32_e32 v15, v14
	v_mov_b32_e32 v16, v14
	;; [unrolled: 1-line block ×6, first 2 shown]
.LBB140_7:                              ; =>This Inner Loop Header: Depth=1
	v_add_co_u32_e32 v3, vcc, 8, v3
	s_xor_b64 s[40:41], vcc, -1
	s_and_b64 s[40:41], exec, s[40:41]
	ds_write_b64 v1, v[8:9]
	ds_write_b128 v2, v[14:17]
	v_add_u32_e32 v2, 0x80, v2
	s_or_b64 s[0:1], s[40:41], s[0:1]
	v_add_u32_e32 v1, 64, v1
	s_andn2_b64 exec, exec, s[0:1]
	s_cbranch_execnz .LBB140_7
; %bb.8:
	s_or_b64 exec, exec, s[0:1]
	s_lshl_b32 s0, s2, 5
	s_and_b32 s0, s0, 0x1fffffe0
	v_or_b32_e32 v8, s0, v0
	v_mov_b32_e32 v9, 0
	v_cmp_gt_i64_e32 vcc, s[4:5], v[8:9]
	s_waitcnt lgkmcnt(0)
	s_and_saveexec_b64 s[0:1], vcc
	s_cbranch_execz .LBB140_52
; %bb.9:
	s_cmp_eq_u64 s[38:39], 0
	s_cbranch_scc1 .LBB140_11
; %bb.10:
	s_load_dwordx2 s[0:1], s[36:37], 0x0
	v_lshlrev_b32_e32 v1, 3, v8
	s_waitcnt lgkmcnt(0)
	s_lshl_b64 s[0:1], s[0:1], 3
	s_add_u32 s0, s38, s0
	s_addc_u32 s1, s39, s1
	global_load_dwordx2 v[8:9], v1, s[0:1]
.LBB140_11:
	v_mov_b32_e32 v1, 0x2000
	v_lshl_or_b32 v37, v0, 7, v1
	s_andn2_b64 vcc, exec, s[46:47]
	v_lshlrev_b32_e32 v38, 8, v0
	s_cbranch_vccnz .LBB140_31
; %bb.12:
	s_waitcnt vmcnt(0)
	v_lshl_add_u64 v[0:1], v[8:9], 3, s[16:17]
	global_load_dwordx4 v[0:3], v[0:1], off
	v_subrev_co_u32_e32 v16, vcc, s24, v39
	s_nop 1
	v_subb_co_u32_e64 v17, s[0:1], 0, 0, vcc
	s_waitcnt vmcnt(0)
	v_subrev_co_u32_e32 v14, vcc, s24, v2
	s_nop 1
	v_subbrev_co_u32_e32 v15, vcc, 0, v3, vcc
	v_lshl_add_u64 v[16:17], v[0:1], 0, v[16:17]
	v_cmp_lt_i64_e32 vcc, v[16:17], v[14:15]
	s_and_saveexec_b64 s[0:1], vcc
	s_cbranch_execz .LBB140_30
; %bb.13:
	s_mov_b64 s[2:3], 0
	s_branch .LBB140_15
.LBB140_14:                             ;   in Loop: Header=BB140_15 Depth=1
	s_or_b64 exec, exec, s[4:5]
	v_lshl_add_u64 v[16:17], v[16:17], 0, 8
	v_cmp_ge_i64_e32 vcc, v[16:17], v[14:15]
	s_or_b64 s[2:3], vcc, s[2:3]
	s_andn2_b64 exec, exec, s[2:3]
	s_cbranch_execz .LBB140_30
.LBB140_15:                             ; =>This Loop Header: Depth=1
                                        ;     Child Loop BB140_19 Depth 2
                                        ;       Child Loop BB140_22 Depth 3
	v_lshl_add_u64 v[0:1], v[16:17], 3, s[18:19]
	global_load_dwordx2 v[0:1], v[0:1], off
	s_waitcnt vmcnt(0)
	v_subrev_co_u32_e32 v0, vcc, s24, v0
	s_nop 1
	v_subbrev_co_u32_e32 v1, vcc, 0, v1, vcc
	v_lshl_add_u64 v[0:1], v[0:1], 3, s[22:23]
	global_load_dwordx4 v[0:3], v[0:1], off
	s_waitcnt vmcnt(0)
	v_cmp_lt_i64_e32 vcc, v[0:1], v[2:3]
	s_and_saveexec_b64 s[4:5], vcc
	s_cbranch_execz .LBB140_14
; %bb.16:                               ;   in Loop: Header=BB140_15 Depth=1
	v_lshl_add_u64 v[18:19], v[16:17], 4, s[20:21]
	global_load_dwordx4 v[26:29], v[18:19], off
	v_subrev_co_u32_e32 v18, vcc, s25, v2
	s_mov_b64 s[16:17], 0
	s_nop 0
	v_subbrev_co_u32_e32 v19, vcc, 0, v3, vcc
	v_subrev_co_u32_e32 v20, vcc, s25, v0
	s_waitcnt vmcnt(0)
	v_mul_f64 v[22:23], v[28:29], -v[12:13]
	v_mul_f64 v[24:25], v[10:11], v[28:29]
	v_subbrev_co_u32_e32 v21, vcc, 0, v1, vcc
	v_fmac_f64_e32 v[22:23], v[10:11], v[26:27]
	v_fmac_f64_e32 v[24:25], v[12:13], v[26:27]
	s_branch .LBB140_19
.LBB140_17:                             ;   in Loop: Header=BB140_19 Depth=2
	s_or_b64 exec, exec, s[38:39]
.LBB140_18:                             ;   in Loop: Header=BB140_19 Depth=2
	s_or_b64 exec, exec, s[36:37]
	s_waitcnt vmcnt(0)
	v_mul_f64 v[28:29], v[2:3], -v[24:25]
	v_mul_f64 v[2:3], v[22:23], v[2:3]
	v_fmac_f64_e32 v[28:29], v[22:23], v[0:1]
	v_fmac_f64_e32 v[2:3], v[24:25], v[0:1]
	v_lshl_add_u32 v0, v26, 4, v38
	ds_add_f64 v0, v[28:29]
	ds_add_f64 v0, v[2:3] offset:8
	v_lshl_add_u64 v[20:21], v[20:21], 0, 1
	v_cmp_ge_i64_e32 vcc, v[20:21], v[18:19]
	s_or_b64 s[16:17], vcc, s[16:17]
	s_andn2_b64 exec, exec, s[16:17]
	s_cbranch_execz .LBB140_14
.LBB140_19:                             ;   Parent Loop BB140_15 Depth=1
                                        ; =>  This Loop Header: Depth=2
                                        ;       Child Loop BB140_22 Depth 3
	v_lshl_add_u64 v[0:1], v[20:21], 3, s[28:29]
	global_load_dwordx2 v[26:27], v[0:1], off
	v_lshl_add_u64 v[0:1], v[20:21], 4, s[30:31]
	global_load_dwordx4 v[0:3], v[0:1], off
	s_waitcnt vmcnt(1)
	v_subrev_co_u32_e32 v28, vcc, s25, v26
	v_lshl_add_u32 v26, v28, 3, v28
	v_and_b32_e32 v26, 15, v26
	v_lshl_add_u32 v40, v26, 3, v37
	ds_read_b64 v[32:33], v40
	v_subbrev_co_u32_e32 v29, vcc, 0, v27, vcc
	s_waitcnt lgkmcnt(0)
	v_cmp_ne_u64_e32 vcc, v[32:33], v[28:29]
	s_and_saveexec_b64 s[36:37], vcc
	s_cbranch_execz .LBB140_18
; %bb.20:                               ;   in Loop: Header=BB140_19 Depth=2
	s_mov_b64 s[38:39], 0
                                        ; implicit-def: $sgpr40_sgpr41
                                        ; implicit-def: $sgpr42_sgpr43
	s_branch .LBB140_22
.LBB140_21:                             ;   in Loop: Header=BB140_22 Depth=3
	s_or_b64 exec, exec, s[50:51]
	s_and_b64 s[46:47], exec, s[48:49]
	s_or_b64 s[38:39], s[46:47], s[38:39]
	s_andn2_b64 s[40:41], s[40:41], exec
	s_and_b64 s[46:47], s[42:43], exec
	s_or_b64 s[40:41], s[40:41], s[46:47]
	s_andn2_b64 exec, exec, s[38:39]
	s_cbranch_execz .LBB140_28
.LBB140_22:                             ;   Parent Loop BB140_15 Depth=1
                                        ;     Parent Loop BB140_19 Depth=2
                                        ; =>    This Inner Loop Header: Depth=3
	v_mov_b64_e32 v[30:31], v[26:27]
	v_cmp_ne_u64_e32 vcc, s[6:7], v[32:33]
	s_mov_b64 s[46:47], 0
                                        ; implicit-def: $vgpr26_vgpr27
	s_and_saveexec_b64 s[48:49], vcc
	s_xor_b64 s[48:49], exec, s[48:49]
; %bb.23:                               ;   in Loop: Header=BB140_22 Depth=3
	v_add_u32_e32 v26, 1, v30
	s_mov_b64 s[46:47], exec
	v_and_b32_e32 v26, 15, v26
                                        ; implicit-def: $vgpr40
; %bb.24:                               ;   in Loop: Header=BB140_22 Depth=3
	s_andn2_saveexec_b64 s[48:49], s[48:49]
	s_cbranch_execz .LBB140_26
; %bb.25:                               ;   in Loop: Header=BB140_22 Depth=3
	v_mov_b64_e32 v[26:27], s[6:7]
	ds_cmpst_rtn_b64 v[26:27], v40, v[26:27], v[28:29]
	s_andn2_b64 s[46:47], s[46:47], exec
	s_waitcnt lgkmcnt(0)
	v_cmp_ne_u64_e32 vcc, s[6:7], v[26:27]
	s_and_b64 s[50:51], vcc, exec
	s_or_b64 s[46:47], s[46:47], s[50:51]
	v_mov_b64_e32 v[26:27], v[30:31]
.LBB140_26:                             ;   in Loop: Header=BB140_22 Depth=3
	s_or_b64 exec, exec, s[48:49]
	s_mov_b64 s[48:49], -1
	s_or_b64 s[42:43], s[42:43], exec
                                        ; implicit-def: $vgpr40
                                        ; implicit-def: $vgpr32_vgpr33
	s_and_saveexec_b64 s[50:51], s[46:47]
	s_cbranch_execz .LBB140_21
; %bb.27:                               ;   in Loop: Header=BB140_22 Depth=3
	v_lshl_add_u32 v40, v26, 3, v37
	ds_read_b64 v[32:33], v40
	s_andn2_b64 s[42:43], s[42:43], exec
	s_waitcnt lgkmcnt(0)
	v_cmp_eq_u64_e32 vcc, v[32:33], v[28:29]
	s_orn2_b64 s[48:49], vcc, exec
	s_branch .LBB140_21
.LBB140_28:                             ;   in Loop: Header=BB140_19 Depth=2
	s_or_b64 exec, exec, s[38:39]
	s_and_saveexec_b64 s[38:39], s[40:41]
	s_xor_b64 s[38:39], exec, s[38:39]
	s_cbranch_execz .LBB140_17
; %bb.29:                               ;   in Loop: Header=BB140_19 Depth=2
	v_mov_b32_e32 v26, v30
	s_branch .LBB140_17
.LBB140_30:
	s_or_b64 exec, exec, s[0:1]
.LBB140_31:
	s_andn2_b64 vcc, exec, s[44:45]
	s_cbranch_vccnz .LBB140_48
; %bb.32:
	s_waitcnt vmcnt(0)
	v_lshl_add_u64 v[0:1], v[8:9], 3, s[8:9]
	global_load_dwordx4 v[0:3], v[0:1], off
	v_subrev_co_u32_e32 v12, vcc, s27, v39
	s_nop 1
	v_subb_co_u32_e64 v13, s[0:1], 0, 0, vcc
	s_waitcnt vmcnt(0)
	v_subrev_co_u32_e32 v10, vcc, s27, v2
	s_nop 1
	v_subbrev_co_u32_e32 v11, vcc, 0, v3, vcc
	v_lshl_add_u64 v[12:13], v[0:1], 0, v[12:13]
	v_cmp_lt_i64_e32 vcc, v[12:13], v[10:11]
	s_and_saveexec_b64 s[0:1], vcc
	s_cbranch_execz .LBB140_47
; %bb.33:
	s_mov_b32 s28, s27
	s_mov_b64 s[2:3], 0
	s_branch .LBB140_36
.LBB140_34:                             ;   in Loop: Header=BB140_36 Depth=1
	s_or_b64 exec, exec, s[8:9]
.LBB140_35:                             ;   in Loop: Header=BB140_36 Depth=1
	s_or_b64 exec, exec, s[4:5]
	s_waitcnt vmcnt(0)
	v_mul_f64 v[16:17], v[2:3], -v[4:5]
	v_mul_f64 v[2:3], v[6:7], v[2:3]
	v_fmac_f64_e32 v[16:17], v[6:7], v[0:1]
	v_fmac_f64_e32 v[2:3], v[4:5], v[0:1]
	v_lshl_add_u32 v0, v14, 4, v38
	ds_add_f64 v0, v[16:17]
	ds_add_f64 v0, v[2:3] offset:8
	v_lshl_add_u64 v[12:13], v[12:13], 0, 8
	v_cmp_ge_i64_e32 vcc, v[12:13], v[10:11]
	s_or_b64 s[2:3], vcc, s[2:3]
	s_andn2_b64 exec, exec, s[2:3]
	s_cbranch_execz .LBB140_47
.LBB140_36:                             ; =>This Loop Header: Depth=1
                                        ;     Child Loop BB140_39 Depth 2
	v_lshl_add_u64 v[0:1], v[12:13], 3, s[10:11]
	global_load_dwordx2 v[14:15], v[0:1], off
	v_lshl_add_u64 v[0:1], v[12:13], 4, s[12:13]
	global_load_dwordx4 v[0:3], v[0:1], off
	s_waitcnt vmcnt(1)
	v_subrev_co_u32_e32 v16, vcc, s28, v14
	v_lshl_add_u32 v14, v16, 3, v16
	v_and_b32_e32 v14, 15, v14
	v_lshl_add_u32 v22, v14, 3, v37
	ds_read_b64 v[20:21], v22
	v_subbrev_co_u32_e32 v17, vcc, 0, v15, vcc
	s_waitcnt lgkmcnt(0)
	v_cmp_ne_u64_e32 vcc, v[20:21], v[16:17]
	s_and_saveexec_b64 s[4:5], vcc
	s_cbranch_execz .LBB140_35
; %bb.37:                               ;   in Loop: Header=BB140_36 Depth=1
	s_mov_b64 s[8:9], 0
                                        ; implicit-def: $sgpr16_sgpr17
                                        ; implicit-def: $sgpr18_sgpr19
	s_branch .LBB140_39
.LBB140_38:                             ;   in Loop: Header=BB140_39 Depth=2
	s_or_b64 exec, exec, s[24:25]
	s_and_b64 s[20:21], exec, s[22:23]
	s_or_b64 s[8:9], s[20:21], s[8:9]
	s_andn2_b64 s[16:17], s[16:17], exec
	s_and_b64 s[20:21], s[18:19], exec
	s_or_b64 s[16:17], s[16:17], s[20:21]
	s_andn2_b64 exec, exec, s[8:9]
	s_cbranch_execz .LBB140_45
.LBB140_39:                             ;   Parent Loop BB140_36 Depth=1
                                        ; =>  This Inner Loop Header: Depth=2
	v_mov_b64_e32 v[18:19], v[14:15]
	v_cmp_ne_u64_e32 vcc, s[6:7], v[20:21]
	s_mov_b64 s[20:21], 0
                                        ; implicit-def: $vgpr14_vgpr15
	s_and_saveexec_b64 s[22:23], vcc
	s_xor_b64 s[22:23], exec, s[22:23]
; %bb.40:                               ;   in Loop: Header=BB140_39 Depth=2
	v_add_u32_e32 v14, 1, v18
	s_mov_b64 s[20:21], exec
	v_and_b32_e32 v14, 15, v14
                                        ; implicit-def: $vgpr22
; %bb.41:                               ;   in Loop: Header=BB140_39 Depth=2
	s_andn2_saveexec_b64 s[22:23], s[22:23]
	s_cbranch_execz .LBB140_43
; %bb.42:                               ;   in Loop: Header=BB140_39 Depth=2
	v_mov_b64_e32 v[14:15], s[6:7]
	ds_cmpst_rtn_b64 v[14:15], v22, v[14:15], v[16:17]
	s_andn2_b64 s[20:21], s[20:21], exec
	s_waitcnt lgkmcnt(0)
	v_cmp_ne_u64_e32 vcc, s[6:7], v[14:15]
	s_and_b64 s[24:25], vcc, exec
	s_or_b64 s[20:21], s[20:21], s[24:25]
	v_mov_b64_e32 v[14:15], v[18:19]
.LBB140_43:                             ;   in Loop: Header=BB140_39 Depth=2
	s_or_b64 exec, exec, s[22:23]
	s_mov_b64 s[22:23], -1
	s_or_b64 s[18:19], s[18:19], exec
                                        ; implicit-def: $vgpr22
                                        ; implicit-def: $vgpr20_vgpr21
	s_and_saveexec_b64 s[24:25], s[20:21]
	s_cbranch_execz .LBB140_38
; %bb.44:                               ;   in Loop: Header=BB140_39 Depth=2
	v_lshl_add_u32 v22, v14, 3, v37
	ds_read_b64 v[20:21], v22
	s_andn2_b64 s[18:19], s[18:19], exec
	s_waitcnt lgkmcnt(0)
	v_cmp_eq_u64_e32 vcc, v[20:21], v[16:17]
	s_orn2_b64 s[22:23], vcc, exec
	s_branch .LBB140_38
.LBB140_45:                             ;   in Loop: Header=BB140_36 Depth=1
	s_or_b64 exec, exec, s[8:9]
	s_and_saveexec_b64 s[8:9], s[16:17]
	s_xor_b64 s[8:9], exec, s[8:9]
	s_cbranch_execz .LBB140_34
; %bb.46:                               ;   in Loop: Header=BB140_36 Depth=1
	v_mov_b32_e32 v14, v18
	s_branch .LBB140_34
.LBB140_47:
	s_or_b64 exec, exec, s[0:1]
.LBB140_48:
	s_waitcnt vmcnt(0)
	v_lshl_add_u64 v[0:1], v[8:9], 3, s[14:15]
	s_waitcnt lgkmcnt(0)
	global_load_dwordx2 v[0:1], v[0:1], off
	s_mov_b64 s[0:1], 0
	v_mov_b32_e32 v3, 0
	s_waitcnt vmcnt(0)
	v_subrev_co_u32_e32 v0, vcc, s26, v0
	s_nop 1
	v_subbrev_co_u32_e32 v1, vcc, 0, v1, vcc
	v_lshl_add_u64 v[0:1], v[0:1], 4, s[34:35]
	s_branch .LBB140_50
.LBB140_49:                             ;   in Loop: Header=BB140_50 Depth=1
	s_or_b64 exec, exec, s[2:3]
	v_add_co_u32_e32 v34, vcc, 8, v34
	s_xor_b64 s[2:3], vcc, -1
	s_and_b64 s[2:3], exec, s[2:3]
	v_add_u32_e32 v35, 0x80, v35
	s_or_b64 s[0:1], s[2:3], s[0:1]
	v_add_u32_e32 v36, 64, v36
	s_andn2_b64 exec, exec, s[0:1]
	s_cbranch_execz .LBB140_52
.LBB140_50:                             ; =>This Inner Loop Header: Depth=1
	ds_read_b64 v[4:5], v36
	s_waitcnt lgkmcnt(0)
	v_cmp_gt_i64_e32 vcc, s[6:7], v[4:5]
	s_and_saveexec_b64 s[2:3], vcc
	s_cbranch_execz .LBB140_49
; %bb.51:                               ;   in Loop: Header=BB140_50 Depth=1
	ds_read_b128 v[6:9], v37
	ds_read_b128 v[10:13], v37 offset:16
	ds_read_b128 v[14:17], v37 offset:32
	;; [unrolled: 1-line block ×7, first 2 shown]
	s_waitcnt lgkmcnt(7)
	v_cmp_gt_i64_e32 vcc, v[4:5], v[6:7]
	s_nop 1
	v_cndmask_b32_e64 v2, 0, 1, vcc
	v_lshlrev_b32_e32 v2, 4, v2
	v_cmp_gt_i64_e32 vcc, v[4:5], v[8:9]
	v_lshl_add_u64 v[6:7], v[0:1], 0, v[2:3]
	s_nop 0
	v_cndmask_b32_e64 v2, 0, 1, vcc
	v_lshlrev_b32_e32 v2, 4, v2
	s_waitcnt lgkmcnt(6)
	v_cmp_gt_i64_e32 vcc, v[4:5], v[10:11]
	v_lshl_add_u64 v[6:7], v[6:7], 0, v[2:3]
	s_nop 0
	v_cndmask_b32_e64 v2, 0, 1, vcc
	v_lshlrev_b32_e32 v2, 4, v2
	v_cmp_gt_i64_e32 vcc, v[4:5], v[12:13]
	v_lshl_add_u64 v[6:7], v[6:7], 0, v[2:3]
	s_nop 0
	v_cndmask_b32_e64 v2, 0, 1, vcc
	v_lshlrev_b32_e32 v2, 4, v2
	s_waitcnt lgkmcnt(5)
	v_cmp_gt_i64_e32 vcc, v[4:5], v[14:15]
	v_lshl_add_u64 v[6:7], v[6:7], 0, v[2:3]
	;; [unrolled: 11-line block ×7, first 2 shown]
	s_nop 0
	v_cndmask_b32_e64 v2, 0, 1, vcc
	v_lshlrev_b32_e32 v2, 4, v2
	v_lshl_add_u64 v[10:11], v[6:7], 0, v[2:3]
	ds_read2_b64 v[6:9], v35 offset1:1
	v_cmp_gt_i64_e32 vcc, v[4:5], v[40:41]
	s_nop 1
	v_cndmask_b32_e64 v2, 0, 1, vcc
	v_lshlrev_b32_e32 v2, 4, v2
	v_lshl_add_u64 v[4:5], v[10:11], 0, v[2:3]
	s_waitcnt lgkmcnt(0)
	global_store_dwordx4 v[4:5], v[6:9], off
	s_branch .LBB140_49
.LBB140_52:
	s_endpgm
	.section	.rodata,"a",@progbits
	.p2align	6, 0x0
	.amdhsa_kernel _ZN9rocsparseL38csrgemm_numeric_fill_wf_per_row_kernelILj256ELj8ELj16ELj137Ell21rocsparse_complex_numIdEEEvT4_S3_PKS3_S5_NS_24const_host_device_scalarIT5_EEPKT3_S5_PKS7_SB_S5_SD_S8_SB_S5_SD_SB_S5_PS7_21rocsparse_index_base_SF_SF_SF_bbb
		.amdhsa_group_segment_fixed_size 12288
		.amdhsa_private_segment_fixed_size 24
		.amdhsa_kernarg_size 180
		.amdhsa_user_sgpr_count 2
		.amdhsa_user_sgpr_dispatch_ptr 0
		.amdhsa_user_sgpr_queue_ptr 0
		.amdhsa_user_sgpr_kernarg_segment_ptr 1
		.amdhsa_user_sgpr_dispatch_id 0
		.amdhsa_user_sgpr_kernarg_preload_length 0
		.amdhsa_user_sgpr_kernarg_preload_offset 0
		.amdhsa_user_sgpr_private_segment_size 0
		.amdhsa_uses_dynamic_stack 0
		.amdhsa_enable_private_segment 1
		.amdhsa_system_sgpr_workgroup_id_x 1
		.amdhsa_system_sgpr_workgroup_id_y 0
		.amdhsa_system_sgpr_workgroup_id_z 0
		.amdhsa_system_sgpr_workgroup_info 0
		.amdhsa_system_vgpr_workitem_id 0
		.amdhsa_next_free_vgpr 42
		.amdhsa_next_free_sgpr 52
		.amdhsa_accum_offset 44
		.amdhsa_reserve_vcc 1
		.amdhsa_float_round_mode_32 0
		.amdhsa_float_round_mode_16_64 0
		.amdhsa_float_denorm_mode_32 3
		.amdhsa_float_denorm_mode_16_64 3
		.amdhsa_dx10_clamp 1
		.amdhsa_ieee_mode 1
		.amdhsa_fp16_overflow 0
		.amdhsa_tg_split 0
		.amdhsa_exception_fp_ieee_invalid_op 0
		.amdhsa_exception_fp_denorm_src 0
		.amdhsa_exception_fp_ieee_div_zero 0
		.amdhsa_exception_fp_ieee_overflow 0
		.amdhsa_exception_fp_ieee_underflow 0
		.amdhsa_exception_fp_ieee_inexact 0
		.amdhsa_exception_int_div_zero 0
	.end_amdhsa_kernel
	.section	.text._ZN9rocsparseL38csrgemm_numeric_fill_wf_per_row_kernelILj256ELj8ELj16ELj137Ell21rocsparse_complex_numIdEEEvT4_S3_PKS3_S5_NS_24const_host_device_scalarIT5_EEPKT3_S5_PKS7_SB_S5_SD_S8_SB_S5_SD_SB_S5_PS7_21rocsparse_index_base_SF_SF_SF_bbb,"axG",@progbits,_ZN9rocsparseL38csrgemm_numeric_fill_wf_per_row_kernelILj256ELj8ELj16ELj137Ell21rocsparse_complex_numIdEEEvT4_S3_PKS3_S5_NS_24const_host_device_scalarIT5_EEPKT3_S5_PKS7_SB_S5_SD_S8_SB_S5_SD_SB_S5_PS7_21rocsparse_index_base_SF_SF_SF_bbb,comdat
.Lfunc_end140:
	.size	_ZN9rocsparseL38csrgemm_numeric_fill_wf_per_row_kernelILj256ELj8ELj16ELj137Ell21rocsparse_complex_numIdEEEvT4_S3_PKS3_S5_NS_24const_host_device_scalarIT5_EEPKT3_S5_PKS7_SB_S5_SD_S8_SB_S5_SD_SB_S5_PS7_21rocsparse_index_base_SF_SF_SF_bbb, .Lfunc_end140-_ZN9rocsparseL38csrgemm_numeric_fill_wf_per_row_kernelILj256ELj8ELj16ELj137Ell21rocsparse_complex_numIdEEEvT4_S3_PKS3_S5_NS_24const_host_device_scalarIT5_EEPKT3_S5_PKS7_SB_S5_SD_S8_SB_S5_SD_SB_S5_PS7_21rocsparse_index_base_SF_SF_SF_bbb
                                        ; -- End function
	.set _ZN9rocsparseL38csrgemm_numeric_fill_wf_per_row_kernelILj256ELj8ELj16ELj137Ell21rocsparse_complex_numIdEEEvT4_S3_PKS3_S5_NS_24const_host_device_scalarIT5_EEPKT3_S5_PKS7_SB_S5_SD_S8_SB_S5_SD_SB_S5_PS7_21rocsparse_index_base_SF_SF_SF_bbb.num_vgpr, 42
	.set _ZN9rocsparseL38csrgemm_numeric_fill_wf_per_row_kernelILj256ELj8ELj16ELj137Ell21rocsparse_complex_numIdEEEvT4_S3_PKS3_S5_NS_24const_host_device_scalarIT5_EEPKT3_S5_PKS7_SB_S5_SD_S8_SB_S5_SD_SB_S5_PS7_21rocsparse_index_base_SF_SF_SF_bbb.num_agpr, 0
	.set _ZN9rocsparseL38csrgemm_numeric_fill_wf_per_row_kernelILj256ELj8ELj16ELj137Ell21rocsparse_complex_numIdEEEvT4_S3_PKS3_S5_NS_24const_host_device_scalarIT5_EEPKT3_S5_PKS7_SB_S5_SD_S8_SB_S5_SD_SB_S5_PS7_21rocsparse_index_base_SF_SF_SF_bbb.numbered_sgpr, 52
	.set _ZN9rocsparseL38csrgemm_numeric_fill_wf_per_row_kernelILj256ELj8ELj16ELj137Ell21rocsparse_complex_numIdEEEvT4_S3_PKS3_S5_NS_24const_host_device_scalarIT5_EEPKT3_S5_PKS7_SB_S5_SD_S8_SB_S5_SD_SB_S5_PS7_21rocsparse_index_base_SF_SF_SF_bbb.num_named_barrier, 0
	.set _ZN9rocsparseL38csrgemm_numeric_fill_wf_per_row_kernelILj256ELj8ELj16ELj137Ell21rocsparse_complex_numIdEEEvT4_S3_PKS3_S5_NS_24const_host_device_scalarIT5_EEPKT3_S5_PKS7_SB_S5_SD_S8_SB_S5_SD_SB_S5_PS7_21rocsparse_index_base_SF_SF_SF_bbb.private_seg_size, 24
	.set _ZN9rocsparseL38csrgemm_numeric_fill_wf_per_row_kernelILj256ELj8ELj16ELj137Ell21rocsparse_complex_numIdEEEvT4_S3_PKS3_S5_NS_24const_host_device_scalarIT5_EEPKT3_S5_PKS7_SB_S5_SD_S8_SB_S5_SD_SB_S5_PS7_21rocsparse_index_base_SF_SF_SF_bbb.uses_vcc, 1
	.set _ZN9rocsparseL38csrgemm_numeric_fill_wf_per_row_kernelILj256ELj8ELj16ELj137Ell21rocsparse_complex_numIdEEEvT4_S3_PKS3_S5_NS_24const_host_device_scalarIT5_EEPKT3_S5_PKS7_SB_S5_SD_S8_SB_S5_SD_SB_S5_PS7_21rocsparse_index_base_SF_SF_SF_bbb.uses_flat_scratch, 0
	.set _ZN9rocsparseL38csrgemm_numeric_fill_wf_per_row_kernelILj256ELj8ELj16ELj137Ell21rocsparse_complex_numIdEEEvT4_S3_PKS3_S5_NS_24const_host_device_scalarIT5_EEPKT3_S5_PKS7_SB_S5_SD_S8_SB_S5_SD_SB_S5_PS7_21rocsparse_index_base_SF_SF_SF_bbb.has_dyn_sized_stack, 0
	.set _ZN9rocsparseL38csrgemm_numeric_fill_wf_per_row_kernelILj256ELj8ELj16ELj137Ell21rocsparse_complex_numIdEEEvT4_S3_PKS3_S5_NS_24const_host_device_scalarIT5_EEPKT3_S5_PKS7_SB_S5_SD_S8_SB_S5_SD_SB_S5_PS7_21rocsparse_index_base_SF_SF_SF_bbb.has_recursion, 0
	.set _ZN9rocsparseL38csrgemm_numeric_fill_wf_per_row_kernelILj256ELj8ELj16ELj137Ell21rocsparse_complex_numIdEEEvT4_S3_PKS3_S5_NS_24const_host_device_scalarIT5_EEPKT3_S5_PKS7_SB_S5_SD_S8_SB_S5_SD_SB_S5_PS7_21rocsparse_index_base_SF_SF_SF_bbb.has_indirect_call, 0
	.section	.AMDGPU.csdata,"",@progbits
; Kernel info:
; codeLenInByte = 2328
; TotalNumSgprs: 58
; NumVgprs: 42
; NumAgprs: 0
; TotalNumVgprs: 42
; ScratchSize: 24
; MemoryBound: 0
; FloatMode: 240
; IeeeMode: 1
; LDSByteSize: 12288 bytes/workgroup (compile time only)
; SGPRBlocks: 7
; VGPRBlocks: 5
; NumSGPRsForWavesPerEU: 58
; NumVGPRsForWavesPerEU: 42
; AccumOffset: 44
; Occupancy: 8
; WaveLimiterHint : 1
; COMPUTE_PGM_RSRC2:SCRATCH_EN: 1
; COMPUTE_PGM_RSRC2:USER_SGPR: 2
; COMPUTE_PGM_RSRC2:TRAP_HANDLER: 0
; COMPUTE_PGM_RSRC2:TGID_X_EN: 1
; COMPUTE_PGM_RSRC2:TGID_Y_EN: 0
; COMPUTE_PGM_RSRC2:TGID_Z_EN: 0
; COMPUTE_PGM_RSRC2:TIDIG_COMP_CNT: 0
; COMPUTE_PGM_RSRC3_GFX90A:ACCUM_OFFSET: 10
; COMPUTE_PGM_RSRC3_GFX90A:TG_SPLIT: 0
	.section	.text._ZN9rocsparseL38csrgemm_numeric_fill_wf_per_row_kernelILj256ELj16ELj32ELj137Ell21rocsparse_complex_numIdEEEvT4_S3_PKS3_S5_NS_24const_host_device_scalarIT5_EEPKT3_S5_PKS7_SB_S5_SD_S8_SB_S5_SD_SB_S5_PS7_21rocsparse_index_base_SF_SF_SF_bbb,"axG",@progbits,_ZN9rocsparseL38csrgemm_numeric_fill_wf_per_row_kernelILj256ELj16ELj32ELj137Ell21rocsparse_complex_numIdEEEvT4_S3_PKS3_S5_NS_24const_host_device_scalarIT5_EEPKT3_S5_PKS7_SB_S5_SD_S8_SB_S5_SD_SB_S5_PS7_21rocsparse_index_base_SF_SF_SF_bbb,comdat
	.globl	_ZN9rocsparseL38csrgemm_numeric_fill_wf_per_row_kernelILj256ELj16ELj32ELj137Ell21rocsparse_complex_numIdEEEvT4_S3_PKS3_S5_NS_24const_host_device_scalarIT5_EEPKT3_S5_PKS7_SB_S5_SD_S8_SB_S5_SD_SB_S5_PS7_21rocsparse_index_base_SF_SF_SF_bbb ; -- Begin function _ZN9rocsparseL38csrgemm_numeric_fill_wf_per_row_kernelILj256ELj16ELj32ELj137Ell21rocsparse_complex_numIdEEEvT4_S3_PKS3_S5_NS_24const_host_device_scalarIT5_EEPKT3_S5_PKS7_SB_S5_SD_S8_SB_S5_SD_SB_S5_PS7_21rocsparse_index_base_SF_SF_SF_bbb
	.p2align	8
	.type	_ZN9rocsparseL38csrgemm_numeric_fill_wf_per_row_kernelILj256ELj16ELj32ELj137Ell21rocsparse_complex_numIdEEEvT4_S3_PKS3_S5_NS_24const_host_device_scalarIT5_EEPKT3_S5_PKS7_SB_S5_SD_S8_SB_S5_SD_SB_S5_PS7_21rocsparse_index_base_SF_SF_SF_bbb,@function
_ZN9rocsparseL38csrgemm_numeric_fill_wf_per_row_kernelILj256ELj16ELj32ELj137Ell21rocsparse_complex_numIdEEEvT4_S3_PKS3_S5_NS_24const_host_device_scalarIT5_EEPKT3_S5_PKS7_SB_S5_SD_S8_SB_S5_SD_SB_S5_PS7_21rocsparse_index_base_SF_SF_SF_bbb: ; @_ZN9rocsparseL38csrgemm_numeric_fill_wf_per_row_kernelILj256ELj16ELj32ELj137Ell21rocsparse_complex_numIdEEEvT4_S3_PKS3_S5_NS_24const_host_device_scalarIT5_EEPKT3_S5_PKS7_SB_S5_SD_S8_SB_S5_SD_SB_S5_PS7_21rocsparse_index_base_SF_SF_SF_bbb
; %bb.0:
	s_load_dword s3, s[0:1], 0xb0
	s_load_dwordx4 s[28:31], s[0:1], 0xa0
	s_load_dwordx4 s[8:11], s[0:1], 0x20
	s_load_dwordx4 s[24:27], s[0:1], 0x60
	v_mov_b64_e32 v[4:5], 0
	s_waitcnt lgkmcnt(0)
	s_bitcmp1_b32 s3, 0
	s_cselect_b64 s[44:45], -1, 0
	s_bitcmp1_b32 s3, 16
	s_cselect_b64 s[46:47], -1, 0
	s_xor_b64 s[4:5], s[46:47], -1
	v_mov_b64_e32 v[2:3], s[8:9]
	v_cndmask_b32_e64 v1, 0, 1, s[4:5]
	scratch_store_dwordx2 off, v[2:3], off
	v_mov_b64_e32 v[2:3], s[24:25]
	s_bitcmp0_b32 s3, 0
	v_cmp_ne_u32_e64 s[4:5], 1, v1
	v_mov_b64_e32 v[10:11], 0
	v_mov_b64_e32 v[12:13], 0
	scratch_store_dwordx2 off, v[2:3], off offset:8
	s_cbranch_scc1 .LBB141_3
; %bb.1:
	s_mov_b64 s[6:7], src_private_base
	s_and_b64 s[12:13], s[46:47], exec
	s_cselect_b32 s6, s7, s9
	s_cselect_b32 s7, 0, s8
	v_mov_b32_e32 v2, s7
	v_mov_b32_e32 v3, s6
	flat_load_dwordx2 v[10:11], v[2:3]
	s_and_b64 vcc, exec, s[4:5]
	v_mov_b64_e32 v[12:13], s[10:11]
	s_cbranch_vccnz .LBB141_3
; %bb.2:
	v_mov_b64_e32 v[2:3], s[8:9]
	flat_load_dwordx2 v[12:13], v[2:3] offset:8
.LBB141_3:
	s_load_dwordx2 s[6:7], s[0:1], 0x98
	s_load_dwordx8 s[8:15], s[0:1], 0x70
	s_load_dwordx4 s[36:39], s[0:1], 0x50
	s_load_dwordx4 s[40:43], s[0:1], 0x10
	s_load_dwordx8 s[16:23], s[0:1], 0x30
	s_bitcmp1_b32 s3, 8
	s_cselect_b64 s[34:35], -1, 0
	s_bfe_u32 s3, s3, 0x10008
	s_cmp_eq_u32 s3, 0
	v_mov_b64_e32 v[6:7], 0
	s_cbranch_scc1 .LBB141_6
; %bb.4:
	s_mov_b64 s[48:49], src_private_base
	s_and_b64 s[46:47], s[46:47], exec
	s_cselect_b32 s3, s49, s25
	s_cselect_b32 s33, 8, s24
	v_mov_b32_e32 v2, s33
	v_mov_b32_e32 v3, s3
	flat_load_dwordx2 v[6:7], v[2:3]
	s_and_b64 vcc, exec, s[4:5]
	v_mov_b64_e32 v[4:5], s[26:27]
	s_cbranch_vccnz .LBB141_6
; %bb.5:
	v_mov_b64_e32 v[2:3], s[24:25]
	flat_load_dwordx2 v[4:5], v[2:3] offset:8
.LBB141_6:
	s_load_dwordx4 s[24:27], s[0:1], 0x0
	v_and_b32_e32 v39, 15, v0
	v_lshrrev_b32_e32 v0, 4, v0
	v_lshlrev_b32_e32 v1, 4, v39
	v_lshl_or_b32 v35, v0, 9, v1
	v_lshlrev_b32_e32 v1, 8, v0
	v_lshlrev_b32_e32 v2, 3, v39
	s_movk_i32 s0, 0x2000
	v_or_b32_e32 v34, -16, v39
	v_or3_b32 v36, v1, v2, s0
	v_mov_b32_e32 v14, 0
	s_mov_b64 s[0:1], 0
	s_waitcnt lgkmcnt(0)
	v_mov_b64_e32 v[8:9], s[26:27]
	v_mov_b32_e32 v15, v14
	v_mov_b32_e32 v16, v14
	;; [unrolled: 1-line block ×6, first 2 shown]
.LBB141_7:                              ; =>This Inner Loop Header: Depth=1
	v_add_co_u32_e32 v3, vcc, 16, v3
	s_xor_b64 s[4:5], vcc, -1
	s_and_b64 s[4:5], exec, s[4:5]
	ds_write_b64 v1, v[8:9]
	ds_write_b128 v2, v[14:17]
	v_add_u32_e32 v2, 0x100, v2
	s_or_b64 s[0:1], s[4:5], s[0:1]
	v_add_u32_e32 v1, 0x80, v1
	s_andn2_b64 exec, exec, s[0:1]
	s_cbranch_execnz .LBB141_7
; %bb.8:
	s_or_b64 exec, exec, s[0:1]
	s_lshl_b32 s0, s2, 4
	s_and_b32 s0, s0, 0xffffff0
	v_or_b32_e32 v8, s0, v0
	v_mov_b32_e32 v9, 0
	v_cmp_gt_i64_e32 vcc, s[24:25], v[8:9]
	s_waitcnt lgkmcnt(0)
	s_and_saveexec_b64 s[0:1], vcc
	s_cbranch_execz .LBB141_52
; %bb.9:
	s_cmp_eq_u64 s[42:43], 0
	s_cbranch_scc1 .LBB141_11
; %bb.10:
	s_load_dwordx2 s[0:1], s[40:41], 0x0
	v_lshlrev_b32_e32 v1, 3, v8
	s_waitcnt lgkmcnt(0)
	s_lshl_b64 s[0:1], s[0:1], 3
	s_add_u32 s0, s42, s0
	s_addc_u32 s1, s43, s1
	global_load_dwordx2 v[8:9], v1, s[0:1]
.LBB141_11:
	v_mov_b32_e32 v1, 0x2000
	v_lshl_or_b32 v37, v0, 8, v1
	s_andn2_b64 vcc, exec, s[44:45]
	v_lshlrev_b32_e32 v38, 9, v0
	s_cbranch_vccnz .LBB141_31
; %bb.12:
	s_waitcnt vmcnt(0)
	v_lshl_add_u64 v[0:1], v[8:9], 3, s[16:17]
	global_load_dwordx4 v[0:3], v[0:1], off
	v_subrev_co_u32_e32 v16, vcc, s28, v39
	s_nop 1
	v_subb_co_u32_e64 v17, s[0:1], 0, 0, vcc
	s_waitcnt vmcnt(0)
	v_subrev_co_u32_e32 v14, vcc, s28, v2
	s_nop 1
	v_subbrev_co_u32_e32 v15, vcc, 0, v3, vcc
	v_lshl_add_u64 v[16:17], v[0:1], 0, v[16:17]
	v_cmp_lt_i64_e32 vcc, v[16:17], v[14:15]
	s_and_saveexec_b64 s[0:1], vcc
	s_cbranch_execz .LBB141_30
; %bb.13:
	s_mov_b64 s[2:3], 0
	s_branch .LBB141_15
.LBB141_14:                             ;   in Loop: Header=BB141_15 Depth=1
	s_or_b64 exec, exec, s[4:5]
	v_lshl_add_u64 v[16:17], v[16:17], 0, 16
	v_cmp_ge_i64_e32 vcc, v[16:17], v[14:15]
	s_or_b64 s[2:3], vcc, s[2:3]
	s_andn2_b64 exec, exec, s[2:3]
	s_cbranch_execz .LBB141_30
.LBB141_15:                             ; =>This Loop Header: Depth=1
                                        ;     Child Loop BB141_19 Depth 2
                                        ;       Child Loop BB141_22 Depth 3
	v_lshl_add_u64 v[0:1], v[16:17], 3, s[18:19]
	global_load_dwordx2 v[0:1], v[0:1], off
	s_waitcnt vmcnt(0)
	v_subrev_co_u32_e32 v0, vcc, s28, v0
	s_nop 1
	v_subbrev_co_u32_e32 v1, vcc, 0, v1, vcc
	v_lshl_add_u64 v[0:1], v[0:1], 3, s[22:23]
	global_load_dwordx4 v[0:3], v[0:1], off
	s_waitcnt vmcnt(0)
	v_cmp_lt_i64_e32 vcc, v[0:1], v[2:3]
	s_and_saveexec_b64 s[4:5], vcc
	s_cbranch_execz .LBB141_14
; %bb.16:                               ;   in Loop: Header=BB141_15 Depth=1
	v_lshl_add_u64 v[18:19], v[16:17], 4, s[20:21]
	global_load_dwordx4 v[26:29], v[18:19], off
	v_subrev_co_u32_e32 v18, vcc, s29, v2
	s_mov_b64 s[16:17], 0
	s_nop 0
	v_subbrev_co_u32_e32 v19, vcc, 0, v3, vcc
	v_subrev_co_u32_e32 v20, vcc, s29, v0
	s_waitcnt vmcnt(0)
	v_mul_f64 v[22:23], v[28:29], -v[12:13]
	v_mul_f64 v[24:25], v[10:11], v[28:29]
	v_subbrev_co_u32_e32 v21, vcc, 0, v1, vcc
	v_fmac_f64_e32 v[22:23], v[10:11], v[26:27]
	v_fmac_f64_e32 v[24:25], v[12:13], v[26:27]
	s_branch .LBB141_19
.LBB141_17:                             ;   in Loop: Header=BB141_19 Depth=2
	s_or_b64 exec, exec, s[40:41]
.LBB141_18:                             ;   in Loop: Header=BB141_19 Depth=2
	s_or_b64 exec, exec, s[24:25]
	s_waitcnt vmcnt(0)
	v_mul_f64 v[28:29], v[2:3], -v[24:25]
	v_mul_f64 v[2:3], v[22:23], v[2:3]
	v_fmac_f64_e32 v[28:29], v[22:23], v[0:1]
	v_fmac_f64_e32 v[2:3], v[24:25], v[0:1]
	v_lshl_add_u32 v0, v26, 4, v38
	ds_add_f64 v0, v[28:29]
	ds_add_f64 v0, v[2:3] offset:8
	v_lshl_add_u64 v[20:21], v[20:21], 0, 1
	v_cmp_ge_i64_e32 vcc, v[20:21], v[18:19]
	s_or_b64 s[16:17], vcc, s[16:17]
	s_andn2_b64 exec, exec, s[16:17]
	s_cbranch_execz .LBB141_14
.LBB141_19:                             ;   Parent Loop BB141_15 Depth=1
                                        ; =>  This Loop Header: Depth=2
                                        ;       Child Loop BB141_22 Depth 3
	v_lshl_add_u64 v[0:1], v[20:21], 3, s[36:37]
	global_load_dwordx2 v[26:27], v[0:1], off
	v_lshl_add_u64 v[0:1], v[20:21], 4, s[38:39]
	global_load_dwordx4 v[0:3], v[0:1], off
	s_waitcnt vmcnt(1)
	v_subrev_co_u32_e32 v28, vcc, s29, v26
	v_lshl_add_u32 v26, v28, 3, v28
	v_and_b32_e32 v26, 31, v26
	v_lshl_add_u32 v40, v26, 3, v37
	ds_read_b64 v[32:33], v40
	v_subbrev_co_u32_e32 v29, vcc, 0, v27, vcc
	s_waitcnt lgkmcnt(0)
	v_cmp_ne_u64_e32 vcc, v[32:33], v[28:29]
	s_and_saveexec_b64 s[24:25], vcc
	s_cbranch_execz .LBB141_18
; %bb.20:                               ;   in Loop: Header=BB141_19 Depth=2
	s_mov_b64 s[40:41], 0
                                        ; implicit-def: $sgpr42_sgpr43
                                        ; implicit-def: $sgpr44_sgpr45
	s_branch .LBB141_22
.LBB141_21:                             ;   in Loop: Header=BB141_22 Depth=3
	s_or_b64 exec, exec, s[50:51]
	s_and_b64 s[46:47], exec, s[48:49]
	s_or_b64 s[40:41], s[46:47], s[40:41]
	s_andn2_b64 s[42:43], s[42:43], exec
	s_and_b64 s[46:47], s[44:45], exec
	s_or_b64 s[42:43], s[42:43], s[46:47]
	s_andn2_b64 exec, exec, s[40:41]
	s_cbranch_execz .LBB141_28
.LBB141_22:                             ;   Parent Loop BB141_15 Depth=1
                                        ;     Parent Loop BB141_19 Depth=2
                                        ; =>    This Inner Loop Header: Depth=3
	v_mov_b64_e32 v[30:31], v[26:27]
	v_cmp_ne_u64_e32 vcc, s[26:27], v[32:33]
	s_mov_b64 s[46:47], 0
                                        ; implicit-def: $vgpr26_vgpr27
	s_and_saveexec_b64 s[48:49], vcc
	s_xor_b64 s[48:49], exec, s[48:49]
; %bb.23:                               ;   in Loop: Header=BB141_22 Depth=3
	v_add_u32_e32 v26, 1, v30
	s_mov_b64 s[46:47], exec
	v_and_b32_e32 v26, 31, v26
                                        ; implicit-def: $vgpr40
; %bb.24:                               ;   in Loop: Header=BB141_22 Depth=3
	s_andn2_saveexec_b64 s[48:49], s[48:49]
	s_cbranch_execz .LBB141_26
; %bb.25:                               ;   in Loop: Header=BB141_22 Depth=3
	v_mov_b64_e32 v[26:27], s[26:27]
	ds_cmpst_rtn_b64 v[26:27], v40, v[26:27], v[28:29]
	s_andn2_b64 s[46:47], s[46:47], exec
	s_waitcnt lgkmcnt(0)
	v_cmp_ne_u64_e32 vcc, s[26:27], v[26:27]
	s_and_b64 s[50:51], vcc, exec
	s_or_b64 s[46:47], s[46:47], s[50:51]
	v_mov_b64_e32 v[26:27], v[30:31]
.LBB141_26:                             ;   in Loop: Header=BB141_22 Depth=3
	s_or_b64 exec, exec, s[48:49]
	s_mov_b64 s[48:49], -1
	s_or_b64 s[44:45], s[44:45], exec
                                        ; implicit-def: $vgpr40
                                        ; implicit-def: $vgpr32_vgpr33
	s_and_saveexec_b64 s[50:51], s[46:47]
	s_cbranch_execz .LBB141_21
; %bb.27:                               ;   in Loop: Header=BB141_22 Depth=3
	v_lshl_add_u32 v40, v26, 3, v37
	ds_read_b64 v[32:33], v40
	s_andn2_b64 s[44:45], s[44:45], exec
	s_waitcnt lgkmcnt(0)
	v_cmp_eq_u64_e32 vcc, v[32:33], v[28:29]
	s_orn2_b64 s[48:49], vcc, exec
	s_branch .LBB141_21
.LBB141_28:                             ;   in Loop: Header=BB141_19 Depth=2
	s_or_b64 exec, exec, s[40:41]
	s_and_saveexec_b64 s[40:41], s[42:43]
	s_xor_b64 s[40:41], exec, s[40:41]
	s_cbranch_execz .LBB141_17
; %bb.29:                               ;   in Loop: Header=BB141_19 Depth=2
	v_mov_b32_e32 v26, v30
	s_branch .LBB141_17
.LBB141_30:
	s_or_b64 exec, exec, s[0:1]
.LBB141_31:
	s_andn2_b64 vcc, exec, s[34:35]
	s_cbranch_vccnz .LBB141_48
; %bb.32:
	s_waitcnt vmcnt(0)
	v_lshl_add_u64 v[0:1], v[8:9], 3, s[8:9]
	global_load_dwordx4 v[0:3], v[0:1], off
	v_subrev_co_u32_e32 v12, vcc, s31, v39
	s_nop 1
	v_subb_co_u32_e64 v13, s[0:1], 0, 0, vcc
	s_waitcnt vmcnt(0)
	v_subrev_co_u32_e32 v10, vcc, s31, v2
	s_nop 1
	v_subbrev_co_u32_e32 v11, vcc, 0, v3, vcc
	v_lshl_add_u64 v[12:13], v[0:1], 0, v[12:13]
	v_cmp_lt_i64_e32 vcc, v[12:13], v[10:11]
	s_and_saveexec_b64 s[0:1], vcc
	s_cbranch_execz .LBB141_47
; %bb.33:
	s_mov_b32 s28, s31
	s_mov_b64 s[2:3], 0
	s_branch .LBB141_36
.LBB141_34:                             ;   in Loop: Header=BB141_36 Depth=1
	s_or_b64 exec, exec, s[8:9]
.LBB141_35:                             ;   in Loop: Header=BB141_36 Depth=1
	s_or_b64 exec, exec, s[4:5]
	s_waitcnt vmcnt(0)
	v_mul_f64 v[16:17], v[2:3], -v[4:5]
	v_mul_f64 v[2:3], v[6:7], v[2:3]
	v_fmac_f64_e32 v[16:17], v[6:7], v[0:1]
	v_fmac_f64_e32 v[2:3], v[4:5], v[0:1]
	v_lshl_add_u32 v0, v14, 4, v38
	ds_add_f64 v0, v[16:17]
	ds_add_f64 v0, v[2:3] offset:8
	v_lshl_add_u64 v[12:13], v[12:13], 0, 16
	v_cmp_ge_i64_e32 vcc, v[12:13], v[10:11]
	s_or_b64 s[2:3], vcc, s[2:3]
	s_andn2_b64 exec, exec, s[2:3]
	s_cbranch_execz .LBB141_47
.LBB141_36:                             ; =>This Loop Header: Depth=1
                                        ;     Child Loop BB141_39 Depth 2
	v_lshl_add_u64 v[0:1], v[12:13], 3, s[10:11]
	global_load_dwordx2 v[14:15], v[0:1], off
	v_lshl_add_u64 v[0:1], v[12:13], 4, s[12:13]
	global_load_dwordx4 v[0:3], v[0:1], off
	s_waitcnt vmcnt(1)
	v_subrev_co_u32_e32 v16, vcc, s28, v14
	v_lshl_add_u32 v14, v16, 3, v16
	v_and_b32_e32 v14, 31, v14
	v_lshl_add_u32 v22, v14, 3, v37
	ds_read_b64 v[20:21], v22
	v_subbrev_co_u32_e32 v17, vcc, 0, v15, vcc
	s_waitcnt lgkmcnt(0)
	v_cmp_ne_u64_e32 vcc, v[20:21], v[16:17]
	s_and_saveexec_b64 s[4:5], vcc
	s_cbranch_execz .LBB141_35
; %bb.37:                               ;   in Loop: Header=BB141_36 Depth=1
	s_mov_b64 s[8:9], 0
                                        ; implicit-def: $sgpr16_sgpr17
                                        ; implicit-def: $sgpr18_sgpr19
	s_branch .LBB141_39
.LBB141_38:                             ;   in Loop: Header=BB141_39 Depth=2
	s_or_b64 exec, exec, s[24:25]
	s_and_b64 s[20:21], exec, s[22:23]
	s_or_b64 s[8:9], s[20:21], s[8:9]
	s_andn2_b64 s[16:17], s[16:17], exec
	s_and_b64 s[20:21], s[18:19], exec
	s_or_b64 s[16:17], s[16:17], s[20:21]
	s_andn2_b64 exec, exec, s[8:9]
	s_cbranch_execz .LBB141_45
.LBB141_39:                             ;   Parent Loop BB141_36 Depth=1
                                        ; =>  This Inner Loop Header: Depth=2
	v_mov_b64_e32 v[18:19], v[14:15]
	v_cmp_ne_u64_e32 vcc, s[26:27], v[20:21]
	s_mov_b64 s[20:21], 0
                                        ; implicit-def: $vgpr14_vgpr15
	s_and_saveexec_b64 s[22:23], vcc
	s_xor_b64 s[22:23], exec, s[22:23]
; %bb.40:                               ;   in Loop: Header=BB141_39 Depth=2
	v_add_u32_e32 v14, 1, v18
	s_mov_b64 s[20:21], exec
	v_and_b32_e32 v14, 31, v14
                                        ; implicit-def: $vgpr22
; %bb.41:                               ;   in Loop: Header=BB141_39 Depth=2
	s_andn2_saveexec_b64 s[22:23], s[22:23]
	s_cbranch_execz .LBB141_43
; %bb.42:                               ;   in Loop: Header=BB141_39 Depth=2
	v_mov_b64_e32 v[14:15], s[26:27]
	ds_cmpst_rtn_b64 v[14:15], v22, v[14:15], v[16:17]
	s_andn2_b64 s[20:21], s[20:21], exec
	s_waitcnt lgkmcnt(0)
	v_cmp_ne_u64_e32 vcc, s[26:27], v[14:15]
	s_and_b64 s[24:25], vcc, exec
	s_or_b64 s[20:21], s[20:21], s[24:25]
	v_mov_b64_e32 v[14:15], v[18:19]
.LBB141_43:                             ;   in Loop: Header=BB141_39 Depth=2
	s_or_b64 exec, exec, s[22:23]
	s_mov_b64 s[22:23], -1
	s_or_b64 s[18:19], s[18:19], exec
                                        ; implicit-def: $vgpr22
                                        ; implicit-def: $vgpr20_vgpr21
	s_and_saveexec_b64 s[24:25], s[20:21]
	s_cbranch_execz .LBB141_38
; %bb.44:                               ;   in Loop: Header=BB141_39 Depth=2
	v_lshl_add_u32 v22, v14, 3, v37
	ds_read_b64 v[20:21], v22
	s_andn2_b64 s[18:19], s[18:19], exec
	s_waitcnt lgkmcnt(0)
	v_cmp_eq_u64_e32 vcc, v[20:21], v[16:17]
	s_orn2_b64 s[22:23], vcc, exec
	s_branch .LBB141_38
.LBB141_45:                             ;   in Loop: Header=BB141_36 Depth=1
	s_or_b64 exec, exec, s[8:9]
	s_and_saveexec_b64 s[8:9], s[16:17]
	s_xor_b64 s[8:9], exec, s[8:9]
	s_cbranch_execz .LBB141_34
; %bb.46:                               ;   in Loop: Header=BB141_36 Depth=1
	v_mov_b32_e32 v14, v18
	s_branch .LBB141_34
.LBB141_47:
	s_or_b64 exec, exec, s[0:1]
.LBB141_48:
	s_waitcnt vmcnt(0)
	v_lshl_add_u64 v[0:1], v[8:9], 3, s[14:15]
	s_waitcnt lgkmcnt(0)
	global_load_dwordx2 v[0:1], v[0:1], off
	s_mov_b64 s[14:15], 0
	v_mov_b32_e32 v3, 0
	s_waitcnt vmcnt(0)
	v_subrev_co_u32_e32 v0, vcc, s30, v0
	s_nop 1
	v_subbrev_co_u32_e32 v1, vcc, 0, v1, vcc
	v_lshl_add_u64 v[0:1], v[0:1], 4, s[6:7]
	s_branch .LBB141_50
.LBB141_49:                             ;   in Loop: Header=BB141_50 Depth=1
	s_or_b64 exec, exec, s[16:17]
	v_add_co_u32_e32 v34, vcc, 16, v34
	s_xor_b64 s[0:1], vcc, -1
	s_and_b64 s[0:1], exec, s[0:1]
	v_add_u32_e32 v35, 0x100, v35
	s_or_b64 s[14:15], s[0:1], s[14:15]
	v_add_u32_e32 v36, 0x80, v36
	s_andn2_b64 exec, exec, s[14:15]
	s_cbranch_execz .LBB141_52
.LBB141_50:                             ; =>This Inner Loop Header: Depth=1
	ds_read_b64 v[4:5], v36
	s_waitcnt lgkmcnt(0)
	v_cmp_gt_i64_e32 vcc, s[26:27], v[4:5]
	s_and_saveexec_b64 s[16:17], vcc
	s_cbranch_execz .LBB141_49
; %bb.51:                               ;   in Loop: Header=BB141_50 Depth=1
	ds_read_b128 v[6:9], v37
	ds_read_b128 v[10:13], v37 offset:16
	ds_read_b128 v[14:17], v37 offset:32
	;; [unrolled: 1-line block ×3, first 2 shown]
	s_waitcnt lgkmcnt(3)
	v_cmp_gt_i64_e64 s[12:13], v[4:5], v[6:7]
	v_cmp_gt_i64_e64 s[8:9], v[4:5], v[8:9]
	s_nop 0
	v_cndmask_b32_e64 v2, 0, 1, s[12:13]
	v_lshlrev_b32_e32 v2, 4, v2
	v_lshl_add_u64 v[6:7], v[0:1], 0, v[2:3]
	v_cndmask_b32_e64 v2, 0, 1, s[8:9]
	s_waitcnt lgkmcnt(2)
	v_cmp_gt_i64_e64 s[10:11], v[4:5], v[10:11]
	v_lshlrev_b32_e32 v2, 4, v2
	v_lshl_add_u64 v[6:7], v[6:7], 0, v[2:3]
	v_cndmask_b32_e64 v2, 0, 1, s[10:11]
	v_cmp_gt_i64_e64 s[4:5], v[4:5], v[12:13]
	v_lshlrev_b32_e32 v2, 4, v2
	v_lshl_add_u64 v[6:7], v[6:7], 0, v[2:3]
	v_cndmask_b32_e64 v2, 0, 1, s[4:5]
	s_waitcnt lgkmcnt(1)
	v_cmp_gt_i64_e64 s[6:7], v[4:5], v[14:15]
	v_lshlrev_b32_e32 v2, 4, v2
	v_lshl_add_u64 v[6:7], v[6:7], 0, v[2:3]
	v_cndmask_b32_e64 v2, 0, 1, s[6:7]
	v_cmp_gt_i64_e64 s[0:1], v[4:5], v[16:17]
	v_lshlrev_b32_e32 v2, 4, v2
	v_lshl_add_u64 v[6:7], v[6:7], 0, v[2:3]
	v_cndmask_b32_e64 v2, 0, 1, s[0:1]
	s_waitcnt lgkmcnt(0)
	v_cmp_gt_i64_e64 s[2:3], v[4:5], v[18:19]
	v_lshlrev_b32_e32 v2, 4, v2
	v_lshl_add_u64 v[6:7], v[6:7], 0, v[2:3]
	v_cndmask_b32_e64 v2, 0, 1, s[2:3]
	v_cmp_gt_i64_e32 vcc, v[4:5], v[20:21]
	v_lshlrev_b32_e32 v2, 4, v2
	v_lshl_add_u64 v[6:7], v[6:7], 0, v[2:3]
	v_cndmask_b32_e64 v2, 0, 1, vcc
	ds_read_b128 v[8:11], v37 offset:64
	ds_read_b128 v[12:15], v37 offset:80
	;; [unrolled: 1-line block ×12, first 2 shown]
	v_lshlrev_b32_e32 v2, 4, v2
	s_waitcnt lgkmcnt(11)
	v_cmp_gt_i64_e32 vcc, v[4:5], v[8:9]
	v_lshl_add_u64 v[6:7], v[6:7], 0, v[2:3]
	s_nop 0
	v_cndmask_b32_e64 v2, 0, 1, vcc
	v_lshlrev_b32_e32 v2, 4, v2
	v_cmp_gt_i64_e32 vcc, v[4:5], v[10:11]
	v_lshl_add_u64 v[6:7], v[6:7], 0, v[2:3]
	s_nop 0
	v_cndmask_b32_e64 v2, 0, 1, vcc
	v_lshlrev_b32_e32 v2, 4, v2
	s_waitcnt lgkmcnt(10)
	v_cmp_gt_i64_e32 vcc, v[4:5], v[12:13]
	v_lshl_add_u64 v[6:7], v[6:7], 0, v[2:3]
	s_nop 0
	v_cndmask_b32_e64 v2, 0, 1, vcc
	v_lshlrev_b32_e32 v2, 4, v2
	v_cmp_gt_i64_e32 vcc, v[4:5], v[14:15]
	v_lshl_add_u64 v[6:7], v[6:7], 0, v[2:3]
	s_nop 0
	v_cndmask_b32_e64 v2, 0, 1, vcc
	;; [unrolled: 11-line block ×11, first 2 shown]
	v_lshlrev_b32_e32 v2, 4, v2
	s_waitcnt lgkmcnt(0)
	v_cmp_gt_i64_e32 vcc, v[4:5], v[58:59]
	v_lshl_add_u64 v[6:7], v[6:7], 0, v[2:3]
	s_nop 0
	v_cndmask_b32_e64 v2, 0, 1, vcc
	v_lshlrev_b32_e32 v2, 4, v2
	v_lshl_add_u64 v[10:11], v[6:7], 0, v[2:3]
	ds_read2_b64 v[6:9], v35 offset1:1
	v_cmp_gt_i64_e32 vcc, v[4:5], v[60:61]
	s_nop 1
	v_cndmask_b32_e64 v2, 0, 1, vcc
	v_lshlrev_b32_e32 v2, 4, v2
	v_lshl_add_u64 v[4:5], v[10:11], 0, v[2:3]
	s_waitcnt lgkmcnt(0)
	global_store_dwordx4 v[4:5], v[6:9], off
	s_branch .LBB141_49
.LBB141_52:
	s_endpgm
	.section	.rodata,"a",@progbits
	.p2align	6, 0x0
	.amdhsa_kernel _ZN9rocsparseL38csrgemm_numeric_fill_wf_per_row_kernelILj256ELj16ELj32ELj137Ell21rocsparse_complex_numIdEEEvT4_S3_PKS3_S5_NS_24const_host_device_scalarIT5_EEPKT3_S5_PKS7_SB_S5_SD_S8_SB_S5_SD_SB_S5_PS7_21rocsparse_index_base_SF_SF_SF_bbb
		.amdhsa_group_segment_fixed_size 12288
		.amdhsa_private_segment_fixed_size 24
		.amdhsa_kernarg_size 180
		.amdhsa_user_sgpr_count 2
		.amdhsa_user_sgpr_dispatch_ptr 0
		.amdhsa_user_sgpr_queue_ptr 0
		.amdhsa_user_sgpr_kernarg_segment_ptr 1
		.amdhsa_user_sgpr_dispatch_id 0
		.amdhsa_user_sgpr_kernarg_preload_length 0
		.amdhsa_user_sgpr_kernarg_preload_offset 0
		.amdhsa_user_sgpr_private_segment_size 0
		.amdhsa_uses_dynamic_stack 0
		.amdhsa_enable_private_segment 1
		.amdhsa_system_sgpr_workgroup_id_x 1
		.amdhsa_system_sgpr_workgroup_id_y 0
		.amdhsa_system_sgpr_workgroup_id_z 0
		.amdhsa_system_sgpr_workgroup_info 0
		.amdhsa_system_vgpr_workitem_id 0
		.amdhsa_next_free_vgpr 62
		.amdhsa_next_free_sgpr 52
		.amdhsa_accum_offset 64
		.amdhsa_reserve_vcc 1
		.amdhsa_float_round_mode_32 0
		.amdhsa_float_round_mode_16_64 0
		.amdhsa_float_denorm_mode_32 3
		.amdhsa_float_denorm_mode_16_64 3
		.amdhsa_dx10_clamp 1
		.amdhsa_ieee_mode 1
		.amdhsa_fp16_overflow 0
		.amdhsa_tg_split 0
		.amdhsa_exception_fp_ieee_invalid_op 0
		.amdhsa_exception_fp_denorm_src 0
		.amdhsa_exception_fp_ieee_div_zero 0
		.amdhsa_exception_fp_ieee_overflow 0
		.amdhsa_exception_fp_ieee_underflow 0
		.amdhsa_exception_fp_ieee_inexact 0
		.amdhsa_exception_int_div_zero 0
	.end_amdhsa_kernel
	.section	.text._ZN9rocsparseL38csrgemm_numeric_fill_wf_per_row_kernelILj256ELj16ELj32ELj137Ell21rocsparse_complex_numIdEEEvT4_S3_PKS3_S5_NS_24const_host_device_scalarIT5_EEPKT3_S5_PKS7_SB_S5_SD_S8_SB_S5_SD_SB_S5_PS7_21rocsparse_index_base_SF_SF_SF_bbb,"axG",@progbits,_ZN9rocsparseL38csrgemm_numeric_fill_wf_per_row_kernelILj256ELj16ELj32ELj137Ell21rocsparse_complex_numIdEEEvT4_S3_PKS3_S5_NS_24const_host_device_scalarIT5_EEPKT3_S5_PKS7_SB_S5_SD_S8_SB_S5_SD_SB_S5_PS7_21rocsparse_index_base_SF_SF_SF_bbb,comdat
.Lfunc_end141:
	.size	_ZN9rocsparseL38csrgemm_numeric_fill_wf_per_row_kernelILj256ELj16ELj32ELj137Ell21rocsparse_complex_numIdEEEvT4_S3_PKS3_S5_NS_24const_host_device_scalarIT5_EEPKT3_S5_PKS7_SB_S5_SD_S8_SB_S5_SD_SB_S5_PS7_21rocsparse_index_base_SF_SF_SF_bbb, .Lfunc_end141-_ZN9rocsparseL38csrgemm_numeric_fill_wf_per_row_kernelILj256ELj16ELj32ELj137Ell21rocsparse_complex_numIdEEEvT4_S3_PKS3_S5_NS_24const_host_device_scalarIT5_EEPKT3_S5_PKS7_SB_S5_SD_S8_SB_S5_SD_SB_S5_PS7_21rocsparse_index_base_SF_SF_SF_bbb
                                        ; -- End function
	.set _ZN9rocsparseL38csrgemm_numeric_fill_wf_per_row_kernelILj256ELj16ELj32ELj137Ell21rocsparse_complex_numIdEEEvT4_S3_PKS3_S5_NS_24const_host_device_scalarIT5_EEPKT3_S5_PKS7_SB_S5_SD_S8_SB_S5_SD_SB_S5_PS7_21rocsparse_index_base_SF_SF_SF_bbb.num_vgpr, 62
	.set _ZN9rocsparseL38csrgemm_numeric_fill_wf_per_row_kernelILj256ELj16ELj32ELj137Ell21rocsparse_complex_numIdEEEvT4_S3_PKS3_S5_NS_24const_host_device_scalarIT5_EEPKT3_S5_PKS7_SB_S5_SD_S8_SB_S5_SD_SB_S5_PS7_21rocsparse_index_base_SF_SF_SF_bbb.num_agpr, 0
	.set _ZN9rocsparseL38csrgemm_numeric_fill_wf_per_row_kernelILj256ELj16ELj32ELj137Ell21rocsparse_complex_numIdEEEvT4_S3_PKS3_S5_NS_24const_host_device_scalarIT5_EEPKT3_S5_PKS7_SB_S5_SD_S8_SB_S5_SD_SB_S5_PS7_21rocsparse_index_base_SF_SF_SF_bbb.numbered_sgpr, 52
	.set _ZN9rocsparseL38csrgemm_numeric_fill_wf_per_row_kernelILj256ELj16ELj32ELj137Ell21rocsparse_complex_numIdEEEvT4_S3_PKS3_S5_NS_24const_host_device_scalarIT5_EEPKT3_S5_PKS7_SB_S5_SD_S8_SB_S5_SD_SB_S5_PS7_21rocsparse_index_base_SF_SF_SF_bbb.num_named_barrier, 0
	.set _ZN9rocsparseL38csrgemm_numeric_fill_wf_per_row_kernelILj256ELj16ELj32ELj137Ell21rocsparse_complex_numIdEEEvT4_S3_PKS3_S5_NS_24const_host_device_scalarIT5_EEPKT3_S5_PKS7_SB_S5_SD_S8_SB_S5_SD_SB_S5_PS7_21rocsparse_index_base_SF_SF_SF_bbb.private_seg_size, 24
	.set _ZN9rocsparseL38csrgemm_numeric_fill_wf_per_row_kernelILj256ELj16ELj32ELj137Ell21rocsparse_complex_numIdEEEvT4_S3_PKS3_S5_NS_24const_host_device_scalarIT5_EEPKT3_S5_PKS7_SB_S5_SD_S8_SB_S5_SD_SB_S5_PS7_21rocsparse_index_base_SF_SF_SF_bbb.uses_vcc, 1
	.set _ZN9rocsparseL38csrgemm_numeric_fill_wf_per_row_kernelILj256ELj16ELj32ELj137Ell21rocsparse_complex_numIdEEEvT4_S3_PKS3_S5_NS_24const_host_device_scalarIT5_EEPKT3_S5_PKS7_SB_S5_SD_S8_SB_S5_SD_SB_S5_PS7_21rocsparse_index_base_SF_SF_SF_bbb.uses_flat_scratch, 0
	.set _ZN9rocsparseL38csrgemm_numeric_fill_wf_per_row_kernelILj256ELj16ELj32ELj137Ell21rocsparse_complex_numIdEEEvT4_S3_PKS3_S5_NS_24const_host_device_scalarIT5_EEPKT3_S5_PKS7_SB_S5_SD_S8_SB_S5_SD_SB_S5_PS7_21rocsparse_index_base_SF_SF_SF_bbb.has_dyn_sized_stack, 0
	.set _ZN9rocsparseL38csrgemm_numeric_fill_wf_per_row_kernelILj256ELj16ELj32ELj137Ell21rocsparse_complex_numIdEEEvT4_S3_PKS3_S5_NS_24const_host_device_scalarIT5_EEPKT3_S5_PKS7_SB_S5_SD_S8_SB_S5_SD_SB_S5_PS7_21rocsparse_index_base_SF_SF_SF_bbb.has_recursion, 0
	.set _ZN9rocsparseL38csrgemm_numeric_fill_wf_per_row_kernelILj256ELj16ELj32ELj137Ell21rocsparse_complex_numIdEEEvT4_S3_PKS3_S5_NS_24const_host_device_scalarIT5_EEPKT3_S5_PKS7_SB_S5_SD_S8_SB_S5_SD_SB_S5_PS7_21rocsparse_index_base_SF_SF_SF_bbb.has_indirect_call, 0
	.section	.AMDGPU.csdata,"",@progbits
; Kernel info:
; codeLenInByte = 2880
; TotalNumSgprs: 58
; NumVgprs: 62
; NumAgprs: 0
; TotalNumVgprs: 62
; ScratchSize: 24
; MemoryBound: 0
; FloatMode: 240
; IeeeMode: 1
; LDSByteSize: 12288 bytes/workgroup (compile time only)
; SGPRBlocks: 7
; VGPRBlocks: 7
; NumSGPRsForWavesPerEU: 58
; NumVGPRsForWavesPerEU: 62
; AccumOffset: 64
; Occupancy: 8
; WaveLimiterHint : 1
; COMPUTE_PGM_RSRC2:SCRATCH_EN: 1
; COMPUTE_PGM_RSRC2:USER_SGPR: 2
; COMPUTE_PGM_RSRC2:TRAP_HANDLER: 0
; COMPUTE_PGM_RSRC2:TGID_X_EN: 1
; COMPUTE_PGM_RSRC2:TGID_Y_EN: 0
; COMPUTE_PGM_RSRC2:TGID_Z_EN: 0
; COMPUTE_PGM_RSRC2:TIDIG_COMP_CNT: 0
; COMPUTE_PGM_RSRC3_GFX90A:ACCUM_OFFSET: 15
; COMPUTE_PGM_RSRC3_GFX90A:TG_SPLIT: 0
	.section	.text._ZN9rocsparseL41csrgemm_numeric_fill_block_per_row_kernelILj128ELj16ELj256ELj137ELj32Ell21rocsparse_complex_numIdEEEvT5_PKS3_S5_NS_24const_host_device_scalarIT6_EEPKT4_S5_PKS7_SB_S5_SD_S8_SB_S5_SD_SB_S5_PS7_21rocsparse_index_base_SF_SF_SF_bbb,"axG",@progbits,_ZN9rocsparseL41csrgemm_numeric_fill_block_per_row_kernelILj128ELj16ELj256ELj137ELj32Ell21rocsparse_complex_numIdEEEvT5_PKS3_S5_NS_24const_host_device_scalarIT6_EEPKT4_S5_PKS7_SB_S5_SD_S8_SB_S5_SD_SB_S5_PS7_21rocsparse_index_base_SF_SF_SF_bbb,comdat
	.globl	_ZN9rocsparseL41csrgemm_numeric_fill_block_per_row_kernelILj128ELj16ELj256ELj137ELj32Ell21rocsparse_complex_numIdEEEvT5_PKS3_S5_NS_24const_host_device_scalarIT6_EEPKT4_S5_PKS7_SB_S5_SD_S8_SB_S5_SD_SB_S5_PS7_21rocsparse_index_base_SF_SF_SF_bbb ; -- Begin function _ZN9rocsparseL41csrgemm_numeric_fill_block_per_row_kernelILj128ELj16ELj256ELj137ELj32Ell21rocsparse_complex_numIdEEEvT5_PKS3_S5_NS_24const_host_device_scalarIT6_EEPKT4_S5_PKS7_SB_S5_SD_S8_SB_S5_SD_SB_S5_PS7_21rocsparse_index_base_SF_SF_SF_bbb
	.p2align	8
	.type	_ZN9rocsparseL41csrgemm_numeric_fill_block_per_row_kernelILj128ELj16ELj256ELj137ELj32Ell21rocsparse_complex_numIdEEEvT5_PKS3_S5_NS_24const_host_device_scalarIT6_EEPKT4_S5_PKS7_SB_S5_SD_S8_SB_S5_SD_SB_S5_PS7_21rocsparse_index_base_SF_SF_SF_bbb,@function
_ZN9rocsparseL41csrgemm_numeric_fill_block_per_row_kernelILj128ELj16ELj256ELj137ELj32Ell21rocsparse_complex_numIdEEEvT5_PKS3_S5_NS_24const_host_device_scalarIT6_EEPKT4_S5_PKS7_SB_S5_SD_S8_SB_S5_SD_SB_S5_PS7_21rocsparse_index_base_SF_SF_SF_bbb: ; @_ZN9rocsparseL41csrgemm_numeric_fill_block_per_row_kernelILj128ELj16ELj256ELj137ELj32Ell21rocsparse_complex_numIdEEEvT5_PKS3_S5_NS_24const_host_device_scalarIT6_EEPKT4_S5_PKS7_SB_S5_SD_S8_SB_S5_SD_SB_S5_PS7_21rocsparse_index_base_SF_SF_SF_bbb
; %bb.0:
	s_load_dword s3, s[0:1], 0xa8
	s_load_dwordx4 s[12:15], s[0:1], 0x18
	s_load_dwordx4 s[8:11], s[0:1], 0x58
	v_mov_b64_e32 v[6:7], 0
	v_mov_b64_e32 v[10:11], 0
	s_waitcnt lgkmcnt(0)
	s_bitcmp1_b32 s3, 0
	s_cselect_b64 s[38:39], -1, 0
	s_bitcmp1_b32 s3, 16
	s_cselect_b64 s[6:7], -1, 0
	s_xor_b64 s[4:5], s[6:7], -1
	v_mov_b64_e32 v[2:3], s[12:13]
	v_cndmask_b32_e64 v1, 0, 1, s[4:5]
	scratch_store_dwordx2 off, v[2:3], off offset:16
	v_mov_b64_e32 v[2:3], s[8:9]
	s_bitcmp0_b32 s3, 0
	v_cmp_ne_u32_e64 s[4:5], 1, v1
	v_mov_b64_e32 v[12:13], 0
	scratch_store_dwordx2 off, v[2:3], off offset:24
	s_cbranch_scc1 .LBB142_3
; %bb.1:
	s_mov_b64 s[16:17], src_private_base
	s_and_b64 s[18:19], s[6:7], exec
	s_cselect_b32 s16, s17, s13
	s_cselect_b32 s17, 16, s12
	v_mov_b32_e32 v2, s17
	v_mov_b32_e32 v3, s16
	flat_load_dwordx2 v[10:11], v[2:3]
	s_and_b64 vcc, exec, s[4:5]
	v_mov_b64_e32 v[12:13], s[14:15]
	s_cbranch_vccnz .LBB142_3
; %bb.2:
	v_mov_b64_e32 v[2:3], s[12:13]
	flat_load_dwordx2 v[12:13], v[2:3] offset:8
.LBB142_3:
	s_load_dwordx4 s[20:23], s[0:1], 0x98
	s_bitcmp1_b32 s3, 8
	s_cselect_b64 s[36:37], -1, 0
	s_bfe_u32 s3, s3, 0x10008
	s_cmp_eq_u32 s3, 0
	v_mov_b64_e32 v[8:9], 0
	s_cbranch_scc1 .LBB142_6
; %bb.4:
	s_mov_b64 s[12:13], src_private_base
	s_and_b64 s[6:7], s[6:7], exec
	s_cselect_b32 s3, s13, s9
	s_cselect_b32 s6, 24, s8
	v_mov_b32_e32 v2, s6
	v_mov_b32_e32 v3, s3
	flat_load_dwordx2 v[8:9], v[2:3]
	s_and_b64 vcc, exec, s[4:5]
	v_mov_b64_e32 v[6:7], s[10:11]
	s_cbranch_vccnz .LBB142_6
; %bb.5:
	v_mov_b64_e32 v[2:3], s[8:9]
	flat_load_dwordx2 v[6:7], v[2:3] offset:8
.LBB142_6:
	s_load_dwordx2 s[34:35], s[0:1], 0x90
	s_load_dwordx8 s[4:11], s[0:1], 0x68
	s_load_dwordx4 s[28:31], s[0:1], 0x48
	s_load_dwordx4 s[24:27], s[0:1], 0x0
	s_load_dwordx2 s[40:41], s[0:1], 0x10
	s_load_dwordx8 s[12:19], s[0:1], 0x28
	s_movk_i32 s0, 0x100
	v_cmp_gt_u32_e64 s[0:1], s0, v0
	v_lshl_add_u32 v34, v0, 4, 0
	v_lshl_add_u32 v1, v0, 3, 0
	s_and_saveexec_b64 s[42:43], s[0:1]
	s_cbranch_execz .LBB142_9
; %bb.7:
	s_mov_b32 s46, 0
	s_mov_b32 s47, s46
	;; [unrolled: 1-line block ×4, first 2 shown]
	v_add_u32_e32 v14, 0x800, v34
	v_or_b32_e32 v15, 0xffffff80, v0
	v_lshl_add_u32 v16, v0, 3, 0
	s_mov_b64 s[44:45], 0
	s_waitcnt lgkmcnt(0)
	v_mov_b64_e32 v[18:19], s[24:25]
	v_mov_b64_e32 v[2:3], s[46:47]
	v_mov_b64_e32 v[4:5], s[48:49]
.LBB142_8:                              ; =>This Inner Loop Header: Depth=1
	v_add_co_u32_e32 v15, vcc, 0x80, v15
	s_xor_b64 s[46:47], vcc, -1
	s_and_b64 s[46:47], exec, s[46:47]
	ds_write_b64 v16, v[18:19]
	ds_write2_b64 v14, v[2:3], v[4:5] offset1:1
	v_add_u32_e32 v14, 0x800, v14
	s_or_b64 s[44:45], s[46:47], s[44:45]
	v_add_u32_e32 v16, 0x400, v16
	s_andn2_b64 exec, exec, s[44:45]
	s_cbranch_execnz .LBB142_8
.LBB142_9:
	s_or_b64 exec, exec, s[42:43]
	s_waitcnt lgkmcnt(0)
	s_barrier
	s_load_dwordx2 s[26:27], s[26:27], 0x0
	s_mov_b32 s3, 0
	s_waitcnt lgkmcnt(0)
	s_lshl_b64 s[26:27], s[26:27], 3
	s_add_u32 s26, s40, s26
	s_addc_u32 s27, s41, s27
	s_lshl_b64 s[2:3], s[2:3], 3
	s_add_u32 s2, s26, s2
	s_addc_u32 s3, s27, s3
	s_load_dwordx2 s[26:27], s[2:3], 0x0
	s_and_b64 vcc, exec, s[38:39]
	s_cbranch_vccz .LBB142_29
; %bb.10:
	s_waitcnt lgkmcnt(0)
	s_lshl_b64 s[2:3], s[26:27], 3
	s_add_u32 s2, s12, s2
	s_addc_u32 s3, s13, s3
	s_load_dwordx4 s[40:43], s[2:3], 0x0
	v_lshrrev_b32_e32 v2, 4, v0
	v_subrev_co_u32_e32 v2, vcc, s20, v2
	s_waitcnt lgkmcnt(0)
	s_sub_u32 s2, s42, s20
	v_subb_co_u32_e64 v3, s[12:13], 0, 0, vcc
	s_subb_u32 s3, s43, 0
	v_lshl_add_u64 v[14:15], s[40:41], 0, v[2:3]
	v_cmp_gt_i64_e32 vcc, s[2:3], v[14:15]
	s_and_saveexec_b64 s[12:13], vcc
	s_cbranch_execz .LBB142_28
; %bb.11:
	v_and_b32_e32 v2, 15, v0
	v_subrev_co_u32_e32 v16, vcc, s21, v2
	s_mov_b32 s33, s21
	s_nop 0
	v_subb_co_u32_e64 v17, s[38:39], 0, 0, vcc
	s_mov_b64 s[38:39], 0
	s_movk_i32 s21, 0x89
	s_branch .LBB142_13
.LBB142_12:                             ;   in Loop: Header=BB142_13 Depth=1
	s_or_b64 exec, exec, s[40:41]
	v_lshl_add_u64 v[14:15], v[14:15], 0, 8
	v_cmp_le_i64_e32 vcc, s[2:3], v[14:15]
	s_or_b64 s[38:39], vcc, s[38:39]
	s_andn2_b64 exec, exec, s[38:39]
	s_cbranch_execz .LBB142_28
.LBB142_13:                             ; =>This Loop Header: Depth=1
                                        ;     Child Loop BB142_17 Depth 2
                                        ;       Child Loop BB142_20 Depth 3
	v_lshl_add_u64 v[2:3], v[14:15], 3, s[14:15]
	global_load_dwordx2 v[2:3], v[2:3], off
	s_waitcnt vmcnt(0)
	v_subrev_co_u32_e32 v2, vcc, s20, v2
	s_nop 1
	v_subbrev_co_u32_e32 v3, vcc, 0, v3, vcc
	v_lshl_add_u64 v[2:3], v[2:3], 3, s[18:19]
	global_load_dwordx4 v[2:5], v[2:3], off
	s_waitcnt vmcnt(0)
	v_subrev_co_u32_e32 v18, vcc, s33, v4
	s_nop 1
	v_subbrev_co_u32_e32 v19, vcc, 0, v5, vcc
	v_lshl_add_u64 v[20:21], v[2:3], 0, v[16:17]
	v_cmp_lt_i64_e32 vcc, v[20:21], v[18:19]
	s_and_saveexec_b64 s[40:41], vcc
	s_cbranch_execz .LBB142_12
; %bb.14:                               ;   in Loop: Header=BB142_13 Depth=1
	v_lshl_add_u64 v[2:3], v[14:15], 4, s[16:17]
	global_load_dwordx4 v[2:5], v[2:3], off
	s_mov_b64 s[42:43], 0
	s_waitcnt vmcnt(0)
	v_mul_f64 v[22:23], v[4:5], -v[12:13]
	v_mul_f64 v[24:25], v[10:11], v[4:5]
	v_fmac_f64_e32 v[22:23], v[10:11], v[2:3]
	v_fmac_f64_e32 v[24:25], v[12:13], v[2:3]
	s_branch .LBB142_17
.LBB142_15:                             ;   in Loop: Header=BB142_17 Depth=2
	s_or_b64 exec, exec, s[46:47]
.LBB142_16:                             ;   in Loop: Header=BB142_17 Depth=2
	s_or_b64 exec, exec, s[44:45]
	s_waitcnt vmcnt(0)
	v_mul_f64 v[28:29], v[4:5], -v[24:25]
	v_mul_f64 v[4:5], v[22:23], v[4:5]
	v_fmac_f64_e32 v[28:29], v[22:23], v[2:3]
	v_fmac_f64_e32 v[4:5], v[24:25], v[2:3]
	v_lshl_add_u32 v2, v26, 4, 0
	ds_add_f64 v2, v[28:29] offset:2048
	ds_add_f64 v2, v[4:5] offset:2056
	v_lshl_add_u64 v[20:21], v[20:21], 0, 16
	v_cmp_ge_i64_e32 vcc, v[20:21], v[18:19]
	s_or_b64 s[42:43], vcc, s[42:43]
	s_andn2_b64 exec, exec, s[42:43]
	s_cbranch_execz .LBB142_12
.LBB142_17:                             ;   Parent Loop BB142_13 Depth=1
                                        ; =>  This Loop Header: Depth=2
                                        ;       Child Loop BB142_20 Depth 3
	v_lshl_add_u64 v[2:3], v[20:21], 3, s[28:29]
	global_load_dwordx2 v[26:27], v[2:3], off
	v_lshl_add_u64 v[2:3], v[20:21], 4, s[30:31]
	global_load_dwordx4 v[2:5], v[2:3], off
	s_waitcnt vmcnt(1)
	v_subrev_co_u32_e32 v28, vcc, s33, v26
	v_mul_lo_u32 v26, v28, s21
	v_and_b32_e32 v26, 0xff, v26
	v_lshl_add_u32 v35, v26, 3, 0
	ds_read_b64 v[32:33], v35
	v_subbrev_co_u32_e32 v29, vcc, 0, v27, vcc
	s_waitcnt lgkmcnt(0)
	v_cmp_ne_u64_e32 vcc, v[32:33], v[28:29]
	s_and_saveexec_b64 s[44:45], vcc
	s_cbranch_execz .LBB142_16
; %bb.18:                               ;   in Loop: Header=BB142_17 Depth=2
	s_mov_b64 s[46:47], 0
                                        ; implicit-def: $sgpr48_sgpr49
                                        ; implicit-def: $sgpr50_sgpr51
	s_branch .LBB142_20
.LBB142_19:                             ;   in Loop: Header=BB142_20 Depth=3
	s_or_b64 exec, exec, s[56:57]
	s_and_b64 s[52:53], exec, s[54:55]
	s_or_b64 s[46:47], s[52:53], s[46:47]
	s_andn2_b64 s[48:49], s[48:49], exec
	s_and_b64 s[52:53], s[50:51], exec
	s_or_b64 s[48:49], s[48:49], s[52:53]
	s_andn2_b64 exec, exec, s[46:47]
	s_cbranch_execz .LBB142_26
.LBB142_20:                             ;   Parent Loop BB142_13 Depth=1
                                        ;     Parent Loop BB142_17 Depth=2
                                        ; =>    This Inner Loop Header: Depth=3
	v_mov_b64_e32 v[30:31], v[26:27]
	v_cmp_ne_u64_e32 vcc, s[24:25], v[32:33]
	s_mov_b64 s[52:53], 0
                                        ; implicit-def: $vgpr26_vgpr27
	s_and_saveexec_b64 s[54:55], vcc
	s_xor_b64 s[54:55], exec, s[54:55]
; %bb.21:                               ;   in Loop: Header=BB142_20 Depth=3
	v_add_u32_e32 v26, 1, v30
	s_mov_b64 s[52:53], exec
	v_and_b32_e32 v26, 0xff, v26
                                        ; implicit-def: $vgpr35
; %bb.22:                               ;   in Loop: Header=BB142_20 Depth=3
	s_andn2_saveexec_b64 s[54:55], s[54:55]
	s_cbranch_execz .LBB142_24
; %bb.23:                               ;   in Loop: Header=BB142_20 Depth=3
	v_mov_b64_e32 v[26:27], s[24:25]
	ds_cmpst_rtn_b64 v[26:27], v35, v[26:27], v[28:29]
	s_andn2_b64 s[52:53], s[52:53], exec
	s_waitcnt lgkmcnt(0)
	v_cmp_ne_u64_e32 vcc, s[24:25], v[26:27]
	s_and_b64 s[56:57], vcc, exec
	s_or_b64 s[52:53], s[52:53], s[56:57]
	v_mov_b64_e32 v[26:27], v[30:31]
.LBB142_24:                             ;   in Loop: Header=BB142_20 Depth=3
	s_or_b64 exec, exec, s[54:55]
	s_mov_b64 s[54:55], -1
	s_or_b64 s[50:51], s[50:51], exec
                                        ; implicit-def: $vgpr35
                                        ; implicit-def: $vgpr32_vgpr33
	s_and_saveexec_b64 s[56:57], s[52:53]
	s_cbranch_execz .LBB142_19
; %bb.25:                               ;   in Loop: Header=BB142_20 Depth=3
	v_lshl_add_u32 v35, v26, 3, 0
	ds_read_b64 v[32:33], v35
	s_andn2_b64 s[50:51], s[50:51], exec
	s_waitcnt lgkmcnt(0)
	v_cmp_eq_u64_e32 vcc, v[32:33], v[28:29]
	s_orn2_b64 s[54:55], vcc, exec
	s_branch .LBB142_19
.LBB142_26:                             ;   in Loop: Header=BB142_17 Depth=2
	s_or_b64 exec, exec, s[46:47]
	s_and_saveexec_b64 s[46:47], s[48:49]
	s_xor_b64 s[46:47], exec, s[46:47]
	s_cbranch_execz .LBB142_15
; %bb.27:                               ;   in Loop: Header=BB142_17 Depth=2
	v_mov_b32_e32 v26, v30
	s_branch .LBB142_15
.LBB142_28:
	s_or_b64 exec, exec, s[12:13]
.LBB142_29:
	s_andn2_b64 vcc, exec, s[36:37]
	s_cbranch_vccnz .LBB142_46
; %bb.30:
	s_waitcnt lgkmcnt(0)
	s_lshl_b64 s[2:3], s[26:27], 3
	s_add_u32 s2, s4, s2
	s_addc_u32 s3, s5, s3
	s_load_dwordx4 s[12:15], s[2:3], 0x0
	v_subrev_co_u32_e32 v2, vcc, s23, v0
	s_waitcnt lgkmcnt(0)
	s_sub_u32 s2, s14, s23
	v_subb_co_u32_e64 v3, s[4:5], 0, 0, vcc
	s_subb_u32 s3, s15, 0
	s_waitcnt vmcnt(0)
	v_lshl_add_u64 v[10:11], s[12:13], 0, v[2:3]
	v_cmp_gt_i64_e32 vcc, s[2:3], v[10:11]
	s_and_saveexec_b64 s[4:5], vcc
	s_cbranch_execz .LBB142_45
; %bb.31:
	s_mov_b32 s33, s23
	s_mov_b64 s[12:13], 0
	s_movk_i32 s23, 0x89
	s_mov_b64 s[14:15], 0x80
	s_branch .LBB142_34
.LBB142_32:                             ;   in Loop: Header=BB142_34 Depth=1
	s_or_b64 exec, exec, s[18:19]
.LBB142_33:                             ;   in Loop: Header=BB142_34 Depth=1
	s_or_b64 exec, exec, s[16:17]
	s_waitcnt vmcnt(0)
	v_mul_f64 v[14:15], v[4:5], -v[6:7]
	v_mul_f64 v[4:5], v[8:9], v[4:5]
	v_fmac_f64_e32 v[14:15], v[8:9], v[2:3]
	v_fmac_f64_e32 v[4:5], v[6:7], v[2:3]
	v_lshl_add_u32 v2, v12, 4, 0
	ds_add_f64 v2, v[14:15] offset:2048
	ds_add_f64 v2, v[4:5] offset:2056
	v_lshl_add_u64 v[10:11], v[10:11], 0, s[14:15]
	v_cmp_le_i64_e32 vcc, s[2:3], v[10:11]
	s_or_b64 s[12:13], vcc, s[12:13]
	s_andn2_b64 exec, exec, s[12:13]
	s_cbranch_execz .LBB142_45
.LBB142_34:                             ; =>This Loop Header: Depth=1
                                        ;     Child Loop BB142_37 Depth 2
	v_lshl_add_u64 v[2:3], v[10:11], 3, s[6:7]
	global_load_dwordx2 v[12:13], v[2:3], off
	v_lshl_add_u64 v[2:3], v[10:11], 4, s[8:9]
	global_load_dwordx4 v[2:5], v[2:3], off
	s_waitcnt vmcnt(1)
	v_subrev_co_u32_e32 v14, vcc, s33, v12
	v_mul_lo_u32 v12, v14, s23
	v_and_b32_e32 v12, 0xff, v12
	v_lshl_add_u32 v20, v12, 3, 0
	ds_read_b64 v[18:19], v20
	v_subbrev_co_u32_e32 v15, vcc, 0, v13, vcc
	s_waitcnt lgkmcnt(0)
	v_cmp_ne_u64_e32 vcc, v[18:19], v[14:15]
	s_and_saveexec_b64 s[16:17], vcc
	s_cbranch_execz .LBB142_33
; %bb.35:                               ;   in Loop: Header=BB142_34 Depth=1
	s_mov_b64 s[18:19], 0
                                        ; implicit-def: $sgpr20_sgpr21
                                        ; implicit-def: $sgpr28_sgpr29
	s_branch .LBB142_37
.LBB142_36:                             ;   in Loop: Header=BB142_37 Depth=2
	s_or_b64 exec, exec, s[38:39]
	s_and_b64 s[30:31], exec, s[36:37]
	s_or_b64 s[18:19], s[30:31], s[18:19]
	s_andn2_b64 s[20:21], s[20:21], exec
	s_and_b64 s[30:31], s[28:29], exec
	s_or_b64 s[20:21], s[20:21], s[30:31]
	s_andn2_b64 exec, exec, s[18:19]
	s_cbranch_execz .LBB142_43
.LBB142_37:                             ;   Parent Loop BB142_34 Depth=1
                                        ; =>  This Inner Loop Header: Depth=2
	v_mov_b64_e32 v[16:17], v[12:13]
	v_cmp_ne_u64_e32 vcc, s[24:25], v[18:19]
	s_mov_b64 s[30:31], 0
                                        ; implicit-def: $vgpr12_vgpr13
	s_and_saveexec_b64 s[36:37], vcc
	s_xor_b64 s[36:37], exec, s[36:37]
; %bb.38:                               ;   in Loop: Header=BB142_37 Depth=2
	v_add_u32_e32 v12, 1, v16
	s_mov_b64 s[30:31], exec
	v_and_b32_e32 v12, 0xff, v12
                                        ; implicit-def: $vgpr20
; %bb.39:                               ;   in Loop: Header=BB142_37 Depth=2
	s_andn2_saveexec_b64 s[36:37], s[36:37]
	s_cbranch_execz .LBB142_41
; %bb.40:                               ;   in Loop: Header=BB142_37 Depth=2
	v_mov_b64_e32 v[12:13], s[24:25]
	ds_cmpst_rtn_b64 v[12:13], v20, v[12:13], v[14:15]
	s_andn2_b64 s[30:31], s[30:31], exec
	s_waitcnt lgkmcnt(0)
	v_cmp_ne_u64_e32 vcc, s[24:25], v[12:13]
	s_and_b64 s[38:39], vcc, exec
	s_or_b64 s[30:31], s[30:31], s[38:39]
	v_mov_b64_e32 v[12:13], v[16:17]
.LBB142_41:                             ;   in Loop: Header=BB142_37 Depth=2
	s_or_b64 exec, exec, s[36:37]
	s_mov_b64 s[36:37], -1
	s_or_b64 s[28:29], s[28:29], exec
                                        ; implicit-def: $vgpr20
                                        ; implicit-def: $vgpr18_vgpr19
	s_and_saveexec_b64 s[38:39], s[30:31]
	s_cbranch_execz .LBB142_36
; %bb.42:                               ;   in Loop: Header=BB142_37 Depth=2
	v_lshl_add_u32 v20, v12, 3, 0
	ds_read_b64 v[18:19], v20
	s_andn2_b64 s[28:29], s[28:29], exec
	s_waitcnt lgkmcnt(0)
	v_cmp_eq_u64_e32 vcc, v[18:19], v[14:15]
	s_orn2_b64 s[36:37], vcc, exec
	s_branch .LBB142_36
.LBB142_43:                             ;   in Loop: Header=BB142_34 Depth=1
	s_or_b64 exec, exec, s[18:19]
	s_and_saveexec_b64 s[18:19], s[20:21]
	s_xor_b64 s[18:19], exec, s[18:19]
	s_cbranch_execz .LBB142_32
; %bb.44:                               ;   in Loop: Header=BB142_34 Depth=1
	v_mov_b32_e32 v12, v16
	s_branch .LBB142_32
.LBB142_45:
	s_or_b64 exec, exec, s[4:5]
.LBB142_46:
	s_waitcnt lgkmcnt(0)
	s_barrier
	s_and_saveexec_b64 s[8:9], s[0:1]
	s_cbranch_execz .LBB142_59
; %bb.47:
	v_mbcnt_lo_u32_b32 v2, -1, 0
	v_mbcnt_hi_u32_b32 v2, -1, v2
	v_sub_u32_e32 v2, 63, v2
	v_lshrrev_b64 v[4:5], v2, -1
	v_lshrrev_b32_e32 v2, 2, v0
	v_and_b32_e32 v2, 24, v2
	s_movk_i32 s0, 0x7f
	s_movk_i32 s6, 0x5f
	v_mov_b32_e32 v3, 0
	s_waitcnt vmcnt(0)
	v_add_u32_e32 v12, 0, v2
	v_cmp_eq_u32_e64 s[0:1], s0, v0
	v_cmp_lt_u32_e64 s[2:3], 31, v0
	v_cmp_lt_u32_e64 s[4:5], 63, v0
	;; [unrolled: 1-line block ×3, first 2 shown]
	v_add_u32_e32 v13, 0x800, v34
	v_or_b32_e32 v14, 0xffffff80, v0
	s_mov_b64 s[12:13], 0
	v_mov_b64_e32 v[6:7], 0
	s_branch .LBB142_49
.LBB142_48:                             ;   in Loop: Header=BB142_49 Depth=1
	s_or_b64 exec, exec, s[14:15]
	s_waitcnt lgkmcnt(0)
	s_barrier
	ds_read_b64 v[8:9], v3 offset:6168
	v_add_co_u32_e32 v14, vcc, 0x80, v14
	s_xor_b64 s[14:15], vcc, -1
	s_and_b64 s[14:15], exec, s[14:15]
	v_add_u32_e32 v13, 0x800, v13
	s_waitcnt lgkmcnt(0)
	v_lshl_add_u64 v[6:7], v[8:9], 0, v[6:7]
	s_or_b64 s[12:13], s[14:15], s[12:13]
	v_add_u32_e32 v1, 0x400, v1
	s_andn2_b64 exec, exec, s[12:13]
	s_cbranch_execz .LBB142_59
.LBB142_49:                             ; =>This Inner Loop Header: Depth=1
	ds_read2_b64 v[16:19], v13 offset1:1
	ds_read_b64 v[8:9], v1
	s_waitcnt lgkmcnt(1)
	scratch_store_dwordx4 off, v[16:19], off
	s_waitcnt lgkmcnt(0)
	v_cmp_gt_i64_e32 vcc, s[24:25], v[8:9]
	s_bcnt1_i32_b64 s14, vcc
	v_mov_b32_e32 v2, s14
	v_and_b32_e32 v11, vcc_lo, v4
	v_and_b32_e32 v10, vcc_hi, v5
	v_bcnt_u32_b32 v11, v11, 0
	v_bcnt_u32_b32 v10, v10, v11
	s_barrier
	ds_write_b64 v12, v[2:3] offset:6144
	s_waitcnt lgkmcnt(0)
	s_barrier
	s_and_saveexec_b64 s[14:15], s[2:3]
	s_cbranch_execnz .LBB142_54
; %bb.50:                               ;   in Loop: Header=BB142_49 Depth=1
	s_or_b64 exec, exec, s[14:15]
	s_and_saveexec_b64 s[14:15], s[4:5]
	s_cbranch_execnz .LBB142_55
.LBB142_51:                             ;   in Loop: Header=BB142_49 Depth=1
	s_or_b64 exec, exec, s[14:15]
	s_and_saveexec_b64 s[14:15], s[6:7]
	s_cbranch_execnz .LBB142_56
.LBB142_52:                             ;   in Loop: Header=BB142_49 Depth=1
	s_or_b64 exec, exec, s[14:15]
	v_ashrrev_i32_e32 v11, 31, v10
	s_and_saveexec_b64 s[14:15], vcc
	s_cbranch_execnz .LBB142_57
.LBB142_53:                             ;   in Loop: Header=BB142_49 Depth=1
	s_or_b64 exec, exec, s[14:15]
	s_and_saveexec_b64 s[14:15], s[0:1]
	s_cbranch_execz .LBB142_48
	s_branch .LBB142_58
.LBB142_54:                             ;   in Loop: Header=BB142_49 Depth=1
	ds_read_b32 v2, v3 offset:6144
	s_waitcnt lgkmcnt(0)
	v_add_u32_e32 v10, v2, v10
	s_or_b64 exec, exec, s[14:15]
	s_and_saveexec_b64 s[14:15], s[4:5]
	s_cbranch_execz .LBB142_51
.LBB142_55:                             ;   in Loop: Header=BB142_49 Depth=1
	ds_read_b32 v2, v3 offset:6152
	s_waitcnt lgkmcnt(0)
	v_add_u32_e32 v10, v10, v2
	s_or_b64 exec, exec, s[14:15]
	s_and_saveexec_b64 s[14:15], s[6:7]
	s_cbranch_execz .LBB142_52
.LBB142_56:                             ;   in Loop: Header=BB142_49 Depth=1
	ds_read_b32 v2, v3 offset:6160
	s_waitcnt lgkmcnt(0)
	v_add_u32_e32 v10, v10, v2
	s_or_b64 exec, exec, s[14:15]
	v_ashrrev_i32_e32 v11, 31, v10
	s_and_saveexec_b64 s[14:15], vcc
	s_cbranch_execz .LBB142_53
.LBB142_57:                             ;   in Loop: Header=BB142_49 Depth=1
	scratch_load_dwordx4 v[16:19], off, off
	v_add3_u32 v2, v6, -1, v10
	v_lshl_add_u32 v2, v2, 3, 0
	v_add_u32_e32 v15, v6, v10
	v_lshl_add_u32 v15, v15, 4, 0
	ds_write_b64 v2, v[8:9]
	s_waitcnt vmcnt(0)
	ds_write2_b64 v15, v[16:17], v[18:19] offset0:254 offset1:255
	s_or_b64 exec, exec, s[14:15]
	s_and_saveexec_b64 s[14:15], s[0:1]
	s_cbranch_execz .LBB142_48
.LBB142_58:                             ;   in Loop: Header=BB142_49 Depth=1
	ds_write_b64 v3, v[10:11] offset:6168
	s_branch .LBB142_48
.LBB142_59:
	s_or_b64 exec, exec, s[8:9]
	s_lshl_b64 s[0:1], s[26:27], 3
	s_add_u32 s4, s10, s0
	s_addc_u32 s5, s11, s1
	s_load_dwordx4 s[0:3], s[4:5], 0x0
	v_mov_b32_e32 v1, 0
	s_waitcnt lgkmcnt(0)
	s_sub_u32 s4, s2, s0
	s_subb_u32 s5, s3, s1
	v_cmp_gt_i64_e32 vcc, s[4:5], v[0:1]
	s_and_saveexec_b64 s[6:7], vcc
	s_cbranch_execz .LBB142_69
; %bb.60:
	s_sub_u32 s8, s0, s22
	s_subb_u32 s9, s1, 0
	s_and_b32 s6, s4, 7
	s_sub_u32 s0, s0, s2
	s_mov_b32 s7, 0
	s_subb_u32 s1, s1, s3
	s_and_b32 s10, s4, -8
	s_cmp_lg_u64 s[6:7], 0
	v_cmp_lt_u64_e64 s[0:1], s[0:1], -7
	s_cselect_b64 s[2:3], -1, 0
	s_mov_b32 s11, s5
	v_cndmask_b32_e64 v2, 0, 1, s[0:1]
	v_cmp_ne_u32_e64 s[0:1], 1, v2
	v_cndmask_b32_e64 v2, 0, 1, s[2:3]
	s_mov_b64 s[12:13], 0
	v_cmp_ne_u32_e64 s[2:3], 1, v2
	s_movk_i32 s18, 0x800
	s_mov_b64 s[14:15], 0x80
	s_waitcnt vmcnt(0)
	s_branch .LBB142_62
.LBB142_61:                             ;   in Loop: Header=BB142_62 Depth=1
	s_waitcnt lgkmcnt(0)
	v_lshlrev_b32_e32 v2, 3, v0
	v_add3_u32 v2, v6, v2, s18
	ds_read2_b64 v[6:9], v2 offset1:1
	v_lshl_add_u64 v[0:1], v[0:1], 0, s[14:15]
	v_cmp_le_i64_e32 vcc, s[4:5], v[0:1]
	v_lshl_add_u64 v[2:3], v[4:5], 4, s[34:35]
	s_or_b64 s[12:13], vcc, s[12:13]
	s_waitcnt lgkmcnt(0)
	global_store_dwordx4 v[2:3], v[6:9], off
	s_andn2_b64 exec, exec, s[12:13]
	s_cbranch_execz .LBB142_69
.LBB142_62:                             ; =>This Loop Header: Depth=1
                                        ;     Child Loop BB142_64 Depth 2
                                        ;     Child Loop BB142_68 Depth 2
	v_lshl_add_u32 v6, v0, 3, 0
	ds_read_b64 v[2:3], v6
	s_and_b64 vcc, exec, s[0:1]
	v_mov_b64_e32 v[4:5], s[8:9]
	s_mov_b64 s[16:17], 0
	s_cbranch_vccnz .LBB142_66
; %bb.63:                               ;   in Loop: Header=BB142_62 Depth=1
	s_mov_b32 s19, 0
	v_mov_b64_e32 v[4:5], s[8:9]
.LBB142_64:                             ;   Parent Loop BB142_62 Depth=1
                                        ; =>  This Inner Loop Header: Depth=2
	v_mov_b32_e32 v7, s19
	ds_read2_b64 v[8:11], v7 offset1:1
	ds_read2_b64 v[12:15], v7 offset0:2 offset1:3
	ds_read2_b64 v[16:19], v7 offset0:4 offset1:5
	;; [unrolled: 1-line block ×3, first 2 shown]
	v_mov_b32_e32 v25, s7
	s_waitcnt lgkmcnt(3)
	v_cmp_gt_i64_e32 vcc, v[2:3], v[8:9]
	v_mov_b32_e32 v27, s7
	v_mov_b32_e32 v29, s7
	v_cndmask_b32_e64 v24, 0, 1, vcc
	v_cmp_gt_i64_e32 vcc, v[2:3], v[10:11]
	v_lshl_add_u64 v[4:5], v[4:5], 0, v[24:25]
	v_mov_b32_e32 v31, s7
	v_cndmask_b32_e64 v26, 0, 1, vcc
	s_waitcnt lgkmcnt(2)
	v_cmp_gt_i64_e32 vcc, v[2:3], v[12:13]
	v_lshl_add_u64 v[4:5], v[4:5], 0, v[26:27]
	v_mov_b32_e32 v33, s7
	v_cndmask_b32_e64 v28, 0, 1, vcc
	v_cmp_gt_i64_e32 vcc, v[2:3], v[14:15]
	v_lshl_add_u64 v[4:5], v[4:5], 0, v[28:29]
	v_mov_b32_e32 v35, s7
	v_cndmask_b32_e64 v30, 0, 1, vcc
	s_waitcnt lgkmcnt(1)
	v_cmp_gt_i64_e32 vcc, v[2:3], v[16:17]
	v_lshl_add_u64 v[4:5], v[4:5], 0, v[30:31]
	v_mov_b32_e32 v37, s7
	v_cndmask_b32_e64 v32, 0, 1, vcc
	v_cmp_gt_i64_e32 vcc, v[2:3], v[18:19]
	v_lshl_add_u64 v[4:5], v[4:5], 0, v[32:33]
	s_add_u32 s16, s16, 8
	v_cndmask_b32_e64 v34, 0, 1, vcc
	s_waitcnt lgkmcnt(0)
	v_cmp_gt_i64_e32 vcc, v[2:3], v[20:21]
	v_lshl_add_u64 v[4:5], v[4:5], 0, v[34:35]
	v_mov_b32_e32 v39, s7
	v_cndmask_b32_e64 v36, 0, 1, vcc
	v_cmp_gt_i64_e32 vcc, v[2:3], v[22:23]
	s_addc_u32 s17, s17, 0
	s_add_i32 s19, s19, 64
	v_cndmask_b32_e64 v38, 0, 1, vcc
	v_lshl_add_u64 v[4:5], v[4:5], 0, v[36:37]
	s_cmp_eq_u64 s[10:11], s[16:17]
	v_lshl_add_u64 v[4:5], v[4:5], 0, v[38:39]
	s_cbranch_scc0 .LBB142_64
; %bb.65:                               ;   in Loop: Header=BB142_62 Depth=1
	s_mov_b64 s[16:17], s[10:11]
.LBB142_66:                             ;   in Loop: Header=BB142_62 Depth=1
	s_and_b64 vcc, exec, s[2:3]
	s_cbranch_vccnz .LBB142_61
; %bb.67:                               ;   in Loop: Header=BB142_62 Depth=1
	s_lshl_b32 s16, s16, 3
	s_add_i32 s19, s16, 0
	s_mov_b64 s[16:17], s[6:7]
.LBB142_68:                             ;   Parent Loop BB142_62 Depth=1
                                        ; =>  This Inner Loop Header: Depth=2
	v_mov_b32_e32 v7, s19
	ds_read_b64 v[10:11], v7
	s_add_i32 s19, s19, 8
	s_add_u32 s16, s16, -1
	v_mov_b32_e32 v9, s7
	s_addc_u32 s17, s17, -1
	s_waitcnt lgkmcnt(0)
	v_cmp_gt_i64_e32 vcc, v[2:3], v[10:11]
	s_cmp_lg_u64 s[16:17], 0
	s_nop 0
	v_cndmask_b32_e64 v8, 0, 1, vcc
	v_lshl_add_u64 v[4:5], v[4:5], 0, v[8:9]
	s_cbranch_scc1 .LBB142_68
	s_branch .LBB142_61
.LBB142_69:
	s_endpgm
	.section	.rodata,"a",@progbits
	.p2align	6, 0x0
	.amdhsa_kernel _ZN9rocsparseL41csrgemm_numeric_fill_block_per_row_kernelILj128ELj16ELj256ELj137ELj32Ell21rocsparse_complex_numIdEEEvT5_PKS3_S5_NS_24const_host_device_scalarIT6_EEPKT4_S5_PKS7_SB_S5_SD_S8_SB_S5_SD_SB_S5_PS7_21rocsparse_index_base_SF_SF_SF_bbb
		.amdhsa_group_segment_fixed_size 0
		.amdhsa_private_segment_fixed_size 40
		.amdhsa_kernarg_size 172
		.amdhsa_user_sgpr_count 2
		.amdhsa_user_sgpr_dispatch_ptr 0
		.amdhsa_user_sgpr_queue_ptr 0
		.amdhsa_user_sgpr_kernarg_segment_ptr 1
		.amdhsa_user_sgpr_dispatch_id 0
		.amdhsa_user_sgpr_kernarg_preload_length 0
		.amdhsa_user_sgpr_kernarg_preload_offset 0
		.amdhsa_user_sgpr_private_segment_size 0
		.amdhsa_uses_dynamic_stack 0
		.amdhsa_enable_private_segment 1
		.amdhsa_system_sgpr_workgroup_id_x 1
		.amdhsa_system_sgpr_workgroup_id_y 0
		.amdhsa_system_sgpr_workgroup_id_z 0
		.amdhsa_system_sgpr_workgroup_info 0
		.amdhsa_system_vgpr_workitem_id 0
		.amdhsa_next_free_vgpr 40
		.amdhsa_next_free_sgpr 58
		.amdhsa_accum_offset 40
		.amdhsa_reserve_vcc 1
		.amdhsa_float_round_mode_32 0
		.amdhsa_float_round_mode_16_64 0
		.amdhsa_float_denorm_mode_32 3
		.amdhsa_float_denorm_mode_16_64 3
		.amdhsa_dx10_clamp 1
		.amdhsa_ieee_mode 1
		.amdhsa_fp16_overflow 0
		.amdhsa_tg_split 0
		.amdhsa_exception_fp_ieee_invalid_op 0
		.amdhsa_exception_fp_denorm_src 0
		.amdhsa_exception_fp_ieee_div_zero 0
		.amdhsa_exception_fp_ieee_overflow 0
		.amdhsa_exception_fp_ieee_underflow 0
		.amdhsa_exception_fp_ieee_inexact 0
		.amdhsa_exception_int_div_zero 0
	.end_amdhsa_kernel
	.section	.text._ZN9rocsparseL41csrgemm_numeric_fill_block_per_row_kernelILj128ELj16ELj256ELj137ELj32Ell21rocsparse_complex_numIdEEEvT5_PKS3_S5_NS_24const_host_device_scalarIT6_EEPKT4_S5_PKS7_SB_S5_SD_S8_SB_S5_SD_SB_S5_PS7_21rocsparse_index_base_SF_SF_SF_bbb,"axG",@progbits,_ZN9rocsparseL41csrgemm_numeric_fill_block_per_row_kernelILj128ELj16ELj256ELj137ELj32Ell21rocsparse_complex_numIdEEEvT5_PKS3_S5_NS_24const_host_device_scalarIT6_EEPKT4_S5_PKS7_SB_S5_SD_S8_SB_S5_SD_SB_S5_PS7_21rocsparse_index_base_SF_SF_SF_bbb,comdat
.Lfunc_end142:
	.size	_ZN9rocsparseL41csrgemm_numeric_fill_block_per_row_kernelILj128ELj16ELj256ELj137ELj32Ell21rocsparse_complex_numIdEEEvT5_PKS3_S5_NS_24const_host_device_scalarIT6_EEPKT4_S5_PKS7_SB_S5_SD_S8_SB_S5_SD_SB_S5_PS7_21rocsparse_index_base_SF_SF_SF_bbb, .Lfunc_end142-_ZN9rocsparseL41csrgemm_numeric_fill_block_per_row_kernelILj128ELj16ELj256ELj137ELj32Ell21rocsparse_complex_numIdEEEvT5_PKS3_S5_NS_24const_host_device_scalarIT6_EEPKT4_S5_PKS7_SB_S5_SD_S8_SB_S5_SD_SB_S5_PS7_21rocsparse_index_base_SF_SF_SF_bbb
                                        ; -- End function
	.set _ZN9rocsparseL41csrgemm_numeric_fill_block_per_row_kernelILj128ELj16ELj256ELj137ELj32Ell21rocsparse_complex_numIdEEEvT5_PKS3_S5_NS_24const_host_device_scalarIT6_EEPKT4_S5_PKS7_SB_S5_SD_S8_SB_S5_SD_SB_S5_PS7_21rocsparse_index_base_SF_SF_SF_bbb.num_vgpr, 40
	.set _ZN9rocsparseL41csrgemm_numeric_fill_block_per_row_kernelILj128ELj16ELj256ELj137ELj32Ell21rocsparse_complex_numIdEEEvT5_PKS3_S5_NS_24const_host_device_scalarIT6_EEPKT4_S5_PKS7_SB_S5_SD_S8_SB_S5_SD_SB_S5_PS7_21rocsparse_index_base_SF_SF_SF_bbb.num_agpr, 0
	.set _ZN9rocsparseL41csrgemm_numeric_fill_block_per_row_kernelILj128ELj16ELj256ELj137ELj32Ell21rocsparse_complex_numIdEEEvT5_PKS3_S5_NS_24const_host_device_scalarIT6_EEPKT4_S5_PKS7_SB_S5_SD_S8_SB_S5_SD_SB_S5_PS7_21rocsparse_index_base_SF_SF_SF_bbb.numbered_sgpr, 58
	.set _ZN9rocsparseL41csrgemm_numeric_fill_block_per_row_kernelILj128ELj16ELj256ELj137ELj32Ell21rocsparse_complex_numIdEEEvT5_PKS3_S5_NS_24const_host_device_scalarIT6_EEPKT4_S5_PKS7_SB_S5_SD_S8_SB_S5_SD_SB_S5_PS7_21rocsparse_index_base_SF_SF_SF_bbb.num_named_barrier, 0
	.set _ZN9rocsparseL41csrgemm_numeric_fill_block_per_row_kernelILj128ELj16ELj256ELj137ELj32Ell21rocsparse_complex_numIdEEEvT5_PKS3_S5_NS_24const_host_device_scalarIT6_EEPKT4_S5_PKS7_SB_S5_SD_S8_SB_S5_SD_SB_S5_PS7_21rocsparse_index_base_SF_SF_SF_bbb.private_seg_size, 40
	.set _ZN9rocsparseL41csrgemm_numeric_fill_block_per_row_kernelILj128ELj16ELj256ELj137ELj32Ell21rocsparse_complex_numIdEEEvT5_PKS3_S5_NS_24const_host_device_scalarIT6_EEPKT4_S5_PKS7_SB_S5_SD_S8_SB_S5_SD_SB_S5_PS7_21rocsparse_index_base_SF_SF_SF_bbb.uses_vcc, 1
	.set _ZN9rocsparseL41csrgemm_numeric_fill_block_per_row_kernelILj128ELj16ELj256ELj137ELj32Ell21rocsparse_complex_numIdEEEvT5_PKS3_S5_NS_24const_host_device_scalarIT6_EEPKT4_S5_PKS7_SB_S5_SD_S8_SB_S5_SD_SB_S5_PS7_21rocsparse_index_base_SF_SF_SF_bbb.uses_flat_scratch, 0
	.set _ZN9rocsparseL41csrgemm_numeric_fill_block_per_row_kernelILj128ELj16ELj256ELj137ELj32Ell21rocsparse_complex_numIdEEEvT5_PKS3_S5_NS_24const_host_device_scalarIT6_EEPKT4_S5_PKS7_SB_S5_SD_S8_SB_S5_SD_SB_S5_PS7_21rocsparse_index_base_SF_SF_SF_bbb.has_dyn_sized_stack, 0
	.set _ZN9rocsparseL41csrgemm_numeric_fill_block_per_row_kernelILj128ELj16ELj256ELj137ELj32Ell21rocsparse_complex_numIdEEEvT5_PKS3_S5_NS_24const_host_device_scalarIT6_EEPKT4_S5_PKS7_SB_S5_SD_S8_SB_S5_SD_SB_S5_PS7_21rocsparse_index_base_SF_SF_SF_bbb.has_recursion, 0
	.set _ZN9rocsparseL41csrgemm_numeric_fill_block_per_row_kernelILj128ELj16ELj256ELj137ELj32Ell21rocsparse_complex_numIdEEEvT5_PKS3_S5_NS_24const_host_device_scalarIT6_EEPKT4_S5_PKS7_SB_S5_SD_S8_SB_S5_SD_SB_S5_PS7_21rocsparse_index_base_SF_SF_SF_bbb.has_indirect_call, 0
	.section	.AMDGPU.csdata,"",@progbits
; Kernel info:
; codeLenInByte = 2816
; TotalNumSgprs: 64
; NumVgprs: 40
; NumAgprs: 0
; TotalNumVgprs: 40
; ScratchSize: 40
; MemoryBound: 0
; FloatMode: 240
; IeeeMode: 1
; LDSByteSize: 0 bytes/workgroup (compile time only)
; SGPRBlocks: 7
; VGPRBlocks: 4
; NumSGPRsForWavesPerEU: 64
; NumVGPRsForWavesPerEU: 40
; AccumOffset: 40
; Occupancy: 8
; WaveLimiterHint : 1
; COMPUTE_PGM_RSRC2:SCRATCH_EN: 1
; COMPUTE_PGM_RSRC2:USER_SGPR: 2
; COMPUTE_PGM_RSRC2:TRAP_HANDLER: 0
; COMPUTE_PGM_RSRC2:TGID_X_EN: 1
; COMPUTE_PGM_RSRC2:TGID_Y_EN: 0
; COMPUTE_PGM_RSRC2:TGID_Z_EN: 0
; COMPUTE_PGM_RSRC2:TIDIG_COMP_CNT: 0
; COMPUTE_PGM_RSRC3_GFX90A:ACCUM_OFFSET: 9
; COMPUTE_PGM_RSRC3_GFX90A:TG_SPLIT: 0
	.section	.text._ZN9rocsparseL41csrgemm_numeric_fill_block_per_row_kernelILj128ELj16ELj256ELj137ELj64Ell21rocsparse_complex_numIdEEEvT5_PKS3_S5_NS_24const_host_device_scalarIT6_EEPKT4_S5_PKS7_SB_S5_SD_S8_SB_S5_SD_SB_S5_PS7_21rocsparse_index_base_SF_SF_SF_bbb,"axG",@progbits,_ZN9rocsparseL41csrgemm_numeric_fill_block_per_row_kernelILj128ELj16ELj256ELj137ELj64Ell21rocsparse_complex_numIdEEEvT5_PKS3_S5_NS_24const_host_device_scalarIT6_EEPKT4_S5_PKS7_SB_S5_SD_S8_SB_S5_SD_SB_S5_PS7_21rocsparse_index_base_SF_SF_SF_bbb,comdat
	.globl	_ZN9rocsparseL41csrgemm_numeric_fill_block_per_row_kernelILj128ELj16ELj256ELj137ELj64Ell21rocsparse_complex_numIdEEEvT5_PKS3_S5_NS_24const_host_device_scalarIT6_EEPKT4_S5_PKS7_SB_S5_SD_S8_SB_S5_SD_SB_S5_PS7_21rocsparse_index_base_SF_SF_SF_bbb ; -- Begin function _ZN9rocsparseL41csrgemm_numeric_fill_block_per_row_kernelILj128ELj16ELj256ELj137ELj64Ell21rocsparse_complex_numIdEEEvT5_PKS3_S5_NS_24const_host_device_scalarIT6_EEPKT4_S5_PKS7_SB_S5_SD_S8_SB_S5_SD_SB_S5_PS7_21rocsparse_index_base_SF_SF_SF_bbb
	.p2align	8
	.type	_ZN9rocsparseL41csrgemm_numeric_fill_block_per_row_kernelILj128ELj16ELj256ELj137ELj64Ell21rocsparse_complex_numIdEEEvT5_PKS3_S5_NS_24const_host_device_scalarIT6_EEPKT4_S5_PKS7_SB_S5_SD_S8_SB_S5_SD_SB_S5_PS7_21rocsparse_index_base_SF_SF_SF_bbb,@function
_ZN9rocsparseL41csrgemm_numeric_fill_block_per_row_kernelILj128ELj16ELj256ELj137ELj64Ell21rocsparse_complex_numIdEEEvT5_PKS3_S5_NS_24const_host_device_scalarIT6_EEPKT4_S5_PKS7_SB_S5_SD_S8_SB_S5_SD_SB_S5_PS7_21rocsparse_index_base_SF_SF_SF_bbb: ; @_ZN9rocsparseL41csrgemm_numeric_fill_block_per_row_kernelILj128ELj16ELj256ELj137ELj64Ell21rocsparse_complex_numIdEEEvT5_PKS3_S5_NS_24const_host_device_scalarIT6_EEPKT4_S5_PKS7_SB_S5_SD_S8_SB_S5_SD_SB_S5_PS7_21rocsparse_index_base_SF_SF_SF_bbb
; %bb.0:
	s_load_dword s3, s[0:1], 0xa8
	s_load_dwordx4 s[12:15], s[0:1], 0x18
	s_load_dwordx4 s[8:11], s[0:1], 0x58
	v_mov_b64_e32 v[6:7], 0
	v_mov_b64_e32 v[10:11], 0
	s_waitcnt lgkmcnt(0)
	s_bitcmp1_b32 s3, 0
	s_cselect_b64 s[38:39], -1, 0
	s_bitcmp1_b32 s3, 16
	s_cselect_b64 s[6:7], -1, 0
	s_xor_b64 s[4:5], s[6:7], -1
	v_mov_b64_e32 v[2:3], s[12:13]
	v_cndmask_b32_e64 v1, 0, 1, s[4:5]
	scratch_store_dwordx2 off, v[2:3], off offset:16
	v_mov_b64_e32 v[2:3], s[8:9]
	s_bitcmp0_b32 s3, 0
	v_cmp_ne_u32_e64 s[4:5], 1, v1
	v_mov_b64_e32 v[12:13], 0
	scratch_store_dwordx2 off, v[2:3], off offset:24
	s_cbranch_scc1 .LBB143_3
; %bb.1:
	s_mov_b64 s[16:17], src_private_base
	s_and_b64 s[18:19], s[6:7], exec
	s_cselect_b32 s16, s17, s13
	s_cselect_b32 s17, 16, s12
	v_mov_b32_e32 v2, s17
	v_mov_b32_e32 v3, s16
	flat_load_dwordx2 v[10:11], v[2:3]
	s_and_b64 vcc, exec, s[4:5]
	v_mov_b64_e32 v[12:13], s[14:15]
	s_cbranch_vccnz .LBB143_3
; %bb.2:
	v_mov_b64_e32 v[2:3], s[12:13]
	flat_load_dwordx2 v[12:13], v[2:3] offset:8
.LBB143_3:
	s_load_dwordx4 s[20:23], s[0:1], 0x98
	s_bitcmp1_b32 s3, 8
	s_cselect_b64 s[36:37], -1, 0
	s_bfe_u32 s3, s3, 0x10008
	s_cmp_eq_u32 s3, 0
	v_mov_b64_e32 v[8:9], 0
	s_cbranch_scc1 .LBB143_6
; %bb.4:
	s_mov_b64 s[12:13], src_private_base
	s_and_b64 s[6:7], s[6:7], exec
	s_cselect_b32 s3, s13, s9
	s_cselect_b32 s6, 24, s8
	v_mov_b32_e32 v2, s6
	v_mov_b32_e32 v3, s3
	flat_load_dwordx2 v[8:9], v[2:3]
	s_and_b64 vcc, exec, s[4:5]
	v_mov_b64_e32 v[6:7], s[10:11]
	s_cbranch_vccnz .LBB143_6
; %bb.5:
	v_mov_b64_e32 v[2:3], s[8:9]
	flat_load_dwordx2 v[6:7], v[2:3] offset:8
.LBB143_6:
	s_load_dwordx2 s[34:35], s[0:1], 0x90
	s_load_dwordx8 s[4:11], s[0:1], 0x68
	s_load_dwordx4 s[28:31], s[0:1], 0x48
	s_load_dwordx4 s[24:27], s[0:1], 0x0
	s_load_dwordx2 s[40:41], s[0:1], 0x10
	s_load_dwordx8 s[12:19], s[0:1], 0x28
	s_movk_i32 s0, 0x100
	v_cmp_gt_u32_e64 s[0:1], s0, v0
	v_lshl_add_u32 v34, v0, 4, 0
	v_lshl_add_u32 v1, v0, 3, 0
	s_and_saveexec_b64 s[42:43], s[0:1]
	s_cbranch_execz .LBB143_9
; %bb.7:
	s_mov_b32 s46, 0
	s_mov_b32 s47, s46
	;; [unrolled: 1-line block ×4, first 2 shown]
	v_add_u32_e32 v14, 0x800, v34
	v_or_b32_e32 v15, 0xffffff80, v0
	v_lshl_add_u32 v16, v0, 3, 0
	s_mov_b64 s[44:45], 0
	s_waitcnt lgkmcnt(0)
	v_mov_b64_e32 v[18:19], s[24:25]
	v_mov_b64_e32 v[2:3], s[46:47]
	;; [unrolled: 1-line block ×3, first 2 shown]
.LBB143_8:                              ; =>This Inner Loop Header: Depth=1
	v_add_co_u32_e32 v15, vcc, 0x80, v15
	s_xor_b64 s[46:47], vcc, -1
	s_and_b64 s[46:47], exec, s[46:47]
	ds_write_b64 v16, v[18:19]
	ds_write2_b64 v14, v[2:3], v[4:5] offset1:1
	v_add_u32_e32 v14, 0x800, v14
	s_or_b64 s[44:45], s[46:47], s[44:45]
	v_add_u32_e32 v16, 0x400, v16
	s_andn2_b64 exec, exec, s[44:45]
	s_cbranch_execnz .LBB143_8
.LBB143_9:
	s_or_b64 exec, exec, s[42:43]
	s_waitcnt lgkmcnt(0)
	s_barrier
	s_load_dwordx2 s[26:27], s[26:27], 0x0
	s_mov_b32 s3, 0
	s_waitcnt lgkmcnt(0)
	s_lshl_b64 s[26:27], s[26:27], 3
	s_add_u32 s26, s40, s26
	s_addc_u32 s27, s41, s27
	s_lshl_b64 s[2:3], s[2:3], 3
	s_add_u32 s2, s26, s2
	s_addc_u32 s3, s27, s3
	s_load_dwordx2 s[26:27], s[2:3], 0x0
	s_and_b64 vcc, exec, s[38:39]
	s_cbranch_vccz .LBB143_29
; %bb.10:
	s_waitcnt lgkmcnt(0)
	s_lshl_b64 s[2:3], s[26:27], 3
	s_add_u32 s2, s12, s2
	s_addc_u32 s3, s13, s3
	s_load_dwordx4 s[40:43], s[2:3], 0x0
	v_lshrrev_b32_e32 v2, 4, v0
	v_subrev_co_u32_e32 v2, vcc, s20, v2
	s_waitcnt lgkmcnt(0)
	s_sub_u32 s2, s42, s20
	v_subb_co_u32_e64 v3, s[12:13], 0, 0, vcc
	s_subb_u32 s3, s43, 0
	v_lshl_add_u64 v[14:15], s[40:41], 0, v[2:3]
	v_cmp_gt_i64_e32 vcc, s[2:3], v[14:15]
	s_and_saveexec_b64 s[12:13], vcc
	s_cbranch_execz .LBB143_28
; %bb.11:
	v_and_b32_e32 v2, 15, v0
	v_subrev_co_u32_e32 v16, vcc, s21, v2
	s_mov_b32 s33, s21
	s_nop 0
	v_subb_co_u32_e64 v17, s[38:39], 0, 0, vcc
	s_mov_b64 s[38:39], 0
	s_movk_i32 s21, 0x89
	s_branch .LBB143_13
.LBB143_12:                             ;   in Loop: Header=BB143_13 Depth=1
	s_or_b64 exec, exec, s[40:41]
	v_lshl_add_u64 v[14:15], v[14:15], 0, 8
	v_cmp_le_i64_e32 vcc, s[2:3], v[14:15]
	s_or_b64 s[38:39], vcc, s[38:39]
	s_andn2_b64 exec, exec, s[38:39]
	s_cbranch_execz .LBB143_28
.LBB143_13:                             ; =>This Loop Header: Depth=1
                                        ;     Child Loop BB143_17 Depth 2
                                        ;       Child Loop BB143_20 Depth 3
	v_lshl_add_u64 v[2:3], v[14:15], 3, s[14:15]
	global_load_dwordx2 v[2:3], v[2:3], off
	s_waitcnt vmcnt(0)
	v_subrev_co_u32_e32 v2, vcc, s20, v2
	s_nop 1
	v_subbrev_co_u32_e32 v3, vcc, 0, v3, vcc
	v_lshl_add_u64 v[2:3], v[2:3], 3, s[18:19]
	global_load_dwordx4 v[2:5], v[2:3], off
	s_waitcnt vmcnt(0)
	v_subrev_co_u32_e32 v18, vcc, s33, v4
	s_nop 1
	v_subbrev_co_u32_e32 v19, vcc, 0, v5, vcc
	v_lshl_add_u64 v[20:21], v[2:3], 0, v[16:17]
	v_cmp_lt_i64_e32 vcc, v[20:21], v[18:19]
	s_and_saveexec_b64 s[40:41], vcc
	s_cbranch_execz .LBB143_12
; %bb.14:                               ;   in Loop: Header=BB143_13 Depth=1
	v_lshl_add_u64 v[2:3], v[14:15], 4, s[16:17]
	global_load_dwordx4 v[2:5], v[2:3], off
	s_mov_b64 s[42:43], 0
	s_waitcnt vmcnt(0)
	v_mul_f64 v[22:23], v[4:5], -v[12:13]
	v_mul_f64 v[24:25], v[10:11], v[4:5]
	v_fmac_f64_e32 v[22:23], v[10:11], v[2:3]
	v_fmac_f64_e32 v[24:25], v[12:13], v[2:3]
	s_branch .LBB143_17
.LBB143_15:                             ;   in Loop: Header=BB143_17 Depth=2
	s_or_b64 exec, exec, s[46:47]
.LBB143_16:                             ;   in Loop: Header=BB143_17 Depth=2
	s_or_b64 exec, exec, s[44:45]
	s_waitcnt vmcnt(0)
	v_mul_f64 v[28:29], v[4:5], -v[24:25]
	v_mul_f64 v[4:5], v[22:23], v[4:5]
	v_fmac_f64_e32 v[28:29], v[22:23], v[2:3]
	v_fmac_f64_e32 v[4:5], v[24:25], v[2:3]
	v_lshl_add_u32 v2, v26, 4, 0
	ds_add_f64 v2, v[28:29] offset:2048
	ds_add_f64 v2, v[4:5] offset:2056
	v_lshl_add_u64 v[20:21], v[20:21], 0, 16
	v_cmp_ge_i64_e32 vcc, v[20:21], v[18:19]
	s_or_b64 s[42:43], vcc, s[42:43]
	s_andn2_b64 exec, exec, s[42:43]
	s_cbranch_execz .LBB143_12
.LBB143_17:                             ;   Parent Loop BB143_13 Depth=1
                                        ; =>  This Loop Header: Depth=2
                                        ;       Child Loop BB143_20 Depth 3
	v_lshl_add_u64 v[2:3], v[20:21], 3, s[28:29]
	global_load_dwordx2 v[26:27], v[2:3], off
	v_lshl_add_u64 v[2:3], v[20:21], 4, s[30:31]
	global_load_dwordx4 v[2:5], v[2:3], off
	s_waitcnt vmcnt(1)
	v_subrev_co_u32_e32 v28, vcc, s33, v26
	v_mul_lo_u32 v26, v28, s21
	v_and_b32_e32 v26, 0xff, v26
	v_lshl_add_u32 v35, v26, 3, 0
	ds_read_b64 v[32:33], v35
	v_subbrev_co_u32_e32 v29, vcc, 0, v27, vcc
	s_waitcnt lgkmcnt(0)
	v_cmp_ne_u64_e32 vcc, v[32:33], v[28:29]
	s_and_saveexec_b64 s[44:45], vcc
	s_cbranch_execz .LBB143_16
; %bb.18:                               ;   in Loop: Header=BB143_17 Depth=2
	s_mov_b64 s[46:47], 0
                                        ; implicit-def: $sgpr48_sgpr49
                                        ; implicit-def: $sgpr50_sgpr51
	s_branch .LBB143_20
.LBB143_19:                             ;   in Loop: Header=BB143_20 Depth=3
	s_or_b64 exec, exec, s[56:57]
	s_and_b64 s[52:53], exec, s[54:55]
	s_or_b64 s[46:47], s[52:53], s[46:47]
	s_andn2_b64 s[48:49], s[48:49], exec
	s_and_b64 s[52:53], s[50:51], exec
	s_or_b64 s[48:49], s[48:49], s[52:53]
	s_andn2_b64 exec, exec, s[46:47]
	s_cbranch_execz .LBB143_26
.LBB143_20:                             ;   Parent Loop BB143_13 Depth=1
                                        ;     Parent Loop BB143_17 Depth=2
                                        ; =>    This Inner Loop Header: Depth=3
	v_mov_b64_e32 v[30:31], v[26:27]
	v_cmp_ne_u64_e32 vcc, s[24:25], v[32:33]
	s_mov_b64 s[52:53], 0
                                        ; implicit-def: $vgpr26_vgpr27
	s_and_saveexec_b64 s[54:55], vcc
	s_xor_b64 s[54:55], exec, s[54:55]
; %bb.21:                               ;   in Loop: Header=BB143_20 Depth=3
	v_add_u32_e32 v26, 1, v30
	s_mov_b64 s[52:53], exec
	v_and_b32_e32 v26, 0xff, v26
                                        ; implicit-def: $vgpr35
; %bb.22:                               ;   in Loop: Header=BB143_20 Depth=3
	s_andn2_saveexec_b64 s[54:55], s[54:55]
	s_cbranch_execz .LBB143_24
; %bb.23:                               ;   in Loop: Header=BB143_20 Depth=3
	v_mov_b64_e32 v[26:27], s[24:25]
	ds_cmpst_rtn_b64 v[26:27], v35, v[26:27], v[28:29]
	s_andn2_b64 s[52:53], s[52:53], exec
	s_waitcnt lgkmcnt(0)
	v_cmp_ne_u64_e32 vcc, s[24:25], v[26:27]
	s_and_b64 s[56:57], vcc, exec
	s_or_b64 s[52:53], s[52:53], s[56:57]
	v_mov_b64_e32 v[26:27], v[30:31]
.LBB143_24:                             ;   in Loop: Header=BB143_20 Depth=3
	s_or_b64 exec, exec, s[54:55]
	s_mov_b64 s[54:55], -1
	s_or_b64 s[50:51], s[50:51], exec
                                        ; implicit-def: $vgpr35
                                        ; implicit-def: $vgpr32_vgpr33
	s_and_saveexec_b64 s[56:57], s[52:53]
	s_cbranch_execz .LBB143_19
; %bb.25:                               ;   in Loop: Header=BB143_20 Depth=3
	v_lshl_add_u32 v35, v26, 3, 0
	ds_read_b64 v[32:33], v35
	s_andn2_b64 s[50:51], s[50:51], exec
	s_waitcnt lgkmcnt(0)
	v_cmp_eq_u64_e32 vcc, v[32:33], v[28:29]
	s_orn2_b64 s[54:55], vcc, exec
	s_branch .LBB143_19
.LBB143_26:                             ;   in Loop: Header=BB143_17 Depth=2
	s_or_b64 exec, exec, s[46:47]
	s_and_saveexec_b64 s[46:47], s[48:49]
	s_xor_b64 s[46:47], exec, s[46:47]
	s_cbranch_execz .LBB143_15
; %bb.27:                               ;   in Loop: Header=BB143_17 Depth=2
	v_mov_b32_e32 v26, v30
	s_branch .LBB143_15
.LBB143_28:
	s_or_b64 exec, exec, s[12:13]
.LBB143_29:
	s_andn2_b64 vcc, exec, s[36:37]
	s_cbranch_vccnz .LBB143_46
; %bb.30:
	s_waitcnt lgkmcnt(0)
	s_lshl_b64 s[2:3], s[26:27], 3
	s_add_u32 s2, s4, s2
	s_addc_u32 s3, s5, s3
	s_load_dwordx4 s[12:15], s[2:3], 0x0
	v_subrev_co_u32_e32 v2, vcc, s23, v0
	s_waitcnt lgkmcnt(0)
	s_sub_u32 s2, s14, s23
	v_subb_co_u32_e64 v3, s[4:5], 0, 0, vcc
	s_subb_u32 s3, s15, 0
	s_waitcnt vmcnt(0)
	v_lshl_add_u64 v[10:11], s[12:13], 0, v[2:3]
	v_cmp_gt_i64_e32 vcc, s[2:3], v[10:11]
	s_and_saveexec_b64 s[4:5], vcc
	s_cbranch_execz .LBB143_45
; %bb.31:
	s_mov_b32 s33, s23
	s_mov_b64 s[12:13], 0
	s_movk_i32 s23, 0x89
	s_mov_b64 s[14:15], 0x80
	s_branch .LBB143_34
.LBB143_32:                             ;   in Loop: Header=BB143_34 Depth=1
	s_or_b64 exec, exec, s[18:19]
.LBB143_33:                             ;   in Loop: Header=BB143_34 Depth=1
	s_or_b64 exec, exec, s[16:17]
	s_waitcnt vmcnt(0)
	v_mul_f64 v[14:15], v[4:5], -v[6:7]
	v_mul_f64 v[4:5], v[8:9], v[4:5]
	v_fmac_f64_e32 v[14:15], v[8:9], v[2:3]
	v_fmac_f64_e32 v[4:5], v[6:7], v[2:3]
	v_lshl_add_u32 v2, v12, 4, 0
	ds_add_f64 v2, v[14:15] offset:2048
	ds_add_f64 v2, v[4:5] offset:2056
	v_lshl_add_u64 v[10:11], v[10:11], 0, s[14:15]
	v_cmp_le_i64_e32 vcc, s[2:3], v[10:11]
	s_or_b64 s[12:13], vcc, s[12:13]
	s_andn2_b64 exec, exec, s[12:13]
	s_cbranch_execz .LBB143_45
.LBB143_34:                             ; =>This Loop Header: Depth=1
                                        ;     Child Loop BB143_37 Depth 2
	v_lshl_add_u64 v[2:3], v[10:11], 3, s[6:7]
	global_load_dwordx2 v[12:13], v[2:3], off
	v_lshl_add_u64 v[2:3], v[10:11], 4, s[8:9]
	global_load_dwordx4 v[2:5], v[2:3], off
	s_waitcnt vmcnt(1)
	v_subrev_co_u32_e32 v14, vcc, s33, v12
	v_mul_lo_u32 v12, v14, s23
	v_and_b32_e32 v12, 0xff, v12
	v_lshl_add_u32 v20, v12, 3, 0
	ds_read_b64 v[18:19], v20
	v_subbrev_co_u32_e32 v15, vcc, 0, v13, vcc
	s_waitcnt lgkmcnt(0)
	v_cmp_ne_u64_e32 vcc, v[18:19], v[14:15]
	s_and_saveexec_b64 s[16:17], vcc
	s_cbranch_execz .LBB143_33
; %bb.35:                               ;   in Loop: Header=BB143_34 Depth=1
	s_mov_b64 s[18:19], 0
                                        ; implicit-def: $sgpr20_sgpr21
                                        ; implicit-def: $sgpr28_sgpr29
	s_branch .LBB143_37
.LBB143_36:                             ;   in Loop: Header=BB143_37 Depth=2
	s_or_b64 exec, exec, s[38:39]
	s_and_b64 s[30:31], exec, s[36:37]
	s_or_b64 s[18:19], s[30:31], s[18:19]
	s_andn2_b64 s[20:21], s[20:21], exec
	s_and_b64 s[30:31], s[28:29], exec
	s_or_b64 s[20:21], s[20:21], s[30:31]
	s_andn2_b64 exec, exec, s[18:19]
	s_cbranch_execz .LBB143_43
.LBB143_37:                             ;   Parent Loop BB143_34 Depth=1
                                        ; =>  This Inner Loop Header: Depth=2
	v_mov_b64_e32 v[16:17], v[12:13]
	v_cmp_ne_u64_e32 vcc, s[24:25], v[18:19]
	s_mov_b64 s[30:31], 0
                                        ; implicit-def: $vgpr12_vgpr13
	s_and_saveexec_b64 s[36:37], vcc
	s_xor_b64 s[36:37], exec, s[36:37]
; %bb.38:                               ;   in Loop: Header=BB143_37 Depth=2
	v_add_u32_e32 v12, 1, v16
	s_mov_b64 s[30:31], exec
	v_and_b32_e32 v12, 0xff, v12
                                        ; implicit-def: $vgpr20
; %bb.39:                               ;   in Loop: Header=BB143_37 Depth=2
	s_andn2_saveexec_b64 s[36:37], s[36:37]
	s_cbranch_execz .LBB143_41
; %bb.40:                               ;   in Loop: Header=BB143_37 Depth=2
	v_mov_b64_e32 v[12:13], s[24:25]
	ds_cmpst_rtn_b64 v[12:13], v20, v[12:13], v[14:15]
	s_andn2_b64 s[30:31], s[30:31], exec
	s_waitcnt lgkmcnt(0)
	v_cmp_ne_u64_e32 vcc, s[24:25], v[12:13]
	s_and_b64 s[38:39], vcc, exec
	s_or_b64 s[30:31], s[30:31], s[38:39]
	v_mov_b64_e32 v[12:13], v[16:17]
.LBB143_41:                             ;   in Loop: Header=BB143_37 Depth=2
	s_or_b64 exec, exec, s[36:37]
	s_mov_b64 s[36:37], -1
	s_or_b64 s[28:29], s[28:29], exec
                                        ; implicit-def: $vgpr20
                                        ; implicit-def: $vgpr18_vgpr19
	s_and_saveexec_b64 s[38:39], s[30:31]
	s_cbranch_execz .LBB143_36
; %bb.42:                               ;   in Loop: Header=BB143_37 Depth=2
	v_lshl_add_u32 v20, v12, 3, 0
	ds_read_b64 v[18:19], v20
	s_andn2_b64 s[28:29], s[28:29], exec
	s_waitcnt lgkmcnt(0)
	v_cmp_eq_u64_e32 vcc, v[18:19], v[14:15]
	s_orn2_b64 s[36:37], vcc, exec
	s_branch .LBB143_36
.LBB143_43:                             ;   in Loop: Header=BB143_34 Depth=1
	s_or_b64 exec, exec, s[18:19]
	s_and_saveexec_b64 s[18:19], s[20:21]
	s_xor_b64 s[18:19], exec, s[18:19]
	s_cbranch_execz .LBB143_32
; %bb.44:                               ;   in Loop: Header=BB143_34 Depth=1
	v_mov_b32_e32 v12, v16
	s_branch .LBB143_32
.LBB143_45:
	s_or_b64 exec, exec, s[4:5]
.LBB143_46:
	s_waitcnt lgkmcnt(0)
	s_barrier
	s_and_saveexec_b64 s[4:5], s[0:1]
	s_cbranch_execz .LBB143_55
; %bb.47:
	v_mbcnt_lo_u32_b32 v2, -1, 0
	v_mbcnt_hi_u32_b32 v2, -1, v2
	v_sub_u32_e32 v2, 63, v2
	v_lshrrev_b64 v[4:5], v2, -1
	v_lshrrev_b32_e32 v2, 3, v0
	v_and_b32_e32 v2, 8, v2
	s_movk_i32 s2, 0x7f
	v_mov_b32_e32 v3, 0
	s_waitcnt vmcnt(0)
	v_add_u32_e32 v12, 0, v2
	v_cmp_lt_u32_e64 s[0:1], 63, v0
	v_cmp_eq_u32_e64 s[2:3], s2, v0
	v_add_u32_e32 v13, 0x800, v34
	v_or_b32_e32 v14, 0xffffff80, v0
	s_mov_b64 s[6:7], 0
	v_mov_b64_e32 v[6:7], 0
	s_branch .LBB143_49
.LBB143_48:                             ;   in Loop: Header=BB143_49 Depth=1
	s_or_b64 exec, exec, s[8:9]
	s_waitcnt lgkmcnt(0)
	s_barrier
	ds_read_b64 v[8:9], v3 offset:6152
	v_add_co_u32_e32 v14, vcc, 0x80, v14
	s_xor_b64 s[8:9], vcc, -1
	s_and_b64 s[8:9], exec, s[8:9]
	v_add_u32_e32 v13, 0x800, v13
	s_waitcnt lgkmcnt(0)
	v_lshl_add_u64 v[6:7], v[8:9], 0, v[6:7]
	s_or_b64 s[6:7], s[8:9], s[6:7]
	v_add_u32_e32 v1, 0x400, v1
	s_andn2_b64 exec, exec, s[6:7]
	s_cbranch_execz .LBB143_55
.LBB143_49:                             ; =>This Inner Loop Header: Depth=1
	ds_read2_b64 v[16:19], v13 offset1:1
	ds_read_b64 v[8:9], v1
	v_mov_b32_e32 v21, v3
	s_waitcnt lgkmcnt(1)
	scratch_store_dwordx4 off, v[16:19], off
	s_waitcnt lgkmcnt(0)
	v_cmp_gt_i64_e32 vcc, s[24:25], v[8:9]
	s_bcnt1_i32_b64 s8, vcc
	v_mov_b32_e32 v20, s8
	v_and_b32_e32 v10, vcc_lo, v4
	v_and_b32_e32 v2, vcc_hi, v5
	v_bcnt_u32_b32 v10, v10, 0
	v_bcnt_u32_b32 v2, v2, v10
	v_mov_b64_e32 v[10:11], v[2:3]
	s_barrier
	ds_write_b64 v12, v[20:21] offset:6144
	s_waitcnt lgkmcnt(0)
	s_barrier
	s_and_saveexec_b64 s[8:9], s[0:1]
	s_cbranch_execnz .LBB143_52
; %bb.50:                               ;   in Loop: Header=BB143_49 Depth=1
	s_or_b64 exec, exec, s[8:9]
	s_and_saveexec_b64 s[8:9], vcc
	s_cbranch_execnz .LBB143_53
.LBB143_51:                             ;   in Loop: Header=BB143_49 Depth=1
	s_or_b64 exec, exec, s[8:9]
	s_and_saveexec_b64 s[8:9], s[2:3]
	s_cbranch_execz .LBB143_48
	s_branch .LBB143_54
.LBB143_52:                             ;   in Loop: Header=BB143_49 Depth=1
	ds_read_b64 v[10:11], v3 offset:6144
	s_waitcnt lgkmcnt(0)
	v_lshl_add_u64 v[10:11], v[10:11], 0, v[2:3]
	s_or_b64 exec, exec, s[8:9]
	s_and_saveexec_b64 s[8:9], vcc
	s_cbranch_execz .LBB143_51
.LBB143_53:                             ;   in Loop: Header=BB143_49 Depth=1
	scratch_load_dwordx4 v[16:19], off, off
	v_add3_u32 v2, v6, -1, v10
	v_lshl_add_u32 v2, v2, 3, 0
	v_add_u32_e32 v11, v6, v10
	v_lshl_add_u32 v11, v11, 4, 0
	ds_write_b64 v2, v[8:9]
	s_waitcnt vmcnt(0)
	ds_write2_b64 v11, v[16:17], v[18:19] offset0:254 offset1:255
	s_or_b64 exec, exec, s[8:9]
	s_and_saveexec_b64 s[8:9], s[2:3]
	s_cbranch_execz .LBB143_48
.LBB143_54:                             ;   in Loop: Header=BB143_49 Depth=1
	v_ashrrev_i32_e32 v11, 31, v10
	ds_write_b64 v3, v[10:11] offset:6152
	s_branch .LBB143_48
.LBB143_55:
	s_or_b64 exec, exec, s[4:5]
	s_lshl_b64 s[0:1], s[26:27], 3
	s_add_u32 s4, s10, s0
	s_addc_u32 s5, s11, s1
	s_load_dwordx4 s[0:3], s[4:5], 0x0
	v_mov_b32_e32 v1, 0
	s_waitcnt lgkmcnt(0)
	s_sub_u32 s4, s2, s0
	s_subb_u32 s5, s3, s1
	v_cmp_gt_i64_e32 vcc, s[4:5], v[0:1]
	s_and_saveexec_b64 s[6:7], vcc
	s_cbranch_execz .LBB143_65
; %bb.56:
	s_sub_u32 s8, s0, s22
	s_subb_u32 s9, s1, 0
	s_and_b32 s6, s4, 7
	s_sub_u32 s0, s0, s2
	s_mov_b32 s7, 0
	s_subb_u32 s1, s1, s3
	s_and_b32 s10, s4, -8
	s_cmp_lg_u64 s[6:7], 0
	v_cmp_lt_u64_e64 s[0:1], s[0:1], -7
	s_cselect_b64 s[2:3], -1, 0
	s_mov_b32 s11, s5
	v_cndmask_b32_e64 v2, 0, 1, s[0:1]
	v_cmp_ne_u32_e64 s[0:1], 1, v2
	v_cndmask_b32_e64 v2, 0, 1, s[2:3]
	s_mov_b64 s[12:13], 0
	v_cmp_ne_u32_e64 s[2:3], 1, v2
	s_movk_i32 s18, 0x800
	s_mov_b64 s[14:15], 0x80
	s_waitcnt vmcnt(0)
	s_branch .LBB143_58
.LBB143_57:                             ;   in Loop: Header=BB143_58 Depth=1
	s_waitcnt lgkmcnt(0)
	v_lshlrev_b32_e32 v2, 3, v0
	v_add3_u32 v2, v6, v2, s18
	ds_read2_b64 v[6:9], v2 offset1:1
	v_lshl_add_u64 v[0:1], v[0:1], 0, s[14:15]
	v_cmp_le_i64_e32 vcc, s[4:5], v[0:1]
	v_lshl_add_u64 v[2:3], v[4:5], 4, s[34:35]
	s_or_b64 s[12:13], vcc, s[12:13]
	s_waitcnt lgkmcnt(0)
	global_store_dwordx4 v[2:3], v[6:9], off
	s_andn2_b64 exec, exec, s[12:13]
	s_cbranch_execz .LBB143_65
.LBB143_58:                             ; =>This Loop Header: Depth=1
                                        ;     Child Loop BB143_60 Depth 2
                                        ;     Child Loop BB143_64 Depth 2
	v_lshl_add_u32 v6, v0, 3, 0
	ds_read_b64 v[2:3], v6
	s_and_b64 vcc, exec, s[0:1]
	v_mov_b64_e32 v[4:5], s[8:9]
	s_mov_b64 s[16:17], 0
	s_cbranch_vccnz .LBB143_62
; %bb.59:                               ;   in Loop: Header=BB143_58 Depth=1
	s_mov_b32 s19, 0
	v_mov_b64_e32 v[4:5], s[8:9]
.LBB143_60:                             ;   Parent Loop BB143_58 Depth=1
                                        ; =>  This Inner Loop Header: Depth=2
	v_mov_b32_e32 v7, s19
	ds_read2_b64 v[8:11], v7 offset1:1
	ds_read2_b64 v[12:15], v7 offset0:2 offset1:3
	ds_read2_b64 v[16:19], v7 offset0:4 offset1:5
	;; [unrolled: 1-line block ×3, first 2 shown]
	v_mov_b32_e32 v25, s7
	s_waitcnt lgkmcnt(3)
	v_cmp_gt_i64_e32 vcc, v[2:3], v[8:9]
	v_mov_b32_e32 v27, s7
	v_mov_b32_e32 v29, s7
	v_cndmask_b32_e64 v24, 0, 1, vcc
	v_cmp_gt_i64_e32 vcc, v[2:3], v[10:11]
	v_lshl_add_u64 v[4:5], v[4:5], 0, v[24:25]
	v_mov_b32_e32 v31, s7
	v_cndmask_b32_e64 v26, 0, 1, vcc
	s_waitcnt lgkmcnt(2)
	v_cmp_gt_i64_e32 vcc, v[2:3], v[12:13]
	v_lshl_add_u64 v[4:5], v[4:5], 0, v[26:27]
	v_mov_b32_e32 v33, s7
	v_cndmask_b32_e64 v28, 0, 1, vcc
	v_cmp_gt_i64_e32 vcc, v[2:3], v[14:15]
	v_lshl_add_u64 v[4:5], v[4:5], 0, v[28:29]
	v_mov_b32_e32 v35, s7
	v_cndmask_b32_e64 v30, 0, 1, vcc
	s_waitcnt lgkmcnt(1)
	v_cmp_gt_i64_e32 vcc, v[2:3], v[16:17]
	v_lshl_add_u64 v[4:5], v[4:5], 0, v[30:31]
	v_mov_b32_e32 v37, s7
	v_cndmask_b32_e64 v32, 0, 1, vcc
	v_cmp_gt_i64_e32 vcc, v[2:3], v[18:19]
	v_lshl_add_u64 v[4:5], v[4:5], 0, v[32:33]
	s_add_u32 s16, s16, 8
	v_cndmask_b32_e64 v34, 0, 1, vcc
	s_waitcnt lgkmcnt(0)
	v_cmp_gt_i64_e32 vcc, v[2:3], v[20:21]
	v_lshl_add_u64 v[4:5], v[4:5], 0, v[34:35]
	v_mov_b32_e32 v39, s7
	v_cndmask_b32_e64 v36, 0, 1, vcc
	v_cmp_gt_i64_e32 vcc, v[2:3], v[22:23]
	s_addc_u32 s17, s17, 0
	s_add_i32 s19, s19, 64
	v_cndmask_b32_e64 v38, 0, 1, vcc
	v_lshl_add_u64 v[4:5], v[4:5], 0, v[36:37]
	s_cmp_eq_u64 s[10:11], s[16:17]
	v_lshl_add_u64 v[4:5], v[4:5], 0, v[38:39]
	s_cbranch_scc0 .LBB143_60
; %bb.61:                               ;   in Loop: Header=BB143_58 Depth=1
	s_mov_b64 s[16:17], s[10:11]
.LBB143_62:                             ;   in Loop: Header=BB143_58 Depth=1
	s_and_b64 vcc, exec, s[2:3]
	s_cbranch_vccnz .LBB143_57
; %bb.63:                               ;   in Loop: Header=BB143_58 Depth=1
	s_lshl_b32 s16, s16, 3
	s_add_i32 s19, s16, 0
	s_mov_b64 s[16:17], s[6:7]
.LBB143_64:                             ;   Parent Loop BB143_58 Depth=1
                                        ; =>  This Inner Loop Header: Depth=2
	v_mov_b32_e32 v7, s19
	ds_read_b64 v[10:11], v7
	s_add_i32 s19, s19, 8
	s_add_u32 s16, s16, -1
	v_mov_b32_e32 v9, s7
	s_addc_u32 s17, s17, -1
	s_waitcnt lgkmcnt(0)
	v_cmp_gt_i64_e32 vcc, v[2:3], v[10:11]
	s_cmp_lg_u64 s[16:17], 0
	s_nop 0
	v_cndmask_b32_e64 v8, 0, 1, vcc
	v_lshl_add_u64 v[4:5], v[4:5], 0, v[8:9]
	s_cbranch_scc1 .LBB143_64
	s_branch .LBB143_57
.LBB143_65:
	s_endpgm
	.section	.rodata,"a",@progbits
	.p2align	6, 0x0
	.amdhsa_kernel _ZN9rocsparseL41csrgemm_numeric_fill_block_per_row_kernelILj128ELj16ELj256ELj137ELj64Ell21rocsparse_complex_numIdEEEvT5_PKS3_S5_NS_24const_host_device_scalarIT6_EEPKT4_S5_PKS7_SB_S5_SD_S8_SB_S5_SD_SB_S5_PS7_21rocsparse_index_base_SF_SF_SF_bbb
		.amdhsa_group_segment_fixed_size 0
		.amdhsa_private_segment_fixed_size 40
		.amdhsa_kernarg_size 172
		.amdhsa_user_sgpr_count 2
		.amdhsa_user_sgpr_dispatch_ptr 0
		.amdhsa_user_sgpr_queue_ptr 0
		.amdhsa_user_sgpr_kernarg_segment_ptr 1
		.amdhsa_user_sgpr_dispatch_id 0
		.amdhsa_user_sgpr_kernarg_preload_length 0
		.amdhsa_user_sgpr_kernarg_preload_offset 0
		.amdhsa_user_sgpr_private_segment_size 0
		.amdhsa_uses_dynamic_stack 0
		.amdhsa_enable_private_segment 1
		.amdhsa_system_sgpr_workgroup_id_x 1
		.amdhsa_system_sgpr_workgroup_id_y 0
		.amdhsa_system_sgpr_workgroup_id_z 0
		.amdhsa_system_sgpr_workgroup_info 0
		.amdhsa_system_vgpr_workitem_id 0
		.amdhsa_next_free_vgpr 40
		.amdhsa_next_free_sgpr 58
		.amdhsa_accum_offset 40
		.amdhsa_reserve_vcc 1
		.amdhsa_float_round_mode_32 0
		.amdhsa_float_round_mode_16_64 0
		.amdhsa_float_denorm_mode_32 3
		.amdhsa_float_denorm_mode_16_64 3
		.amdhsa_dx10_clamp 1
		.amdhsa_ieee_mode 1
		.amdhsa_fp16_overflow 0
		.amdhsa_tg_split 0
		.amdhsa_exception_fp_ieee_invalid_op 0
		.amdhsa_exception_fp_denorm_src 0
		.amdhsa_exception_fp_ieee_div_zero 0
		.amdhsa_exception_fp_ieee_overflow 0
		.amdhsa_exception_fp_ieee_underflow 0
		.amdhsa_exception_fp_ieee_inexact 0
		.amdhsa_exception_int_div_zero 0
	.end_amdhsa_kernel
	.section	.text._ZN9rocsparseL41csrgemm_numeric_fill_block_per_row_kernelILj128ELj16ELj256ELj137ELj64Ell21rocsparse_complex_numIdEEEvT5_PKS3_S5_NS_24const_host_device_scalarIT6_EEPKT4_S5_PKS7_SB_S5_SD_S8_SB_S5_SD_SB_S5_PS7_21rocsparse_index_base_SF_SF_SF_bbb,"axG",@progbits,_ZN9rocsparseL41csrgemm_numeric_fill_block_per_row_kernelILj128ELj16ELj256ELj137ELj64Ell21rocsparse_complex_numIdEEEvT5_PKS3_S5_NS_24const_host_device_scalarIT6_EEPKT4_S5_PKS7_SB_S5_SD_S8_SB_S5_SD_SB_S5_PS7_21rocsparse_index_base_SF_SF_SF_bbb,comdat
.Lfunc_end143:
	.size	_ZN9rocsparseL41csrgemm_numeric_fill_block_per_row_kernelILj128ELj16ELj256ELj137ELj64Ell21rocsparse_complex_numIdEEEvT5_PKS3_S5_NS_24const_host_device_scalarIT6_EEPKT4_S5_PKS7_SB_S5_SD_S8_SB_S5_SD_SB_S5_PS7_21rocsparse_index_base_SF_SF_SF_bbb, .Lfunc_end143-_ZN9rocsparseL41csrgemm_numeric_fill_block_per_row_kernelILj128ELj16ELj256ELj137ELj64Ell21rocsparse_complex_numIdEEEvT5_PKS3_S5_NS_24const_host_device_scalarIT6_EEPKT4_S5_PKS7_SB_S5_SD_S8_SB_S5_SD_SB_S5_PS7_21rocsparse_index_base_SF_SF_SF_bbb
                                        ; -- End function
	.set _ZN9rocsparseL41csrgemm_numeric_fill_block_per_row_kernelILj128ELj16ELj256ELj137ELj64Ell21rocsparse_complex_numIdEEEvT5_PKS3_S5_NS_24const_host_device_scalarIT6_EEPKT4_S5_PKS7_SB_S5_SD_S8_SB_S5_SD_SB_S5_PS7_21rocsparse_index_base_SF_SF_SF_bbb.num_vgpr, 40
	.set _ZN9rocsparseL41csrgemm_numeric_fill_block_per_row_kernelILj128ELj16ELj256ELj137ELj64Ell21rocsparse_complex_numIdEEEvT5_PKS3_S5_NS_24const_host_device_scalarIT6_EEPKT4_S5_PKS7_SB_S5_SD_S8_SB_S5_SD_SB_S5_PS7_21rocsparse_index_base_SF_SF_SF_bbb.num_agpr, 0
	.set _ZN9rocsparseL41csrgemm_numeric_fill_block_per_row_kernelILj128ELj16ELj256ELj137ELj64Ell21rocsparse_complex_numIdEEEvT5_PKS3_S5_NS_24const_host_device_scalarIT6_EEPKT4_S5_PKS7_SB_S5_SD_S8_SB_S5_SD_SB_S5_PS7_21rocsparse_index_base_SF_SF_SF_bbb.numbered_sgpr, 58
	.set _ZN9rocsparseL41csrgemm_numeric_fill_block_per_row_kernelILj128ELj16ELj256ELj137ELj64Ell21rocsparse_complex_numIdEEEvT5_PKS3_S5_NS_24const_host_device_scalarIT6_EEPKT4_S5_PKS7_SB_S5_SD_S8_SB_S5_SD_SB_S5_PS7_21rocsparse_index_base_SF_SF_SF_bbb.num_named_barrier, 0
	.set _ZN9rocsparseL41csrgemm_numeric_fill_block_per_row_kernelILj128ELj16ELj256ELj137ELj64Ell21rocsparse_complex_numIdEEEvT5_PKS3_S5_NS_24const_host_device_scalarIT6_EEPKT4_S5_PKS7_SB_S5_SD_S8_SB_S5_SD_SB_S5_PS7_21rocsparse_index_base_SF_SF_SF_bbb.private_seg_size, 40
	.set _ZN9rocsparseL41csrgemm_numeric_fill_block_per_row_kernelILj128ELj16ELj256ELj137ELj64Ell21rocsparse_complex_numIdEEEvT5_PKS3_S5_NS_24const_host_device_scalarIT6_EEPKT4_S5_PKS7_SB_S5_SD_S8_SB_S5_SD_SB_S5_PS7_21rocsparse_index_base_SF_SF_SF_bbb.uses_vcc, 1
	.set _ZN9rocsparseL41csrgemm_numeric_fill_block_per_row_kernelILj128ELj16ELj256ELj137ELj64Ell21rocsparse_complex_numIdEEEvT5_PKS3_S5_NS_24const_host_device_scalarIT6_EEPKT4_S5_PKS7_SB_S5_SD_S8_SB_S5_SD_SB_S5_PS7_21rocsparse_index_base_SF_SF_SF_bbb.uses_flat_scratch, 0
	.set _ZN9rocsparseL41csrgemm_numeric_fill_block_per_row_kernelILj128ELj16ELj256ELj137ELj64Ell21rocsparse_complex_numIdEEEvT5_PKS3_S5_NS_24const_host_device_scalarIT6_EEPKT4_S5_PKS7_SB_S5_SD_S8_SB_S5_SD_SB_S5_PS7_21rocsparse_index_base_SF_SF_SF_bbb.has_dyn_sized_stack, 0
	.set _ZN9rocsparseL41csrgemm_numeric_fill_block_per_row_kernelILj128ELj16ELj256ELj137ELj64Ell21rocsparse_complex_numIdEEEvT5_PKS3_S5_NS_24const_host_device_scalarIT6_EEPKT4_S5_PKS7_SB_S5_SD_S8_SB_S5_SD_SB_S5_PS7_21rocsparse_index_base_SF_SF_SF_bbb.has_recursion, 0
	.set _ZN9rocsparseL41csrgemm_numeric_fill_block_per_row_kernelILj128ELj16ELj256ELj137ELj64Ell21rocsparse_complex_numIdEEEvT5_PKS3_S5_NS_24const_host_device_scalarIT6_EEPKT4_S5_PKS7_SB_S5_SD_S8_SB_S5_SD_SB_S5_PS7_21rocsparse_index_base_SF_SF_SF_bbb.has_indirect_call, 0
	.section	.AMDGPU.csdata,"",@progbits
; Kernel info:
; codeLenInByte = 2724
; TotalNumSgprs: 64
; NumVgprs: 40
; NumAgprs: 0
; TotalNumVgprs: 40
; ScratchSize: 40
; MemoryBound: 0
; FloatMode: 240
; IeeeMode: 1
; LDSByteSize: 0 bytes/workgroup (compile time only)
; SGPRBlocks: 7
; VGPRBlocks: 4
; NumSGPRsForWavesPerEU: 64
; NumVGPRsForWavesPerEU: 40
; AccumOffset: 40
; Occupancy: 8
; WaveLimiterHint : 1
; COMPUTE_PGM_RSRC2:SCRATCH_EN: 1
; COMPUTE_PGM_RSRC2:USER_SGPR: 2
; COMPUTE_PGM_RSRC2:TRAP_HANDLER: 0
; COMPUTE_PGM_RSRC2:TGID_X_EN: 1
; COMPUTE_PGM_RSRC2:TGID_Y_EN: 0
; COMPUTE_PGM_RSRC2:TGID_Z_EN: 0
; COMPUTE_PGM_RSRC2:TIDIG_COMP_CNT: 0
; COMPUTE_PGM_RSRC3_GFX90A:ACCUM_OFFSET: 9
; COMPUTE_PGM_RSRC3_GFX90A:TG_SPLIT: 0
	.section	.text._ZN9rocsparseL41csrgemm_numeric_fill_block_per_row_kernelILj256ELj32ELj512ELj137ELj32Ell21rocsparse_complex_numIdEEEvT5_PKS3_S5_NS_24const_host_device_scalarIT6_EEPKT4_S5_PKS7_SB_S5_SD_S8_SB_S5_SD_SB_S5_PS7_21rocsparse_index_base_SF_SF_SF_bbb,"axG",@progbits,_ZN9rocsparseL41csrgemm_numeric_fill_block_per_row_kernelILj256ELj32ELj512ELj137ELj32Ell21rocsparse_complex_numIdEEEvT5_PKS3_S5_NS_24const_host_device_scalarIT6_EEPKT4_S5_PKS7_SB_S5_SD_S8_SB_S5_SD_SB_S5_PS7_21rocsparse_index_base_SF_SF_SF_bbb,comdat
	.globl	_ZN9rocsparseL41csrgemm_numeric_fill_block_per_row_kernelILj256ELj32ELj512ELj137ELj32Ell21rocsparse_complex_numIdEEEvT5_PKS3_S5_NS_24const_host_device_scalarIT6_EEPKT4_S5_PKS7_SB_S5_SD_S8_SB_S5_SD_SB_S5_PS7_21rocsparse_index_base_SF_SF_SF_bbb ; -- Begin function _ZN9rocsparseL41csrgemm_numeric_fill_block_per_row_kernelILj256ELj32ELj512ELj137ELj32Ell21rocsparse_complex_numIdEEEvT5_PKS3_S5_NS_24const_host_device_scalarIT6_EEPKT4_S5_PKS7_SB_S5_SD_S8_SB_S5_SD_SB_S5_PS7_21rocsparse_index_base_SF_SF_SF_bbb
	.p2align	8
	.type	_ZN9rocsparseL41csrgemm_numeric_fill_block_per_row_kernelILj256ELj32ELj512ELj137ELj32Ell21rocsparse_complex_numIdEEEvT5_PKS3_S5_NS_24const_host_device_scalarIT6_EEPKT4_S5_PKS7_SB_S5_SD_S8_SB_S5_SD_SB_S5_PS7_21rocsparse_index_base_SF_SF_SF_bbb,@function
_ZN9rocsparseL41csrgemm_numeric_fill_block_per_row_kernelILj256ELj32ELj512ELj137ELj32Ell21rocsparse_complex_numIdEEEvT5_PKS3_S5_NS_24const_host_device_scalarIT6_EEPKT4_S5_PKS7_SB_S5_SD_S8_SB_S5_SD_SB_S5_PS7_21rocsparse_index_base_SF_SF_SF_bbb: ; @_ZN9rocsparseL41csrgemm_numeric_fill_block_per_row_kernelILj256ELj32ELj512ELj137ELj32Ell21rocsparse_complex_numIdEEEvT5_PKS3_S5_NS_24const_host_device_scalarIT6_EEPKT4_S5_PKS7_SB_S5_SD_S8_SB_S5_SD_SB_S5_PS7_21rocsparse_index_base_SF_SF_SF_bbb
; %bb.0:
	s_load_dword s3, s[0:1], 0xa8
	s_load_dwordx4 s[12:15], s[0:1], 0x18
	s_load_dwordx4 s[8:11], s[0:1], 0x58
	v_mov_b64_e32 v[6:7], 0
	v_mov_b64_e32 v[10:11], 0
	s_waitcnt lgkmcnt(0)
	s_bitcmp1_b32 s3, 0
	s_cselect_b64 s[38:39], -1, 0
	s_bitcmp1_b32 s3, 16
	s_cselect_b64 s[6:7], -1, 0
	s_xor_b64 s[4:5], s[6:7], -1
	v_mov_b64_e32 v[2:3], s[12:13]
	v_cndmask_b32_e64 v1, 0, 1, s[4:5]
	scratch_store_dwordx2 off, v[2:3], off offset:16
	v_mov_b64_e32 v[2:3], s[8:9]
	s_bitcmp0_b32 s3, 0
	v_cmp_ne_u32_e64 s[4:5], 1, v1
	v_mov_b64_e32 v[12:13], 0
	scratch_store_dwordx2 off, v[2:3], off offset:24
	s_cbranch_scc1 .LBB144_3
; %bb.1:
	s_mov_b64 s[16:17], src_private_base
	s_and_b64 s[18:19], s[6:7], exec
	s_cselect_b32 s16, s17, s13
	s_cselect_b32 s17, 16, s12
	v_mov_b32_e32 v2, s17
	v_mov_b32_e32 v3, s16
	flat_load_dwordx2 v[10:11], v[2:3]
	s_and_b64 vcc, exec, s[4:5]
	v_mov_b64_e32 v[12:13], s[14:15]
	s_cbranch_vccnz .LBB144_3
; %bb.2:
	v_mov_b64_e32 v[2:3], s[12:13]
	flat_load_dwordx2 v[12:13], v[2:3] offset:8
.LBB144_3:
	s_load_dwordx4 s[20:23], s[0:1], 0x98
	s_bitcmp1_b32 s3, 8
	s_cselect_b64 s[36:37], -1, 0
	s_bfe_u32 s3, s3, 0x10008
	s_cmp_eq_u32 s3, 0
	v_mov_b64_e32 v[8:9], 0
	s_cbranch_scc1 .LBB144_6
; %bb.4:
	s_mov_b64 s[12:13], src_private_base
	s_and_b64 s[6:7], s[6:7], exec
	s_cselect_b32 s3, s13, s9
	s_cselect_b32 s6, 24, s8
	v_mov_b32_e32 v2, s6
	v_mov_b32_e32 v3, s3
	flat_load_dwordx2 v[8:9], v[2:3]
	s_and_b64 vcc, exec, s[4:5]
	v_mov_b64_e32 v[6:7], s[10:11]
	s_cbranch_vccnz .LBB144_6
; %bb.5:
	v_mov_b64_e32 v[2:3], s[8:9]
	flat_load_dwordx2 v[6:7], v[2:3] offset:8
.LBB144_6:
	s_load_dwordx2 s[34:35], s[0:1], 0x90
	s_load_dwordx8 s[12:19], s[0:1], 0x68
	s_load_dwordx4 s[28:31], s[0:1], 0x48
	s_load_dwordx4 s[24:27], s[0:1], 0x0
	s_load_dwordx2 s[40:41], s[0:1], 0x10
	s_load_dwordx8 s[4:11], s[0:1], 0x28
	s_movk_i32 s0, 0x200
	v_cmp_gt_u32_e64 s[0:1], s0, v0
	v_lshl_add_u32 v34, v0, 4, 0
	v_lshl_add_u32 v1, v0, 3, 0
	s_and_saveexec_b64 s[42:43], s[0:1]
	s_cbranch_execz .LBB144_9
; %bb.7:
	s_mov_b32 s46, 0
	s_mov_b32 s47, s46
	;; [unrolled: 1-line block ×4, first 2 shown]
	v_add_u32_e32 v14, 0x1000, v34
	v_or_b32_e32 v15, 0xffffff00, v0
	v_lshl_add_u32 v16, v0, 3, 0
	s_mov_b64 s[44:45], 0
	s_waitcnt lgkmcnt(0)
	v_mov_b64_e32 v[18:19], s[24:25]
	v_mov_b64_e32 v[2:3], s[46:47]
	;; [unrolled: 1-line block ×3, first 2 shown]
.LBB144_8:                              ; =>This Inner Loop Header: Depth=1
	v_add_co_u32_e32 v15, vcc, 0x100, v15
	s_xor_b64 s[46:47], vcc, -1
	s_and_b64 s[46:47], exec, s[46:47]
	ds_write_b64 v16, v[18:19]
	ds_write2_b64 v14, v[2:3], v[4:5] offset1:1
	v_add_u32_e32 v14, 0x1000, v14
	s_or_b64 s[44:45], s[46:47], s[44:45]
	v_add_u32_e32 v16, 0x800, v16
	s_andn2_b64 exec, exec, s[44:45]
	s_cbranch_execnz .LBB144_8
.LBB144_9:
	s_or_b64 exec, exec, s[42:43]
	s_waitcnt lgkmcnt(0)
	s_barrier
	s_load_dwordx2 s[26:27], s[26:27], 0x0
	s_mov_b32 s3, 0
	v_lshrrev_b32_e32 v35, 5, v0
	s_waitcnt lgkmcnt(0)
	s_lshl_b64 s[26:27], s[26:27], 3
	s_add_u32 s26, s40, s26
	s_addc_u32 s27, s41, s27
	s_lshl_b64 s[2:3], s[2:3], 3
	s_add_u32 s2, s26, s2
	s_addc_u32 s3, s27, s3
	s_load_dwordx2 s[26:27], s[2:3], 0x0
	s_and_b64 vcc, exec, s[38:39]
	s_cbranch_vccz .LBB144_29
; %bb.10:
	s_waitcnt lgkmcnt(0)
	s_lshl_b64 s[2:3], s[26:27], 3
	s_add_u32 s2, s4, s2
	s_addc_u32 s3, s5, s3
	s_load_dwordx4 s[40:43], s[2:3], 0x0
	v_subrev_co_u32_e32 v2, vcc, s20, v35
	s_nop 1
	v_subb_co_u32_e64 v3, s[2:3], 0, 0, vcc
	s_waitcnt lgkmcnt(0)
	s_sub_u32 s2, s42, s20
	s_subb_u32 s3, s43, 0
	v_lshl_add_u64 v[14:15], s[40:41], 0, v[2:3]
	v_cmp_gt_i64_e32 vcc, s[2:3], v[14:15]
	s_and_saveexec_b64 s[4:5], vcc
	s_cbranch_execz .LBB144_28
; %bb.11:
	v_and_b32_e32 v2, 31, v0
	v_subrev_co_u32_e32 v16, vcc, s21, v2
	s_mov_b32 s33, s21
	s_nop 0
	v_subb_co_u32_e64 v17, s[38:39], 0, 0, vcc
	s_mov_b64 s[38:39], 0
	s_movk_i32 s21, 0x89
	s_branch .LBB144_13
.LBB144_12:                             ;   in Loop: Header=BB144_13 Depth=1
	s_or_b64 exec, exec, s[40:41]
	v_lshl_add_u64 v[14:15], v[14:15], 0, 8
	v_cmp_le_i64_e32 vcc, s[2:3], v[14:15]
	s_or_b64 s[38:39], vcc, s[38:39]
	s_andn2_b64 exec, exec, s[38:39]
	s_cbranch_execz .LBB144_28
.LBB144_13:                             ; =>This Loop Header: Depth=1
                                        ;     Child Loop BB144_17 Depth 2
                                        ;       Child Loop BB144_20 Depth 3
	v_lshl_add_u64 v[2:3], v[14:15], 3, s[6:7]
	global_load_dwordx2 v[2:3], v[2:3], off
	s_waitcnt vmcnt(0)
	v_subrev_co_u32_e32 v2, vcc, s20, v2
	s_nop 1
	v_subbrev_co_u32_e32 v3, vcc, 0, v3, vcc
	v_lshl_add_u64 v[2:3], v[2:3], 3, s[10:11]
	global_load_dwordx4 v[2:5], v[2:3], off
	s_waitcnt vmcnt(0)
	v_subrev_co_u32_e32 v18, vcc, s33, v4
	s_nop 1
	v_subbrev_co_u32_e32 v19, vcc, 0, v5, vcc
	v_lshl_add_u64 v[20:21], v[2:3], 0, v[16:17]
	v_cmp_lt_i64_e32 vcc, v[20:21], v[18:19]
	s_and_saveexec_b64 s[40:41], vcc
	s_cbranch_execz .LBB144_12
; %bb.14:                               ;   in Loop: Header=BB144_13 Depth=1
	v_lshl_add_u64 v[2:3], v[14:15], 4, s[8:9]
	global_load_dwordx4 v[2:5], v[2:3], off
	s_mov_b64 s[42:43], 0
	s_waitcnt vmcnt(0)
	v_mul_f64 v[22:23], v[4:5], -v[12:13]
	v_mul_f64 v[24:25], v[10:11], v[4:5]
	v_fmac_f64_e32 v[22:23], v[10:11], v[2:3]
	v_fmac_f64_e32 v[24:25], v[12:13], v[2:3]
	s_branch .LBB144_17
.LBB144_15:                             ;   in Loop: Header=BB144_17 Depth=2
	s_or_b64 exec, exec, s[46:47]
.LBB144_16:                             ;   in Loop: Header=BB144_17 Depth=2
	s_or_b64 exec, exec, s[44:45]
	s_waitcnt vmcnt(0)
	v_mul_f64 v[28:29], v[4:5], -v[24:25]
	v_mul_f64 v[4:5], v[22:23], v[4:5]
	v_fmac_f64_e32 v[28:29], v[22:23], v[2:3]
	v_fmac_f64_e32 v[4:5], v[24:25], v[2:3]
	v_lshl_add_u32 v2, v26, 4, 0
	ds_add_f64 v2, v[28:29] offset:4096
	ds_add_f64 v2, v[4:5] offset:4104
	v_lshl_add_u64 v[20:21], v[20:21], 0, 32
	v_cmp_ge_i64_e32 vcc, v[20:21], v[18:19]
	s_or_b64 s[42:43], vcc, s[42:43]
	s_andn2_b64 exec, exec, s[42:43]
	s_cbranch_execz .LBB144_12
.LBB144_17:                             ;   Parent Loop BB144_13 Depth=1
                                        ; =>  This Loop Header: Depth=2
                                        ;       Child Loop BB144_20 Depth 3
	v_lshl_add_u64 v[2:3], v[20:21], 3, s[28:29]
	global_load_dwordx2 v[26:27], v[2:3], off
	v_lshl_add_u64 v[2:3], v[20:21], 4, s[30:31]
	global_load_dwordx4 v[2:5], v[2:3], off
	s_waitcnt vmcnt(1)
	v_subrev_co_u32_e32 v28, vcc, s33, v26
	v_mul_lo_u32 v26, v28, s21
	v_and_b32_e32 v26, 0x1ff, v26
	v_lshl_add_u32 v36, v26, 3, 0
	ds_read_b64 v[32:33], v36
	v_subbrev_co_u32_e32 v29, vcc, 0, v27, vcc
	s_waitcnt lgkmcnt(0)
	v_cmp_ne_u64_e32 vcc, v[32:33], v[28:29]
	s_and_saveexec_b64 s[44:45], vcc
	s_cbranch_execz .LBB144_16
; %bb.18:                               ;   in Loop: Header=BB144_17 Depth=2
	s_mov_b64 s[46:47], 0
                                        ; implicit-def: $sgpr48_sgpr49
                                        ; implicit-def: $sgpr50_sgpr51
	s_branch .LBB144_20
.LBB144_19:                             ;   in Loop: Header=BB144_20 Depth=3
	s_or_b64 exec, exec, s[56:57]
	s_and_b64 s[52:53], exec, s[54:55]
	s_or_b64 s[46:47], s[52:53], s[46:47]
	s_andn2_b64 s[48:49], s[48:49], exec
	s_and_b64 s[52:53], s[50:51], exec
	s_or_b64 s[48:49], s[48:49], s[52:53]
	s_andn2_b64 exec, exec, s[46:47]
	s_cbranch_execz .LBB144_26
.LBB144_20:                             ;   Parent Loop BB144_13 Depth=1
                                        ;     Parent Loop BB144_17 Depth=2
                                        ; =>    This Inner Loop Header: Depth=3
	v_mov_b64_e32 v[30:31], v[26:27]
	v_cmp_ne_u64_e32 vcc, s[24:25], v[32:33]
	s_mov_b64 s[52:53], 0
                                        ; implicit-def: $vgpr26_vgpr27
	s_and_saveexec_b64 s[54:55], vcc
	s_xor_b64 s[54:55], exec, s[54:55]
; %bb.21:                               ;   in Loop: Header=BB144_20 Depth=3
	v_add_u32_e32 v26, 1, v30
	s_mov_b64 s[52:53], exec
	v_and_b32_e32 v26, 0x1ff, v26
                                        ; implicit-def: $vgpr36
; %bb.22:                               ;   in Loop: Header=BB144_20 Depth=3
	s_andn2_saveexec_b64 s[54:55], s[54:55]
	s_cbranch_execz .LBB144_24
; %bb.23:                               ;   in Loop: Header=BB144_20 Depth=3
	v_mov_b64_e32 v[26:27], s[24:25]
	ds_cmpst_rtn_b64 v[26:27], v36, v[26:27], v[28:29]
	s_andn2_b64 s[52:53], s[52:53], exec
	s_waitcnt lgkmcnt(0)
	v_cmp_ne_u64_e32 vcc, s[24:25], v[26:27]
	s_and_b64 s[56:57], vcc, exec
	s_or_b64 s[52:53], s[52:53], s[56:57]
	v_mov_b64_e32 v[26:27], v[30:31]
.LBB144_24:                             ;   in Loop: Header=BB144_20 Depth=3
	s_or_b64 exec, exec, s[54:55]
	s_mov_b64 s[54:55], -1
	s_or_b64 s[50:51], s[50:51], exec
                                        ; implicit-def: $vgpr36
                                        ; implicit-def: $vgpr32_vgpr33
	s_and_saveexec_b64 s[56:57], s[52:53]
	s_cbranch_execz .LBB144_19
; %bb.25:                               ;   in Loop: Header=BB144_20 Depth=3
	v_lshl_add_u32 v36, v26, 3, 0
	ds_read_b64 v[32:33], v36
	s_andn2_b64 s[50:51], s[50:51], exec
	s_waitcnt lgkmcnt(0)
	v_cmp_eq_u64_e32 vcc, v[32:33], v[28:29]
	s_orn2_b64 s[54:55], vcc, exec
	s_branch .LBB144_19
.LBB144_26:                             ;   in Loop: Header=BB144_17 Depth=2
	s_or_b64 exec, exec, s[46:47]
	s_and_saveexec_b64 s[46:47], s[48:49]
	s_xor_b64 s[46:47], exec, s[46:47]
	s_cbranch_execz .LBB144_15
; %bb.27:                               ;   in Loop: Header=BB144_17 Depth=2
	v_mov_b32_e32 v26, v30
	s_branch .LBB144_15
.LBB144_28:
	s_or_b64 exec, exec, s[4:5]
.LBB144_29:
	s_andn2_b64 vcc, exec, s[36:37]
	s_cbranch_vccnz .LBB144_46
; %bb.30:
	s_waitcnt lgkmcnt(0)
	s_lshl_b64 s[2:3], s[26:27], 3
	s_add_u32 s2, s12, s2
	s_addc_u32 s3, s13, s3
	s_load_dwordx4 s[4:7], s[2:3], 0x0
	v_subrev_co_u32_e32 v2, vcc, s23, v0
	s_waitcnt lgkmcnt(0)
	s_sub_u32 s2, s6, s23
	s_subb_u32 s3, s7, 0
	v_subb_co_u32_e64 v3, s[6:7], 0, 0, vcc
	s_waitcnt vmcnt(0)
	v_lshl_add_u64 v[10:11], s[4:5], 0, v[2:3]
	v_cmp_gt_i64_e32 vcc, s[2:3], v[10:11]
	s_and_saveexec_b64 s[4:5], vcc
	s_cbranch_execz .LBB144_45
; %bb.31:
	s_mov_b32 s33, s23
	s_mov_b64 s[6:7], 0
	s_movk_i32 s23, 0x89
	s_mov_b64 s[8:9], 0x100
	s_branch .LBB144_34
.LBB144_32:                             ;   in Loop: Header=BB144_34 Depth=1
	s_or_b64 exec, exec, s[12:13]
.LBB144_33:                             ;   in Loop: Header=BB144_34 Depth=1
	s_or_b64 exec, exec, s[10:11]
	s_waitcnt vmcnt(0)
	v_mul_f64 v[14:15], v[4:5], -v[6:7]
	v_mul_f64 v[4:5], v[8:9], v[4:5]
	v_fmac_f64_e32 v[14:15], v[8:9], v[2:3]
	v_fmac_f64_e32 v[4:5], v[6:7], v[2:3]
	v_lshl_add_u32 v2, v12, 4, 0
	ds_add_f64 v2, v[14:15] offset:4096
	ds_add_f64 v2, v[4:5] offset:4104
	v_lshl_add_u64 v[10:11], v[10:11], 0, s[8:9]
	v_cmp_le_i64_e32 vcc, s[2:3], v[10:11]
	s_or_b64 s[6:7], vcc, s[6:7]
	s_andn2_b64 exec, exec, s[6:7]
	s_cbranch_execz .LBB144_45
.LBB144_34:                             ; =>This Loop Header: Depth=1
                                        ;     Child Loop BB144_37 Depth 2
	v_lshl_add_u64 v[2:3], v[10:11], 3, s[14:15]
	global_load_dwordx2 v[12:13], v[2:3], off
	v_lshl_add_u64 v[2:3], v[10:11], 4, s[16:17]
	global_load_dwordx4 v[2:5], v[2:3], off
	s_waitcnt vmcnt(1)
	v_subrev_co_u32_e32 v14, vcc, s33, v12
	v_mul_lo_u32 v12, v14, s23
	v_and_b32_e32 v12, 0x1ff, v12
	v_lshl_add_u32 v20, v12, 3, 0
	ds_read_b64 v[18:19], v20
	v_subbrev_co_u32_e32 v15, vcc, 0, v13, vcc
	s_waitcnt lgkmcnt(0)
	v_cmp_ne_u64_e32 vcc, v[18:19], v[14:15]
	s_and_saveexec_b64 s[10:11], vcc
	s_cbranch_execz .LBB144_33
; %bb.35:                               ;   in Loop: Header=BB144_34 Depth=1
	s_mov_b64 s[12:13], 0
                                        ; implicit-def: $sgpr20_sgpr21
                                        ; implicit-def: $sgpr28_sgpr29
	s_branch .LBB144_37
.LBB144_36:                             ;   in Loop: Header=BB144_37 Depth=2
	s_or_b64 exec, exec, s[38:39]
	s_and_b64 s[30:31], exec, s[36:37]
	s_or_b64 s[12:13], s[30:31], s[12:13]
	s_andn2_b64 s[20:21], s[20:21], exec
	s_and_b64 s[30:31], s[28:29], exec
	s_or_b64 s[20:21], s[20:21], s[30:31]
	s_andn2_b64 exec, exec, s[12:13]
	s_cbranch_execz .LBB144_43
.LBB144_37:                             ;   Parent Loop BB144_34 Depth=1
                                        ; =>  This Inner Loop Header: Depth=2
	v_mov_b64_e32 v[16:17], v[12:13]
	v_cmp_ne_u64_e32 vcc, s[24:25], v[18:19]
	s_mov_b64 s[30:31], 0
                                        ; implicit-def: $vgpr12_vgpr13
	s_and_saveexec_b64 s[36:37], vcc
	s_xor_b64 s[36:37], exec, s[36:37]
; %bb.38:                               ;   in Loop: Header=BB144_37 Depth=2
	v_add_u32_e32 v12, 1, v16
	s_mov_b64 s[30:31], exec
	v_and_b32_e32 v12, 0x1ff, v12
                                        ; implicit-def: $vgpr20
; %bb.39:                               ;   in Loop: Header=BB144_37 Depth=2
	s_andn2_saveexec_b64 s[36:37], s[36:37]
	s_cbranch_execz .LBB144_41
; %bb.40:                               ;   in Loop: Header=BB144_37 Depth=2
	v_mov_b64_e32 v[12:13], s[24:25]
	ds_cmpst_rtn_b64 v[12:13], v20, v[12:13], v[14:15]
	s_andn2_b64 s[30:31], s[30:31], exec
	s_waitcnt lgkmcnt(0)
	v_cmp_ne_u64_e32 vcc, s[24:25], v[12:13]
	s_and_b64 s[38:39], vcc, exec
	s_or_b64 s[30:31], s[30:31], s[38:39]
	v_mov_b64_e32 v[12:13], v[16:17]
.LBB144_41:                             ;   in Loop: Header=BB144_37 Depth=2
	s_or_b64 exec, exec, s[36:37]
	s_mov_b64 s[36:37], -1
	s_or_b64 s[28:29], s[28:29], exec
                                        ; implicit-def: $vgpr20
                                        ; implicit-def: $vgpr18_vgpr19
	s_and_saveexec_b64 s[38:39], s[30:31]
	s_cbranch_execz .LBB144_36
; %bb.42:                               ;   in Loop: Header=BB144_37 Depth=2
	v_lshl_add_u32 v20, v12, 3, 0
	ds_read_b64 v[18:19], v20
	s_andn2_b64 s[28:29], s[28:29], exec
	s_waitcnt lgkmcnt(0)
	v_cmp_eq_u64_e32 vcc, v[18:19], v[14:15]
	s_orn2_b64 s[36:37], vcc, exec
	s_branch .LBB144_36
.LBB144_43:                             ;   in Loop: Header=BB144_34 Depth=1
	s_or_b64 exec, exec, s[12:13]
	s_and_saveexec_b64 s[12:13], s[20:21]
	s_xor_b64 s[12:13], exec, s[12:13]
	s_cbranch_execz .LBB144_32
; %bb.44:                               ;   in Loop: Header=BB144_34 Depth=1
	v_mov_b32_e32 v12, v16
	s_branch .LBB144_32
.LBB144_45:
	s_or_b64 exec, exec, s[4:5]
.LBB144_46:
	s_waitcnt lgkmcnt(0)
	s_barrier
	s_and_saveexec_b64 s[16:17], s[0:1]
	s_cbranch_execz .LBB144_67
; %bb.47:
	v_mbcnt_lo_u32_b32 v2, -1, 0
	v_mbcnt_hi_u32_b32 v2, -1, v2
	v_sub_u32_e32 v2, 63, v2
	s_movk_i32 s0, 0xff
	s_movk_i32 s6, 0x5f
	;; [unrolled: 1-line block ×6, first 2 shown]
	v_mov_b32_e32 v3, 0
	v_lshrrev_b64 v[4:5], v2, -1
	s_waitcnt vmcnt(0)
	v_lshl_add_u32 v12, v35, 3, 0
	v_cmp_eq_u32_e64 s[0:1], s0, v0
	v_cmp_lt_u32_e64 s[2:3], 31, v0
	v_cmp_lt_u32_e64 s[4:5], 63, v0
	;; [unrolled: 1-line block ×7, first 2 shown]
	v_add_u32_e32 v13, 0x1000, v34
	v_or_b32_e32 v14, 0xffffff00, v0
	s_mov_b64 s[20:21], 0
	v_mov_b64_e32 v[6:7], 0
	s_branch .LBB144_49
.LBB144_48:                             ;   in Loop: Header=BB144_49 Depth=1
	s_or_b64 exec, exec, s[28:29]
	s_waitcnt lgkmcnt(0)
	s_barrier
	ds_read_b64 v[8:9], v3 offset:12344
	v_add_co_u32_e32 v14, vcc, 0x100, v14
	s_xor_b64 s[28:29], vcc, -1
	s_and_b64 s[28:29], exec, s[28:29]
	v_add_u32_e32 v13, 0x1000, v13
	s_waitcnt lgkmcnt(0)
	v_lshl_add_u64 v[6:7], v[8:9], 0, v[6:7]
	s_or_b64 s[20:21], s[28:29], s[20:21]
	v_add_u32_e32 v1, 0x800, v1
	s_andn2_b64 exec, exec, s[20:21]
	s_cbranch_execz .LBB144_67
.LBB144_49:                             ; =>This Inner Loop Header: Depth=1
	ds_read2_b64 v[16:19], v13 offset1:1
	ds_read_b64 v[8:9], v1
	s_waitcnt lgkmcnt(1)
	scratch_store_dwordx4 off, v[16:19], off
	s_waitcnt lgkmcnt(0)
	v_cmp_gt_i64_e32 vcc, s[24:25], v[8:9]
	s_bcnt1_i32_b64 s23, vcc
	v_mov_b32_e32 v2, s23
	v_and_b32_e32 v11, vcc_lo, v4
	v_and_b32_e32 v10, vcc_hi, v5
	v_bcnt_u32_b32 v11, v11, 0
	v_bcnt_u32_b32 v10, v10, v11
	s_barrier
	ds_write_b64 v12, v[2:3] offset:12288
	s_waitcnt lgkmcnt(0)
	s_barrier
	s_and_saveexec_b64 s[28:29], s[2:3]
	s_cbranch_execnz .LBB144_58
; %bb.50:                               ;   in Loop: Header=BB144_49 Depth=1
	s_or_b64 exec, exec, s[28:29]
	s_and_saveexec_b64 s[28:29], s[4:5]
	s_cbranch_execnz .LBB144_59
.LBB144_51:                             ;   in Loop: Header=BB144_49 Depth=1
	s_or_b64 exec, exec, s[28:29]
	s_and_saveexec_b64 s[28:29], s[6:7]
	s_cbranch_execnz .LBB144_60
.LBB144_52:                             ;   in Loop: Header=BB144_49 Depth=1
	s_or_b64 exec, exec, s[28:29]
	s_and_saveexec_b64 s[28:29], s[8:9]
	s_cbranch_execnz .LBB144_61
.LBB144_53:                             ;   in Loop: Header=BB144_49 Depth=1
	s_or_b64 exec, exec, s[28:29]
	s_and_saveexec_b64 s[28:29], s[10:11]
	s_cbranch_execnz .LBB144_62
.LBB144_54:                             ;   in Loop: Header=BB144_49 Depth=1
	s_or_b64 exec, exec, s[28:29]
	s_and_saveexec_b64 s[28:29], s[12:13]
	s_cbranch_execnz .LBB144_63
.LBB144_55:                             ;   in Loop: Header=BB144_49 Depth=1
	s_or_b64 exec, exec, s[28:29]
	s_and_saveexec_b64 s[28:29], s[14:15]
	s_cbranch_execnz .LBB144_64
.LBB144_56:                             ;   in Loop: Header=BB144_49 Depth=1
	s_or_b64 exec, exec, s[28:29]
	v_ashrrev_i32_e32 v11, 31, v10
	s_and_saveexec_b64 s[28:29], vcc
	s_cbranch_execnz .LBB144_65
.LBB144_57:                             ;   in Loop: Header=BB144_49 Depth=1
	s_or_b64 exec, exec, s[28:29]
	s_and_saveexec_b64 s[28:29], s[0:1]
	s_cbranch_execz .LBB144_48
	s_branch .LBB144_66
.LBB144_58:                             ;   in Loop: Header=BB144_49 Depth=1
	ds_read_b32 v2, v3 offset:12288
	s_waitcnt lgkmcnt(0)
	v_add_u32_e32 v10, v2, v10
	s_or_b64 exec, exec, s[28:29]
	s_and_saveexec_b64 s[28:29], s[4:5]
	s_cbranch_execz .LBB144_51
.LBB144_59:                             ;   in Loop: Header=BB144_49 Depth=1
	ds_read_b32 v2, v3 offset:12296
	s_waitcnt lgkmcnt(0)
	v_add_u32_e32 v10, v10, v2
	s_or_b64 exec, exec, s[28:29]
	s_and_saveexec_b64 s[28:29], s[6:7]
	s_cbranch_execz .LBB144_52
.LBB144_60:                             ;   in Loop: Header=BB144_49 Depth=1
	ds_read_b32 v2, v3 offset:12304
	s_waitcnt lgkmcnt(0)
	v_add_u32_e32 v10, v10, v2
	s_or_b64 exec, exec, s[28:29]
	s_and_saveexec_b64 s[28:29], s[8:9]
	s_cbranch_execz .LBB144_53
.LBB144_61:                             ;   in Loop: Header=BB144_49 Depth=1
	ds_read_b32 v2, v3 offset:12312
	s_waitcnt lgkmcnt(0)
	v_add_u32_e32 v10, v10, v2
	s_or_b64 exec, exec, s[28:29]
	s_and_saveexec_b64 s[28:29], s[10:11]
	s_cbranch_execz .LBB144_54
.LBB144_62:                             ;   in Loop: Header=BB144_49 Depth=1
	ds_read_b32 v2, v3 offset:12320
	s_waitcnt lgkmcnt(0)
	v_add_u32_e32 v10, v10, v2
	s_or_b64 exec, exec, s[28:29]
	s_and_saveexec_b64 s[28:29], s[12:13]
	s_cbranch_execz .LBB144_55
.LBB144_63:                             ;   in Loop: Header=BB144_49 Depth=1
	ds_read_b32 v2, v3 offset:12328
	s_waitcnt lgkmcnt(0)
	v_add_u32_e32 v10, v10, v2
	s_or_b64 exec, exec, s[28:29]
	s_and_saveexec_b64 s[28:29], s[14:15]
	s_cbranch_execz .LBB144_56
.LBB144_64:                             ;   in Loop: Header=BB144_49 Depth=1
	ds_read_b32 v2, v3 offset:12336
	s_waitcnt lgkmcnt(0)
	v_add_u32_e32 v10, v10, v2
	s_or_b64 exec, exec, s[28:29]
	v_ashrrev_i32_e32 v11, 31, v10
	s_and_saveexec_b64 s[28:29], vcc
	s_cbranch_execz .LBB144_57
.LBB144_65:                             ;   in Loop: Header=BB144_49 Depth=1
	scratch_load_dwordx4 v[16:19], off, off
	v_add3_u32 v2, v6, -1, v10
	v_add_u32_e32 v15, v6, v10
	v_lshl_add_u32 v2, v2, 3, 0
	v_lshl_add_u32 v15, v15, 4, 0
	v_add_u32_e32 v15, 0xff0, v15
	ds_write_b64 v2, v[8:9]
	s_waitcnt vmcnt(0)
	ds_write2_b64 v15, v[16:17], v[18:19] offset1:1
	s_or_b64 exec, exec, s[28:29]
	s_and_saveexec_b64 s[28:29], s[0:1]
	s_cbranch_execz .LBB144_48
.LBB144_66:                             ;   in Loop: Header=BB144_49 Depth=1
	ds_write_b64 v3, v[10:11] offset:12344
	s_branch .LBB144_48
.LBB144_67:
	s_or_b64 exec, exec, s[16:17]
	s_lshl_b64 s[0:1], s[26:27], 3
	s_add_u32 s4, s18, s0
	s_addc_u32 s5, s19, s1
	s_load_dwordx4 s[0:3], s[4:5], 0x0
	v_mov_b32_e32 v1, 0
	s_waitcnt lgkmcnt(0)
	s_sub_u32 s4, s2, s0
	s_subb_u32 s5, s3, s1
	v_cmp_gt_i64_e32 vcc, s[4:5], v[0:1]
	s_and_saveexec_b64 s[6:7], vcc
	s_cbranch_execz .LBB144_77
; %bb.68:
	s_sub_u32 s8, s0, s22
	s_subb_u32 s9, s1, 0
	s_and_b32 s6, s4, 7
	s_sub_u32 s0, s0, s2
	s_mov_b32 s7, 0
	s_subb_u32 s1, s1, s3
	s_and_b32 s10, s4, -8
	s_cmp_lg_u64 s[6:7], 0
	v_cmp_lt_u64_e64 s[0:1], s[0:1], -7
	s_cselect_b64 s[2:3], -1, 0
	s_mov_b32 s11, s5
	v_cndmask_b32_e64 v2, 0, 1, s[0:1]
	v_cmp_ne_u32_e64 s[0:1], 1, v2
	v_cndmask_b32_e64 v2, 0, 1, s[2:3]
	s_mov_b64 s[12:13], 0
	v_cmp_ne_u32_e64 s[2:3], 1, v2
	s_movk_i32 s18, 0x1000
	s_mov_b64 s[14:15], 0x100
	s_waitcnt vmcnt(0)
	s_branch .LBB144_70
.LBB144_69:                             ;   in Loop: Header=BB144_70 Depth=1
	s_waitcnt lgkmcnt(0)
	v_lshlrev_b32_e32 v2, 3, v0
	v_add3_u32 v2, v6, v2, s18
	ds_read2_b64 v[6:9], v2 offset1:1
	v_lshl_add_u64 v[0:1], v[0:1], 0, s[14:15]
	v_cmp_le_i64_e32 vcc, s[4:5], v[0:1]
	v_lshl_add_u64 v[2:3], v[4:5], 4, s[34:35]
	s_or_b64 s[12:13], vcc, s[12:13]
	s_waitcnt lgkmcnt(0)
	global_store_dwordx4 v[2:3], v[6:9], off
	s_andn2_b64 exec, exec, s[12:13]
	s_cbranch_execz .LBB144_77
.LBB144_70:                             ; =>This Loop Header: Depth=1
                                        ;     Child Loop BB144_72 Depth 2
                                        ;     Child Loop BB144_76 Depth 2
	v_lshl_add_u32 v6, v0, 3, 0
	ds_read_b64 v[2:3], v6
	s_and_b64 vcc, exec, s[0:1]
	v_mov_b64_e32 v[4:5], s[8:9]
	s_mov_b64 s[16:17], 0
	s_cbranch_vccnz .LBB144_74
; %bb.71:                               ;   in Loop: Header=BB144_70 Depth=1
	s_mov_b32 s19, 0
	v_mov_b64_e32 v[4:5], s[8:9]
.LBB144_72:                             ;   Parent Loop BB144_70 Depth=1
                                        ; =>  This Inner Loop Header: Depth=2
	v_mov_b32_e32 v7, s19
	ds_read2_b64 v[8:11], v7 offset1:1
	ds_read2_b64 v[12:15], v7 offset0:2 offset1:3
	ds_read2_b64 v[16:19], v7 offset0:4 offset1:5
	;; [unrolled: 1-line block ×3, first 2 shown]
	v_mov_b32_e32 v25, s7
	s_waitcnt lgkmcnt(3)
	v_cmp_gt_i64_e32 vcc, v[2:3], v[8:9]
	v_mov_b32_e32 v27, s7
	v_mov_b32_e32 v29, s7
	v_cndmask_b32_e64 v24, 0, 1, vcc
	v_cmp_gt_i64_e32 vcc, v[2:3], v[10:11]
	v_lshl_add_u64 v[4:5], v[4:5], 0, v[24:25]
	v_mov_b32_e32 v31, s7
	v_cndmask_b32_e64 v26, 0, 1, vcc
	s_waitcnt lgkmcnt(2)
	v_cmp_gt_i64_e32 vcc, v[2:3], v[12:13]
	v_lshl_add_u64 v[4:5], v[4:5], 0, v[26:27]
	v_mov_b32_e32 v33, s7
	v_cndmask_b32_e64 v28, 0, 1, vcc
	v_cmp_gt_i64_e32 vcc, v[2:3], v[14:15]
	v_lshl_add_u64 v[4:5], v[4:5], 0, v[28:29]
	v_mov_b32_e32 v35, s7
	v_cndmask_b32_e64 v30, 0, 1, vcc
	s_waitcnt lgkmcnt(1)
	v_cmp_gt_i64_e32 vcc, v[2:3], v[16:17]
	v_lshl_add_u64 v[4:5], v[4:5], 0, v[30:31]
	v_mov_b32_e32 v37, s7
	v_cndmask_b32_e64 v32, 0, 1, vcc
	v_cmp_gt_i64_e32 vcc, v[2:3], v[18:19]
	v_lshl_add_u64 v[4:5], v[4:5], 0, v[32:33]
	s_add_u32 s16, s16, 8
	v_cndmask_b32_e64 v34, 0, 1, vcc
	s_waitcnt lgkmcnt(0)
	v_cmp_gt_i64_e32 vcc, v[2:3], v[20:21]
	v_lshl_add_u64 v[4:5], v[4:5], 0, v[34:35]
	v_mov_b32_e32 v39, s7
	v_cndmask_b32_e64 v36, 0, 1, vcc
	v_cmp_gt_i64_e32 vcc, v[2:3], v[22:23]
	s_addc_u32 s17, s17, 0
	s_add_i32 s19, s19, 64
	v_cndmask_b32_e64 v38, 0, 1, vcc
	v_lshl_add_u64 v[4:5], v[4:5], 0, v[36:37]
	s_cmp_eq_u64 s[10:11], s[16:17]
	v_lshl_add_u64 v[4:5], v[4:5], 0, v[38:39]
	s_cbranch_scc0 .LBB144_72
; %bb.73:                               ;   in Loop: Header=BB144_70 Depth=1
	s_mov_b64 s[16:17], s[10:11]
.LBB144_74:                             ;   in Loop: Header=BB144_70 Depth=1
	s_and_b64 vcc, exec, s[2:3]
	s_cbranch_vccnz .LBB144_69
; %bb.75:                               ;   in Loop: Header=BB144_70 Depth=1
	s_lshl_b32 s16, s16, 3
	s_add_i32 s19, s16, 0
	s_mov_b64 s[16:17], s[6:7]
.LBB144_76:                             ;   Parent Loop BB144_70 Depth=1
                                        ; =>  This Inner Loop Header: Depth=2
	v_mov_b32_e32 v7, s19
	ds_read_b64 v[10:11], v7
	s_add_i32 s19, s19, 8
	s_add_u32 s16, s16, -1
	v_mov_b32_e32 v9, s7
	s_addc_u32 s17, s17, -1
	s_waitcnt lgkmcnt(0)
	v_cmp_gt_i64_e32 vcc, v[2:3], v[10:11]
	s_cmp_lg_u64 s[16:17], 0
	s_nop 0
	v_cndmask_b32_e64 v8, 0, 1, vcc
	v_lshl_add_u64 v[4:5], v[4:5], 0, v[8:9]
	s_cbranch_scc1 .LBB144_76
	s_branch .LBB144_69
.LBB144_77:
	s_endpgm
	.section	.rodata,"a",@progbits
	.p2align	6, 0x0
	.amdhsa_kernel _ZN9rocsparseL41csrgemm_numeric_fill_block_per_row_kernelILj256ELj32ELj512ELj137ELj32Ell21rocsparse_complex_numIdEEEvT5_PKS3_S5_NS_24const_host_device_scalarIT6_EEPKT4_S5_PKS7_SB_S5_SD_S8_SB_S5_SD_SB_S5_PS7_21rocsparse_index_base_SF_SF_SF_bbb
		.amdhsa_group_segment_fixed_size 0
		.amdhsa_private_segment_fixed_size 40
		.amdhsa_kernarg_size 172
		.amdhsa_user_sgpr_count 2
		.amdhsa_user_sgpr_dispatch_ptr 0
		.amdhsa_user_sgpr_queue_ptr 0
		.amdhsa_user_sgpr_kernarg_segment_ptr 1
		.amdhsa_user_sgpr_dispatch_id 0
		.amdhsa_user_sgpr_kernarg_preload_length 0
		.amdhsa_user_sgpr_kernarg_preload_offset 0
		.amdhsa_user_sgpr_private_segment_size 0
		.amdhsa_uses_dynamic_stack 0
		.amdhsa_enable_private_segment 1
		.amdhsa_system_sgpr_workgroup_id_x 1
		.amdhsa_system_sgpr_workgroup_id_y 0
		.amdhsa_system_sgpr_workgroup_id_z 0
		.amdhsa_system_sgpr_workgroup_info 0
		.amdhsa_system_vgpr_workitem_id 0
		.amdhsa_next_free_vgpr 40
		.amdhsa_next_free_sgpr 58
		.amdhsa_accum_offset 40
		.amdhsa_reserve_vcc 1
		.amdhsa_float_round_mode_32 0
		.amdhsa_float_round_mode_16_64 0
		.amdhsa_float_denorm_mode_32 3
		.amdhsa_float_denorm_mode_16_64 3
		.amdhsa_dx10_clamp 1
		.amdhsa_ieee_mode 1
		.amdhsa_fp16_overflow 0
		.amdhsa_tg_split 0
		.amdhsa_exception_fp_ieee_invalid_op 0
		.amdhsa_exception_fp_denorm_src 0
		.amdhsa_exception_fp_ieee_div_zero 0
		.amdhsa_exception_fp_ieee_overflow 0
		.amdhsa_exception_fp_ieee_underflow 0
		.amdhsa_exception_fp_ieee_inexact 0
		.amdhsa_exception_int_div_zero 0
	.end_amdhsa_kernel
	.section	.text._ZN9rocsparseL41csrgemm_numeric_fill_block_per_row_kernelILj256ELj32ELj512ELj137ELj32Ell21rocsparse_complex_numIdEEEvT5_PKS3_S5_NS_24const_host_device_scalarIT6_EEPKT4_S5_PKS7_SB_S5_SD_S8_SB_S5_SD_SB_S5_PS7_21rocsparse_index_base_SF_SF_SF_bbb,"axG",@progbits,_ZN9rocsparseL41csrgemm_numeric_fill_block_per_row_kernelILj256ELj32ELj512ELj137ELj32Ell21rocsparse_complex_numIdEEEvT5_PKS3_S5_NS_24const_host_device_scalarIT6_EEPKT4_S5_PKS7_SB_S5_SD_S8_SB_S5_SD_SB_S5_PS7_21rocsparse_index_base_SF_SF_SF_bbb,comdat
.Lfunc_end144:
	.size	_ZN9rocsparseL41csrgemm_numeric_fill_block_per_row_kernelILj256ELj32ELj512ELj137ELj32Ell21rocsparse_complex_numIdEEEvT5_PKS3_S5_NS_24const_host_device_scalarIT6_EEPKT4_S5_PKS7_SB_S5_SD_S8_SB_S5_SD_SB_S5_PS7_21rocsparse_index_base_SF_SF_SF_bbb, .Lfunc_end144-_ZN9rocsparseL41csrgemm_numeric_fill_block_per_row_kernelILj256ELj32ELj512ELj137ELj32Ell21rocsparse_complex_numIdEEEvT5_PKS3_S5_NS_24const_host_device_scalarIT6_EEPKT4_S5_PKS7_SB_S5_SD_S8_SB_S5_SD_SB_S5_PS7_21rocsparse_index_base_SF_SF_SF_bbb
                                        ; -- End function
	.set _ZN9rocsparseL41csrgemm_numeric_fill_block_per_row_kernelILj256ELj32ELj512ELj137ELj32Ell21rocsparse_complex_numIdEEEvT5_PKS3_S5_NS_24const_host_device_scalarIT6_EEPKT4_S5_PKS7_SB_S5_SD_S8_SB_S5_SD_SB_S5_PS7_21rocsparse_index_base_SF_SF_SF_bbb.num_vgpr, 40
	.set _ZN9rocsparseL41csrgemm_numeric_fill_block_per_row_kernelILj256ELj32ELj512ELj137ELj32Ell21rocsparse_complex_numIdEEEvT5_PKS3_S5_NS_24const_host_device_scalarIT6_EEPKT4_S5_PKS7_SB_S5_SD_S8_SB_S5_SD_SB_S5_PS7_21rocsparse_index_base_SF_SF_SF_bbb.num_agpr, 0
	.set _ZN9rocsparseL41csrgemm_numeric_fill_block_per_row_kernelILj256ELj32ELj512ELj137ELj32Ell21rocsparse_complex_numIdEEEvT5_PKS3_S5_NS_24const_host_device_scalarIT6_EEPKT4_S5_PKS7_SB_S5_SD_S8_SB_S5_SD_SB_S5_PS7_21rocsparse_index_base_SF_SF_SF_bbb.numbered_sgpr, 58
	.set _ZN9rocsparseL41csrgemm_numeric_fill_block_per_row_kernelILj256ELj32ELj512ELj137ELj32Ell21rocsparse_complex_numIdEEEvT5_PKS3_S5_NS_24const_host_device_scalarIT6_EEPKT4_S5_PKS7_SB_S5_SD_S8_SB_S5_SD_SB_S5_PS7_21rocsparse_index_base_SF_SF_SF_bbb.num_named_barrier, 0
	.set _ZN9rocsparseL41csrgemm_numeric_fill_block_per_row_kernelILj256ELj32ELj512ELj137ELj32Ell21rocsparse_complex_numIdEEEvT5_PKS3_S5_NS_24const_host_device_scalarIT6_EEPKT4_S5_PKS7_SB_S5_SD_S8_SB_S5_SD_SB_S5_PS7_21rocsparse_index_base_SF_SF_SF_bbb.private_seg_size, 40
	.set _ZN9rocsparseL41csrgemm_numeric_fill_block_per_row_kernelILj256ELj32ELj512ELj137ELj32Ell21rocsparse_complex_numIdEEEvT5_PKS3_S5_NS_24const_host_device_scalarIT6_EEPKT4_S5_PKS7_SB_S5_SD_S8_SB_S5_SD_SB_S5_PS7_21rocsparse_index_base_SF_SF_SF_bbb.uses_vcc, 1
	.set _ZN9rocsparseL41csrgemm_numeric_fill_block_per_row_kernelILj256ELj32ELj512ELj137ELj32Ell21rocsparse_complex_numIdEEEvT5_PKS3_S5_NS_24const_host_device_scalarIT6_EEPKT4_S5_PKS7_SB_S5_SD_S8_SB_S5_SD_SB_S5_PS7_21rocsparse_index_base_SF_SF_SF_bbb.uses_flat_scratch, 0
	.set _ZN9rocsparseL41csrgemm_numeric_fill_block_per_row_kernelILj256ELj32ELj512ELj137ELj32Ell21rocsparse_complex_numIdEEEvT5_PKS3_S5_NS_24const_host_device_scalarIT6_EEPKT4_S5_PKS7_SB_S5_SD_S8_SB_S5_SD_SB_S5_PS7_21rocsparse_index_base_SF_SF_SF_bbb.has_dyn_sized_stack, 0
	.set _ZN9rocsparseL41csrgemm_numeric_fill_block_per_row_kernelILj256ELj32ELj512ELj137ELj32Ell21rocsparse_complex_numIdEEEvT5_PKS3_S5_NS_24const_host_device_scalarIT6_EEPKT4_S5_PKS7_SB_S5_SD_S8_SB_S5_SD_SB_S5_PS7_21rocsparse_index_base_SF_SF_SF_bbb.has_recursion, 0
	.set _ZN9rocsparseL41csrgemm_numeric_fill_block_per_row_kernelILj256ELj32ELj512ELj137ELj32Ell21rocsparse_complex_numIdEEEvT5_PKS3_S5_NS_24const_host_device_scalarIT6_EEPKT4_S5_PKS7_SB_S5_SD_S8_SB_S5_SD_SB_S5_PS7_21rocsparse_index_base_SF_SF_SF_bbb.has_indirect_call, 0
	.section	.AMDGPU.csdata,"",@progbits
; Kernel info:
; codeLenInByte = 3032
; TotalNumSgprs: 64
; NumVgprs: 40
; NumAgprs: 0
; TotalNumVgprs: 40
; ScratchSize: 40
; MemoryBound: 0
; FloatMode: 240
; IeeeMode: 1
; LDSByteSize: 0 bytes/workgroup (compile time only)
; SGPRBlocks: 7
; VGPRBlocks: 4
; NumSGPRsForWavesPerEU: 64
; NumVGPRsForWavesPerEU: 40
; AccumOffset: 40
; Occupancy: 8
; WaveLimiterHint : 1
; COMPUTE_PGM_RSRC2:SCRATCH_EN: 1
; COMPUTE_PGM_RSRC2:USER_SGPR: 2
; COMPUTE_PGM_RSRC2:TRAP_HANDLER: 0
; COMPUTE_PGM_RSRC2:TGID_X_EN: 1
; COMPUTE_PGM_RSRC2:TGID_Y_EN: 0
; COMPUTE_PGM_RSRC2:TGID_Z_EN: 0
; COMPUTE_PGM_RSRC2:TIDIG_COMP_CNT: 0
; COMPUTE_PGM_RSRC3_GFX90A:ACCUM_OFFSET: 9
; COMPUTE_PGM_RSRC3_GFX90A:TG_SPLIT: 0
	.section	.text._ZN9rocsparseL41csrgemm_numeric_fill_block_per_row_kernelILj256ELj32ELj512ELj137ELj64Ell21rocsparse_complex_numIdEEEvT5_PKS3_S5_NS_24const_host_device_scalarIT6_EEPKT4_S5_PKS7_SB_S5_SD_S8_SB_S5_SD_SB_S5_PS7_21rocsparse_index_base_SF_SF_SF_bbb,"axG",@progbits,_ZN9rocsparseL41csrgemm_numeric_fill_block_per_row_kernelILj256ELj32ELj512ELj137ELj64Ell21rocsparse_complex_numIdEEEvT5_PKS3_S5_NS_24const_host_device_scalarIT6_EEPKT4_S5_PKS7_SB_S5_SD_S8_SB_S5_SD_SB_S5_PS7_21rocsparse_index_base_SF_SF_SF_bbb,comdat
	.globl	_ZN9rocsparseL41csrgemm_numeric_fill_block_per_row_kernelILj256ELj32ELj512ELj137ELj64Ell21rocsparse_complex_numIdEEEvT5_PKS3_S5_NS_24const_host_device_scalarIT6_EEPKT4_S5_PKS7_SB_S5_SD_S8_SB_S5_SD_SB_S5_PS7_21rocsparse_index_base_SF_SF_SF_bbb ; -- Begin function _ZN9rocsparseL41csrgemm_numeric_fill_block_per_row_kernelILj256ELj32ELj512ELj137ELj64Ell21rocsparse_complex_numIdEEEvT5_PKS3_S5_NS_24const_host_device_scalarIT6_EEPKT4_S5_PKS7_SB_S5_SD_S8_SB_S5_SD_SB_S5_PS7_21rocsparse_index_base_SF_SF_SF_bbb
	.p2align	8
	.type	_ZN9rocsparseL41csrgemm_numeric_fill_block_per_row_kernelILj256ELj32ELj512ELj137ELj64Ell21rocsparse_complex_numIdEEEvT5_PKS3_S5_NS_24const_host_device_scalarIT6_EEPKT4_S5_PKS7_SB_S5_SD_S8_SB_S5_SD_SB_S5_PS7_21rocsparse_index_base_SF_SF_SF_bbb,@function
_ZN9rocsparseL41csrgemm_numeric_fill_block_per_row_kernelILj256ELj32ELj512ELj137ELj64Ell21rocsparse_complex_numIdEEEvT5_PKS3_S5_NS_24const_host_device_scalarIT6_EEPKT4_S5_PKS7_SB_S5_SD_S8_SB_S5_SD_SB_S5_PS7_21rocsparse_index_base_SF_SF_SF_bbb: ; @_ZN9rocsparseL41csrgemm_numeric_fill_block_per_row_kernelILj256ELj32ELj512ELj137ELj64Ell21rocsparse_complex_numIdEEEvT5_PKS3_S5_NS_24const_host_device_scalarIT6_EEPKT4_S5_PKS7_SB_S5_SD_S8_SB_S5_SD_SB_S5_PS7_21rocsparse_index_base_SF_SF_SF_bbb
; %bb.0:
	s_load_dword s3, s[0:1], 0xa8
	s_load_dwordx4 s[12:15], s[0:1], 0x18
	s_load_dwordx4 s[8:11], s[0:1], 0x58
	v_mov_b64_e32 v[6:7], 0
	v_mov_b64_e32 v[10:11], 0
	s_waitcnt lgkmcnt(0)
	s_bitcmp1_b32 s3, 0
	s_cselect_b64 s[38:39], -1, 0
	s_bitcmp1_b32 s3, 16
	s_cselect_b64 s[6:7], -1, 0
	s_xor_b64 s[4:5], s[6:7], -1
	v_mov_b64_e32 v[2:3], s[12:13]
	v_cndmask_b32_e64 v1, 0, 1, s[4:5]
	scratch_store_dwordx2 off, v[2:3], off offset:16
	v_mov_b64_e32 v[2:3], s[8:9]
	s_bitcmp0_b32 s3, 0
	v_cmp_ne_u32_e64 s[4:5], 1, v1
	v_mov_b64_e32 v[12:13], 0
	scratch_store_dwordx2 off, v[2:3], off offset:24
	s_cbranch_scc1 .LBB145_3
; %bb.1:
	s_mov_b64 s[16:17], src_private_base
	s_and_b64 s[18:19], s[6:7], exec
	s_cselect_b32 s16, s17, s13
	s_cselect_b32 s17, 16, s12
	v_mov_b32_e32 v2, s17
	v_mov_b32_e32 v3, s16
	flat_load_dwordx2 v[10:11], v[2:3]
	s_and_b64 vcc, exec, s[4:5]
	v_mov_b64_e32 v[12:13], s[14:15]
	s_cbranch_vccnz .LBB145_3
; %bb.2:
	v_mov_b64_e32 v[2:3], s[12:13]
	flat_load_dwordx2 v[12:13], v[2:3] offset:8
.LBB145_3:
	s_load_dwordx4 s[20:23], s[0:1], 0x98
	s_bitcmp1_b32 s3, 8
	s_cselect_b64 s[36:37], -1, 0
	s_bfe_u32 s3, s3, 0x10008
	s_cmp_eq_u32 s3, 0
	v_mov_b64_e32 v[8:9], 0
	s_cbranch_scc1 .LBB145_6
; %bb.4:
	s_mov_b64 s[12:13], src_private_base
	s_and_b64 s[6:7], s[6:7], exec
	s_cselect_b32 s3, s13, s9
	s_cselect_b32 s6, 24, s8
	v_mov_b32_e32 v2, s6
	v_mov_b32_e32 v3, s3
	flat_load_dwordx2 v[8:9], v[2:3]
	s_and_b64 vcc, exec, s[4:5]
	v_mov_b64_e32 v[6:7], s[10:11]
	s_cbranch_vccnz .LBB145_6
; %bb.5:
	v_mov_b64_e32 v[2:3], s[8:9]
	flat_load_dwordx2 v[6:7], v[2:3] offset:8
.LBB145_6:
	s_load_dwordx2 s[34:35], s[0:1], 0x90
	s_load_dwordx8 s[4:11], s[0:1], 0x68
	s_load_dwordx4 s[28:31], s[0:1], 0x48
	s_load_dwordx4 s[24:27], s[0:1], 0x0
	s_load_dwordx2 s[40:41], s[0:1], 0x10
	s_load_dwordx8 s[12:19], s[0:1], 0x28
	s_movk_i32 s0, 0x200
	v_cmp_gt_u32_e64 s[0:1], s0, v0
	v_lshl_add_u32 v34, v0, 4, 0
	v_lshl_add_u32 v1, v0, 3, 0
	s_and_saveexec_b64 s[42:43], s[0:1]
	s_cbranch_execz .LBB145_9
; %bb.7:
	s_mov_b32 s46, 0
	s_mov_b32 s47, s46
	;; [unrolled: 1-line block ×4, first 2 shown]
	v_add_u32_e32 v14, 0x1000, v34
	v_or_b32_e32 v15, 0xffffff00, v0
	v_lshl_add_u32 v16, v0, 3, 0
	s_mov_b64 s[44:45], 0
	s_waitcnt lgkmcnt(0)
	v_mov_b64_e32 v[18:19], s[24:25]
	v_mov_b64_e32 v[2:3], s[46:47]
	v_mov_b64_e32 v[4:5], s[48:49]
.LBB145_8:                              ; =>This Inner Loop Header: Depth=1
	v_add_co_u32_e32 v15, vcc, 0x100, v15
	s_xor_b64 s[46:47], vcc, -1
	s_and_b64 s[46:47], exec, s[46:47]
	ds_write_b64 v16, v[18:19]
	ds_write2_b64 v14, v[2:3], v[4:5] offset1:1
	v_add_u32_e32 v14, 0x1000, v14
	s_or_b64 s[44:45], s[46:47], s[44:45]
	v_add_u32_e32 v16, 0x800, v16
	s_andn2_b64 exec, exec, s[44:45]
	s_cbranch_execnz .LBB145_8
.LBB145_9:
	s_or_b64 exec, exec, s[42:43]
	s_waitcnt lgkmcnt(0)
	s_barrier
	s_load_dwordx2 s[26:27], s[26:27], 0x0
	s_mov_b32 s3, 0
	s_waitcnt lgkmcnt(0)
	s_lshl_b64 s[26:27], s[26:27], 3
	s_add_u32 s26, s40, s26
	s_addc_u32 s27, s41, s27
	s_lshl_b64 s[2:3], s[2:3], 3
	s_add_u32 s2, s26, s2
	s_addc_u32 s3, s27, s3
	s_load_dwordx2 s[26:27], s[2:3], 0x0
	s_and_b64 vcc, exec, s[38:39]
	s_cbranch_vccz .LBB145_29
; %bb.10:
	s_waitcnt lgkmcnt(0)
	s_lshl_b64 s[2:3], s[26:27], 3
	s_add_u32 s2, s12, s2
	s_addc_u32 s3, s13, s3
	s_load_dwordx4 s[40:43], s[2:3], 0x0
	v_lshrrev_b32_e32 v2, 5, v0
	v_subrev_co_u32_e32 v2, vcc, s20, v2
	s_waitcnt lgkmcnt(0)
	s_sub_u32 s2, s42, s20
	v_subb_co_u32_e64 v3, s[12:13], 0, 0, vcc
	s_subb_u32 s3, s43, 0
	v_lshl_add_u64 v[14:15], s[40:41], 0, v[2:3]
	v_cmp_gt_i64_e32 vcc, s[2:3], v[14:15]
	s_and_saveexec_b64 s[12:13], vcc
	s_cbranch_execz .LBB145_28
; %bb.11:
	v_and_b32_e32 v2, 31, v0
	v_subrev_co_u32_e32 v16, vcc, s21, v2
	s_mov_b32 s33, s21
	s_nop 0
	v_subb_co_u32_e64 v17, s[38:39], 0, 0, vcc
	s_mov_b64 s[38:39], 0
	s_movk_i32 s21, 0x89
	s_branch .LBB145_13
.LBB145_12:                             ;   in Loop: Header=BB145_13 Depth=1
	s_or_b64 exec, exec, s[40:41]
	v_lshl_add_u64 v[14:15], v[14:15], 0, 8
	v_cmp_le_i64_e32 vcc, s[2:3], v[14:15]
	s_or_b64 s[38:39], vcc, s[38:39]
	s_andn2_b64 exec, exec, s[38:39]
	s_cbranch_execz .LBB145_28
.LBB145_13:                             ; =>This Loop Header: Depth=1
                                        ;     Child Loop BB145_17 Depth 2
                                        ;       Child Loop BB145_20 Depth 3
	v_lshl_add_u64 v[2:3], v[14:15], 3, s[14:15]
	global_load_dwordx2 v[2:3], v[2:3], off
	s_waitcnt vmcnt(0)
	v_subrev_co_u32_e32 v2, vcc, s20, v2
	s_nop 1
	v_subbrev_co_u32_e32 v3, vcc, 0, v3, vcc
	v_lshl_add_u64 v[2:3], v[2:3], 3, s[18:19]
	global_load_dwordx4 v[2:5], v[2:3], off
	s_waitcnt vmcnt(0)
	v_subrev_co_u32_e32 v18, vcc, s33, v4
	s_nop 1
	v_subbrev_co_u32_e32 v19, vcc, 0, v5, vcc
	v_lshl_add_u64 v[20:21], v[2:3], 0, v[16:17]
	v_cmp_lt_i64_e32 vcc, v[20:21], v[18:19]
	s_and_saveexec_b64 s[40:41], vcc
	s_cbranch_execz .LBB145_12
; %bb.14:                               ;   in Loop: Header=BB145_13 Depth=1
	v_lshl_add_u64 v[2:3], v[14:15], 4, s[16:17]
	global_load_dwordx4 v[2:5], v[2:3], off
	s_mov_b64 s[42:43], 0
	s_waitcnt vmcnt(0)
	v_mul_f64 v[22:23], v[4:5], -v[12:13]
	v_mul_f64 v[24:25], v[10:11], v[4:5]
	v_fmac_f64_e32 v[22:23], v[10:11], v[2:3]
	v_fmac_f64_e32 v[24:25], v[12:13], v[2:3]
	s_branch .LBB145_17
.LBB145_15:                             ;   in Loop: Header=BB145_17 Depth=2
	s_or_b64 exec, exec, s[46:47]
.LBB145_16:                             ;   in Loop: Header=BB145_17 Depth=2
	s_or_b64 exec, exec, s[44:45]
	s_waitcnt vmcnt(0)
	v_mul_f64 v[28:29], v[4:5], -v[24:25]
	v_mul_f64 v[4:5], v[22:23], v[4:5]
	v_fmac_f64_e32 v[28:29], v[22:23], v[2:3]
	v_fmac_f64_e32 v[4:5], v[24:25], v[2:3]
	v_lshl_add_u32 v2, v26, 4, 0
	ds_add_f64 v2, v[28:29] offset:4096
	ds_add_f64 v2, v[4:5] offset:4104
	v_lshl_add_u64 v[20:21], v[20:21], 0, 32
	v_cmp_ge_i64_e32 vcc, v[20:21], v[18:19]
	s_or_b64 s[42:43], vcc, s[42:43]
	s_andn2_b64 exec, exec, s[42:43]
	s_cbranch_execz .LBB145_12
.LBB145_17:                             ;   Parent Loop BB145_13 Depth=1
                                        ; =>  This Loop Header: Depth=2
                                        ;       Child Loop BB145_20 Depth 3
	v_lshl_add_u64 v[2:3], v[20:21], 3, s[28:29]
	global_load_dwordx2 v[26:27], v[2:3], off
	v_lshl_add_u64 v[2:3], v[20:21], 4, s[30:31]
	global_load_dwordx4 v[2:5], v[2:3], off
	s_waitcnt vmcnt(1)
	v_subrev_co_u32_e32 v28, vcc, s33, v26
	v_mul_lo_u32 v26, v28, s21
	v_and_b32_e32 v26, 0x1ff, v26
	v_lshl_add_u32 v35, v26, 3, 0
	ds_read_b64 v[32:33], v35
	v_subbrev_co_u32_e32 v29, vcc, 0, v27, vcc
	s_waitcnt lgkmcnt(0)
	v_cmp_ne_u64_e32 vcc, v[32:33], v[28:29]
	s_and_saveexec_b64 s[44:45], vcc
	s_cbranch_execz .LBB145_16
; %bb.18:                               ;   in Loop: Header=BB145_17 Depth=2
	s_mov_b64 s[46:47], 0
                                        ; implicit-def: $sgpr48_sgpr49
                                        ; implicit-def: $sgpr50_sgpr51
	s_branch .LBB145_20
.LBB145_19:                             ;   in Loop: Header=BB145_20 Depth=3
	s_or_b64 exec, exec, s[56:57]
	s_and_b64 s[52:53], exec, s[54:55]
	s_or_b64 s[46:47], s[52:53], s[46:47]
	s_andn2_b64 s[48:49], s[48:49], exec
	s_and_b64 s[52:53], s[50:51], exec
	s_or_b64 s[48:49], s[48:49], s[52:53]
	s_andn2_b64 exec, exec, s[46:47]
	s_cbranch_execz .LBB145_26
.LBB145_20:                             ;   Parent Loop BB145_13 Depth=1
                                        ;     Parent Loop BB145_17 Depth=2
                                        ; =>    This Inner Loop Header: Depth=3
	v_mov_b64_e32 v[30:31], v[26:27]
	v_cmp_ne_u64_e32 vcc, s[24:25], v[32:33]
	s_mov_b64 s[52:53], 0
                                        ; implicit-def: $vgpr26_vgpr27
	s_and_saveexec_b64 s[54:55], vcc
	s_xor_b64 s[54:55], exec, s[54:55]
; %bb.21:                               ;   in Loop: Header=BB145_20 Depth=3
	v_add_u32_e32 v26, 1, v30
	s_mov_b64 s[52:53], exec
	v_and_b32_e32 v26, 0x1ff, v26
                                        ; implicit-def: $vgpr35
; %bb.22:                               ;   in Loop: Header=BB145_20 Depth=3
	s_andn2_saveexec_b64 s[54:55], s[54:55]
	s_cbranch_execz .LBB145_24
; %bb.23:                               ;   in Loop: Header=BB145_20 Depth=3
	v_mov_b64_e32 v[26:27], s[24:25]
	ds_cmpst_rtn_b64 v[26:27], v35, v[26:27], v[28:29]
	s_andn2_b64 s[52:53], s[52:53], exec
	s_waitcnt lgkmcnt(0)
	v_cmp_ne_u64_e32 vcc, s[24:25], v[26:27]
	s_and_b64 s[56:57], vcc, exec
	s_or_b64 s[52:53], s[52:53], s[56:57]
	v_mov_b64_e32 v[26:27], v[30:31]
.LBB145_24:                             ;   in Loop: Header=BB145_20 Depth=3
	s_or_b64 exec, exec, s[54:55]
	s_mov_b64 s[54:55], -1
	s_or_b64 s[50:51], s[50:51], exec
                                        ; implicit-def: $vgpr35
                                        ; implicit-def: $vgpr32_vgpr33
	s_and_saveexec_b64 s[56:57], s[52:53]
	s_cbranch_execz .LBB145_19
; %bb.25:                               ;   in Loop: Header=BB145_20 Depth=3
	v_lshl_add_u32 v35, v26, 3, 0
	ds_read_b64 v[32:33], v35
	s_andn2_b64 s[50:51], s[50:51], exec
	s_waitcnt lgkmcnt(0)
	v_cmp_eq_u64_e32 vcc, v[32:33], v[28:29]
	s_orn2_b64 s[54:55], vcc, exec
	s_branch .LBB145_19
.LBB145_26:                             ;   in Loop: Header=BB145_17 Depth=2
	s_or_b64 exec, exec, s[46:47]
	s_and_saveexec_b64 s[46:47], s[48:49]
	s_xor_b64 s[46:47], exec, s[46:47]
	s_cbranch_execz .LBB145_15
; %bb.27:                               ;   in Loop: Header=BB145_17 Depth=2
	v_mov_b32_e32 v26, v30
	s_branch .LBB145_15
.LBB145_28:
	s_or_b64 exec, exec, s[12:13]
.LBB145_29:
	s_andn2_b64 vcc, exec, s[36:37]
	s_cbranch_vccnz .LBB145_46
; %bb.30:
	s_waitcnt lgkmcnt(0)
	s_lshl_b64 s[2:3], s[26:27], 3
	s_add_u32 s2, s4, s2
	s_addc_u32 s3, s5, s3
	s_load_dwordx4 s[12:15], s[2:3], 0x0
	v_subrev_co_u32_e32 v2, vcc, s23, v0
	s_waitcnt lgkmcnt(0)
	s_sub_u32 s2, s14, s23
	v_subb_co_u32_e64 v3, s[4:5], 0, 0, vcc
	s_subb_u32 s3, s15, 0
	s_waitcnt vmcnt(0)
	v_lshl_add_u64 v[10:11], s[12:13], 0, v[2:3]
	v_cmp_gt_i64_e32 vcc, s[2:3], v[10:11]
	s_and_saveexec_b64 s[4:5], vcc
	s_cbranch_execz .LBB145_45
; %bb.31:
	s_mov_b32 s33, s23
	s_mov_b64 s[12:13], 0
	s_movk_i32 s23, 0x89
	s_mov_b64 s[14:15], 0x100
	s_branch .LBB145_34
.LBB145_32:                             ;   in Loop: Header=BB145_34 Depth=1
	s_or_b64 exec, exec, s[18:19]
.LBB145_33:                             ;   in Loop: Header=BB145_34 Depth=1
	s_or_b64 exec, exec, s[16:17]
	s_waitcnt vmcnt(0)
	v_mul_f64 v[14:15], v[4:5], -v[6:7]
	v_mul_f64 v[4:5], v[8:9], v[4:5]
	v_fmac_f64_e32 v[14:15], v[8:9], v[2:3]
	v_fmac_f64_e32 v[4:5], v[6:7], v[2:3]
	v_lshl_add_u32 v2, v12, 4, 0
	ds_add_f64 v2, v[14:15] offset:4096
	ds_add_f64 v2, v[4:5] offset:4104
	v_lshl_add_u64 v[10:11], v[10:11], 0, s[14:15]
	v_cmp_le_i64_e32 vcc, s[2:3], v[10:11]
	s_or_b64 s[12:13], vcc, s[12:13]
	s_andn2_b64 exec, exec, s[12:13]
	s_cbranch_execz .LBB145_45
.LBB145_34:                             ; =>This Loop Header: Depth=1
                                        ;     Child Loop BB145_37 Depth 2
	v_lshl_add_u64 v[2:3], v[10:11], 3, s[6:7]
	global_load_dwordx2 v[12:13], v[2:3], off
	v_lshl_add_u64 v[2:3], v[10:11], 4, s[8:9]
	global_load_dwordx4 v[2:5], v[2:3], off
	s_waitcnt vmcnt(1)
	v_subrev_co_u32_e32 v14, vcc, s33, v12
	v_mul_lo_u32 v12, v14, s23
	v_and_b32_e32 v12, 0x1ff, v12
	v_lshl_add_u32 v20, v12, 3, 0
	ds_read_b64 v[18:19], v20
	v_subbrev_co_u32_e32 v15, vcc, 0, v13, vcc
	s_waitcnt lgkmcnt(0)
	v_cmp_ne_u64_e32 vcc, v[18:19], v[14:15]
	s_and_saveexec_b64 s[16:17], vcc
	s_cbranch_execz .LBB145_33
; %bb.35:                               ;   in Loop: Header=BB145_34 Depth=1
	s_mov_b64 s[18:19], 0
                                        ; implicit-def: $sgpr20_sgpr21
                                        ; implicit-def: $sgpr28_sgpr29
	s_branch .LBB145_37
.LBB145_36:                             ;   in Loop: Header=BB145_37 Depth=2
	s_or_b64 exec, exec, s[38:39]
	s_and_b64 s[30:31], exec, s[36:37]
	s_or_b64 s[18:19], s[30:31], s[18:19]
	s_andn2_b64 s[20:21], s[20:21], exec
	s_and_b64 s[30:31], s[28:29], exec
	s_or_b64 s[20:21], s[20:21], s[30:31]
	s_andn2_b64 exec, exec, s[18:19]
	s_cbranch_execz .LBB145_43
.LBB145_37:                             ;   Parent Loop BB145_34 Depth=1
                                        ; =>  This Inner Loop Header: Depth=2
	v_mov_b64_e32 v[16:17], v[12:13]
	v_cmp_ne_u64_e32 vcc, s[24:25], v[18:19]
	s_mov_b64 s[30:31], 0
                                        ; implicit-def: $vgpr12_vgpr13
	s_and_saveexec_b64 s[36:37], vcc
	s_xor_b64 s[36:37], exec, s[36:37]
; %bb.38:                               ;   in Loop: Header=BB145_37 Depth=2
	v_add_u32_e32 v12, 1, v16
	s_mov_b64 s[30:31], exec
	v_and_b32_e32 v12, 0x1ff, v12
                                        ; implicit-def: $vgpr20
; %bb.39:                               ;   in Loop: Header=BB145_37 Depth=2
	s_andn2_saveexec_b64 s[36:37], s[36:37]
	s_cbranch_execz .LBB145_41
; %bb.40:                               ;   in Loop: Header=BB145_37 Depth=2
	v_mov_b64_e32 v[12:13], s[24:25]
	ds_cmpst_rtn_b64 v[12:13], v20, v[12:13], v[14:15]
	s_andn2_b64 s[30:31], s[30:31], exec
	s_waitcnt lgkmcnt(0)
	v_cmp_ne_u64_e32 vcc, s[24:25], v[12:13]
	s_and_b64 s[38:39], vcc, exec
	s_or_b64 s[30:31], s[30:31], s[38:39]
	v_mov_b64_e32 v[12:13], v[16:17]
.LBB145_41:                             ;   in Loop: Header=BB145_37 Depth=2
	s_or_b64 exec, exec, s[36:37]
	s_mov_b64 s[36:37], -1
	s_or_b64 s[28:29], s[28:29], exec
                                        ; implicit-def: $vgpr20
                                        ; implicit-def: $vgpr18_vgpr19
	s_and_saveexec_b64 s[38:39], s[30:31]
	s_cbranch_execz .LBB145_36
; %bb.42:                               ;   in Loop: Header=BB145_37 Depth=2
	v_lshl_add_u32 v20, v12, 3, 0
	ds_read_b64 v[18:19], v20
	s_andn2_b64 s[28:29], s[28:29], exec
	s_waitcnt lgkmcnt(0)
	v_cmp_eq_u64_e32 vcc, v[18:19], v[14:15]
	s_orn2_b64 s[36:37], vcc, exec
	s_branch .LBB145_36
.LBB145_43:                             ;   in Loop: Header=BB145_34 Depth=1
	s_or_b64 exec, exec, s[18:19]
	s_and_saveexec_b64 s[18:19], s[20:21]
	s_xor_b64 s[18:19], exec, s[18:19]
	s_cbranch_execz .LBB145_32
; %bb.44:                               ;   in Loop: Header=BB145_34 Depth=1
	v_mov_b32_e32 v12, v16
	s_branch .LBB145_32
.LBB145_45:
	s_or_b64 exec, exec, s[4:5]
.LBB145_46:
	s_waitcnt lgkmcnt(0)
	s_barrier
	s_and_saveexec_b64 s[8:9], s[0:1]
	s_cbranch_execz .LBB145_59
; %bb.47:
	v_mbcnt_lo_u32_b32 v2, -1, 0
	v_mbcnt_hi_u32_b32 v2, -1, v2
	v_sub_u32_e32 v2, 63, v2
	v_lshrrev_b64 v[4:5], v2, -1
	v_lshrrev_b32_e32 v2, 3, v0
	v_and_b32_e32 v2, 24, v2
	s_movk_i32 s0, 0xff
	s_movk_i32 s4, 0x7f
	;; [unrolled: 1-line block ×3, first 2 shown]
	v_mov_b32_e32 v3, 0
	s_waitcnt vmcnt(0)
	v_add_u32_e32 v12, 0, v2
	v_cmp_eq_u32_e64 s[0:1], s0, v0
	v_cmp_lt_u32_e64 s[2:3], 63, v0
	v_cmp_lt_u32_e64 s[4:5], s4, v0
	;; [unrolled: 1-line block ×3, first 2 shown]
	v_add_u32_e32 v13, 0x1000, v34
	v_or_b32_e32 v14, 0xffffff00, v0
	s_mov_b64 s[12:13], 0
	v_mov_b64_e32 v[6:7], 0
	s_branch .LBB145_49
.LBB145_48:                             ;   in Loop: Header=BB145_49 Depth=1
	s_or_b64 exec, exec, s[14:15]
	s_waitcnt lgkmcnt(0)
	s_barrier
	ds_read_b64 v[8:9], v3 offset:12312
	v_add_co_u32_e32 v14, vcc, 0x100, v14
	s_xor_b64 s[14:15], vcc, -1
	s_and_b64 s[14:15], exec, s[14:15]
	v_add_u32_e32 v13, 0x1000, v13
	s_waitcnt lgkmcnt(0)
	v_lshl_add_u64 v[6:7], v[8:9], 0, v[6:7]
	s_or_b64 s[12:13], s[14:15], s[12:13]
	v_add_u32_e32 v1, 0x800, v1
	s_andn2_b64 exec, exec, s[12:13]
	s_cbranch_execz .LBB145_59
.LBB145_49:                             ; =>This Inner Loop Header: Depth=1
	ds_read2_b64 v[16:19], v13 offset1:1
	ds_read_b64 v[8:9], v1
	s_waitcnt lgkmcnt(1)
	scratch_store_dwordx4 off, v[16:19], off
	s_waitcnt lgkmcnt(0)
	v_cmp_gt_i64_e32 vcc, s[24:25], v[8:9]
	s_bcnt1_i32_b64 s14, vcc
	v_mov_b32_e32 v2, s14
	v_and_b32_e32 v11, vcc_lo, v4
	v_and_b32_e32 v10, vcc_hi, v5
	v_bcnt_u32_b32 v11, v11, 0
	v_bcnt_u32_b32 v10, v10, v11
	s_barrier
	ds_write_b64 v12, v[2:3] offset:12288
	s_waitcnt lgkmcnt(0)
	s_barrier
	s_and_saveexec_b64 s[14:15], s[2:3]
	s_cbranch_execnz .LBB145_54
; %bb.50:                               ;   in Loop: Header=BB145_49 Depth=1
	s_or_b64 exec, exec, s[14:15]
	s_and_saveexec_b64 s[14:15], s[4:5]
	s_cbranch_execnz .LBB145_55
.LBB145_51:                             ;   in Loop: Header=BB145_49 Depth=1
	s_or_b64 exec, exec, s[14:15]
	s_and_saveexec_b64 s[14:15], s[6:7]
	s_cbranch_execnz .LBB145_56
.LBB145_52:                             ;   in Loop: Header=BB145_49 Depth=1
	s_or_b64 exec, exec, s[14:15]
	v_ashrrev_i32_e32 v11, 31, v10
	s_and_saveexec_b64 s[14:15], vcc
	s_cbranch_execnz .LBB145_57
.LBB145_53:                             ;   in Loop: Header=BB145_49 Depth=1
	s_or_b64 exec, exec, s[14:15]
	s_and_saveexec_b64 s[14:15], s[0:1]
	s_cbranch_execz .LBB145_48
	s_branch .LBB145_58
.LBB145_54:                             ;   in Loop: Header=BB145_49 Depth=1
	ds_read_b32 v2, v3 offset:12288
	s_waitcnt lgkmcnt(0)
	v_add_u32_e32 v10, v2, v10
	s_or_b64 exec, exec, s[14:15]
	s_and_saveexec_b64 s[14:15], s[4:5]
	s_cbranch_execz .LBB145_51
.LBB145_55:                             ;   in Loop: Header=BB145_49 Depth=1
	ds_read_b32 v2, v3 offset:12296
	s_waitcnt lgkmcnt(0)
	v_add_u32_e32 v10, v10, v2
	s_or_b64 exec, exec, s[14:15]
	s_and_saveexec_b64 s[14:15], s[6:7]
	s_cbranch_execz .LBB145_52
.LBB145_56:                             ;   in Loop: Header=BB145_49 Depth=1
	ds_read_b32 v2, v3 offset:12304
	s_waitcnt lgkmcnt(0)
	v_add_u32_e32 v10, v10, v2
	s_or_b64 exec, exec, s[14:15]
	v_ashrrev_i32_e32 v11, 31, v10
	s_and_saveexec_b64 s[14:15], vcc
	s_cbranch_execz .LBB145_53
.LBB145_57:                             ;   in Loop: Header=BB145_49 Depth=1
	scratch_load_dwordx4 v[16:19], off, off
	v_add3_u32 v2, v6, -1, v10
	v_add_u32_e32 v15, v6, v10
	v_lshl_add_u32 v2, v2, 3, 0
	v_lshl_add_u32 v15, v15, 4, 0
	v_add_u32_e32 v15, 0xff0, v15
	ds_write_b64 v2, v[8:9]
	s_waitcnt vmcnt(0)
	ds_write2_b64 v15, v[16:17], v[18:19] offset1:1
	s_or_b64 exec, exec, s[14:15]
	s_and_saveexec_b64 s[14:15], s[0:1]
	s_cbranch_execz .LBB145_48
.LBB145_58:                             ;   in Loop: Header=BB145_49 Depth=1
	ds_write_b64 v3, v[10:11] offset:12312
	s_branch .LBB145_48
.LBB145_59:
	s_or_b64 exec, exec, s[8:9]
	s_lshl_b64 s[0:1], s[26:27], 3
	s_add_u32 s4, s10, s0
	s_addc_u32 s5, s11, s1
	s_load_dwordx4 s[0:3], s[4:5], 0x0
	v_mov_b32_e32 v1, 0
	s_waitcnt lgkmcnt(0)
	s_sub_u32 s4, s2, s0
	s_subb_u32 s5, s3, s1
	v_cmp_gt_i64_e32 vcc, s[4:5], v[0:1]
	s_and_saveexec_b64 s[6:7], vcc
	s_cbranch_execz .LBB145_69
; %bb.60:
	s_sub_u32 s8, s0, s22
	s_subb_u32 s9, s1, 0
	s_and_b32 s6, s4, 7
	s_sub_u32 s0, s0, s2
	s_mov_b32 s7, 0
	s_subb_u32 s1, s1, s3
	s_and_b32 s10, s4, -8
	s_cmp_lg_u64 s[6:7], 0
	v_cmp_lt_u64_e64 s[0:1], s[0:1], -7
	s_cselect_b64 s[2:3], -1, 0
	s_mov_b32 s11, s5
	v_cndmask_b32_e64 v2, 0, 1, s[0:1]
	v_cmp_ne_u32_e64 s[0:1], 1, v2
	v_cndmask_b32_e64 v2, 0, 1, s[2:3]
	s_mov_b64 s[12:13], 0
	v_cmp_ne_u32_e64 s[2:3], 1, v2
	s_movk_i32 s18, 0x1000
	s_mov_b64 s[14:15], 0x100
	s_waitcnt vmcnt(0)
	s_branch .LBB145_62
.LBB145_61:                             ;   in Loop: Header=BB145_62 Depth=1
	s_waitcnt lgkmcnt(0)
	v_lshlrev_b32_e32 v2, 3, v0
	v_add3_u32 v2, v6, v2, s18
	ds_read2_b64 v[6:9], v2 offset1:1
	v_lshl_add_u64 v[0:1], v[0:1], 0, s[14:15]
	v_cmp_le_i64_e32 vcc, s[4:5], v[0:1]
	v_lshl_add_u64 v[2:3], v[4:5], 4, s[34:35]
	s_or_b64 s[12:13], vcc, s[12:13]
	s_waitcnt lgkmcnt(0)
	global_store_dwordx4 v[2:3], v[6:9], off
	s_andn2_b64 exec, exec, s[12:13]
	s_cbranch_execz .LBB145_69
.LBB145_62:                             ; =>This Loop Header: Depth=1
                                        ;     Child Loop BB145_64 Depth 2
                                        ;     Child Loop BB145_68 Depth 2
	v_lshl_add_u32 v6, v0, 3, 0
	ds_read_b64 v[2:3], v6
	s_and_b64 vcc, exec, s[0:1]
	v_mov_b64_e32 v[4:5], s[8:9]
	s_mov_b64 s[16:17], 0
	s_cbranch_vccnz .LBB145_66
; %bb.63:                               ;   in Loop: Header=BB145_62 Depth=1
	s_mov_b32 s19, 0
	v_mov_b64_e32 v[4:5], s[8:9]
.LBB145_64:                             ;   Parent Loop BB145_62 Depth=1
                                        ; =>  This Inner Loop Header: Depth=2
	v_mov_b32_e32 v7, s19
	ds_read2_b64 v[8:11], v7 offset1:1
	ds_read2_b64 v[12:15], v7 offset0:2 offset1:3
	ds_read2_b64 v[16:19], v7 offset0:4 offset1:5
	;; [unrolled: 1-line block ×3, first 2 shown]
	v_mov_b32_e32 v25, s7
	s_waitcnt lgkmcnt(3)
	v_cmp_gt_i64_e32 vcc, v[2:3], v[8:9]
	v_mov_b32_e32 v27, s7
	v_mov_b32_e32 v29, s7
	v_cndmask_b32_e64 v24, 0, 1, vcc
	v_cmp_gt_i64_e32 vcc, v[2:3], v[10:11]
	v_lshl_add_u64 v[4:5], v[4:5], 0, v[24:25]
	v_mov_b32_e32 v31, s7
	v_cndmask_b32_e64 v26, 0, 1, vcc
	s_waitcnt lgkmcnt(2)
	v_cmp_gt_i64_e32 vcc, v[2:3], v[12:13]
	v_lshl_add_u64 v[4:5], v[4:5], 0, v[26:27]
	v_mov_b32_e32 v33, s7
	v_cndmask_b32_e64 v28, 0, 1, vcc
	v_cmp_gt_i64_e32 vcc, v[2:3], v[14:15]
	v_lshl_add_u64 v[4:5], v[4:5], 0, v[28:29]
	v_mov_b32_e32 v35, s7
	v_cndmask_b32_e64 v30, 0, 1, vcc
	s_waitcnt lgkmcnt(1)
	v_cmp_gt_i64_e32 vcc, v[2:3], v[16:17]
	v_lshl_add_u64 v[4:5], v[4:5], 0, v[30:31]
	v_mov_b32_e32 v37, s7
	v_cndmask_b32_e64 v32, 0, 1, vcc
	v_cmp_gt_i64_e32 vcc, v[2:3], v[18:19]
	v_lshl_add_u64 v[4:5], v[4:5], 0, v[32:33]
	s_add_u32 s16, s16, 8
	v_cndmask_b32_e64 v34, 0, 1, vcc
	s_waitcnt lgkmcnt(0)
	v_cmp_gt_i64_e32 vcc, v[2:3], v[20:21]
	v_lshl_add_u64 v[4:5], v[4:5], 0, v[34:35]
	v_mov_b32_e32 v39, s7
	v_cndmask_b32_e64 v36, 0, 1, vcc
	v_cmp_gt_i64_e32 vcc, v[2:3], v[22:23]
	s_addc_u32 s17, s17, 0
	s_add_i32 s19, s19, 64
	v_cndmask_b32_e64 v38, 0, 1, vcc
	v_lshl_add_u64 v[4:5], v[4:5], 0, v[36:37]
	s_cmp_eq_u64 s[10:11], s[16:17]
	v_lshl_add_u64 v[4:5], v[4:5], 0, v[38:39]
	s_cbranch_scc0 .LBB145_64
; %bb.65:                               ;   in Loop: Header=BB145_62 Depth=1
	s_mov_b64 s[16:17], s[10:11]
.LBB145_66:                             ;   in Loop: Header=BB145_62 Depth=1
	s_and_b64 vcc, exec, s[2:3]
	s_cbranch_vccnz .LBB145_61
; %bb.67:                               ;   in Loop: Header=BB145_62 Depth=1
	s_lshl_b32 s16, s16, 3
	s_add_i32 s19, s16, 0
	s_mov_b64 s[16:17], s[6:7]
.LBB145_68:                             ;   Parent Loop BB145_62 Depth=1
                                        ; =>  This Inner Loop Header: Depth=2
	v_mov_b32_e32 v7, s19
	ds_read_b64 v[10:11], v7
	s_add_i32 s19, s19, 8
	s_add_u32 s16, s16, -1
	v_mov_b32_e32 v9, s7
	s_addc_u32 s17, s17, -1
	s_waitcnt lgkmcnt(0)
	v_cmp_gt_i64_e32 vcc, v[2:3], v[10:11]
	s_cmp_lg_u64 s[16:17], 0
	s_nop 0
	v_cndmask_b32_e64 v8, 0, 1, vcc
	v_lshl_add_u64 v[4:5], v[4:5], 0, v[8:9]
	s_cbranch_scc1 .LBB145_68
	s_branch .LBB145_61
.LBB145_69:
	s_endpgm
	.section	.rodata,"a",@progbits
	.p2align	6, 0x0
	.amdhsa_kernel _ZN9rocsparseL41csrgemm_numeric_fill_block_per_row_kernelILj256ELj32ELj512ELj137ELj64Ell21rocsparse_complex_numIdEEEvT5_PKS3_S5_NS_24const_host_device_scalarIT6_EEPKT4_S5_PKS7_SB_S5_SD_S8_SB_S5_SD_SB_S5_PS7_21rocsparse_index_base_SF_SF_SF_bbb
		.amdhsa_group_segment_fixed_size 0
		.amdhsa_private_segment_fixed_size 40
		.amdhsa_kernarg_size 172
		.amdhsa_user_sgpr_count 2
		.amdhsa_user_sgpr_dispatch_ptr 0
		.amdhsa_user_sgpr_queue_ptr 0
		.amdhsa_user_sgpr_kernarg_segment_ptr 1
		.amdhsa_user_sgpr_dispatch_id 0
		.amdhsa_user_sgpr_kernarg_preload_length 0
		.amdhsa_user_sgpr_kernarg_preload_offset 0
		.amdhsa_user_sgpr_private_segment_size 0
		.amdhsa_uses_dynamic_stack 0
		.amdhsa_enable_private_segment 1
		.amdhsa_system_sgpr_workgroup_id_x 1
		.amdhsa_system_sgpr_workgroup_id_y 0
		.amdhsa_system_sgpr_workgroup_id_z 0
		.amdhsa_system_sgpr_workgroup_info 0
		.amdhsa_system_vgpr_workitem_id 0
		.amdhsa_next_free_vgpr 40
		.amdhsa_next_free_sgpr 58
		.amdhsa_accum_offset 40
		.amdhsa_reserve_vcc 1
		.amdhsa_float_round_mode_32 0
		.amdhsa_float_round_mode_16_64 0
		.amdhsa_float_denorm_mode_32 3
		.amdhsa_float_denorm_mode_16_64 3
		.amdhsa_dx10_clamp 1
		.amdhsa_ieee_mode 1
		.amdhsa_fp16_overflow 0
		.amdhsa_tg_split 0
		.amdhsa_exception_fp_ieee_invalid_op 0
		.amdhsa_exception_fp_denorm_src 0
		.amdhsa_exception_fp_ieee_div_zero 0
		.amdhsa_exception_fp_ieee_overflow 0
		.amdhsa_exception_fp_ieee_underflow 0
		.amdhsa_exception_fp_ieee_inexact 0
		.amdhsa_exception_int_div_zero 0
	.end_amdhsa_kernel
	.section	.text._ZN9rocsparseL41csrgemm_numeric_fill_block_per_row_kernelILj256ELj32ELj512ELj137ELj64Ell21rocsparse_complex_numIdEEEvT5_PKS3_S5_NS_24const_host_device_scalarIT6_EEPKT4_S5_PKS7_SB_S5_SD_S8_SB_S5_SD_SB_S5_PS7_21rocsparse_index_base_SF_SF_SF_bbb,"axG",@progbits,_ZN9rocsparseL41csrgemm_numeric_fill_block_per_row_kernelILj256ELj32ELj512ELj137ELj64Ell21rocsparse_complex_numIdEEEvT5_PKS3_S5_NS_24const_host_device_scalarIT6_EEPKT4_S5_PKS7_SB_S5_SD_S8_SB_S5_SD_SB_S5_PS7_21rocsparse_index_base_SF_SF_SF_bbb,comdat
.Lfunc_end145:
	.size	_ZN9rocsparseL41csrgemm_numeric_fill_block_per_row_kernelILj256ELj32ELj512ELj137ELj64Ell21rocsparse_complex_numIdEEEvT5_PKS3_S5_NS_24const_host_device_scalarIT6_EEPKT4_S5_PKS7_SB_S5_SD_S8_SB_S5_SD_SB_S5_PS7_21rocsparse_index_base_SF_SF_SF_bbb, .Lfunc_end145-_ZN9rocsparseL41csrgemm_numeric_fill_block_per_row_kernelILj256ELj32ELj512ELj137ELj64Ell21rocsparse_complex_numIdEEEvT5_PKS3_S5_NS_24const_host_device_scalarIT6_EEPKT4_S5_PKS7_SB_S5_SD_S8_SB_S5_SD_SB_S5_PS7_21rocsparse_index_base_SF_SF_SF_bbb
                                        ; -- End function
	.set _ZN9rocsparseL41csrgemm_numeric_fill_block_per_row_kernelILj256ELj32ELj512ELj137ELj64Ell21rocsparse_complex_numIdEEEvT5_PKS3_S5_NS_24const_host_device_scalarIT6_EEPKT4_S5_PKS7_SB_S5_SD_S8_SB_S5_SD_SB_S5_PS7_21rocsparse_index_base_SF_SF_SF_bbb.num_vgpr, 40
	.set _ZN9rocsparseL41csrgemm_numeric_fill_block_per_row_kernelILj256ELj32ELj512ELj137ELj64Ell21rocsparse_complex_numIdEEEvT5_PKS3_S5_NS_24const_host_device_scalarIT6_EEPKT4_S5_PKS7_SB_S5_SD_S8_SB_S5_SD_SB_S5_PS7_21rocsparse_index_base_SF_SF_SF_bbb.num_agpr, 0
	.set _ZN9rocsparseL41csrgemm_numeric_fill_block_per_row_kernelILj256ELj32ELj512ELj137ELj64Ell21rocsparse_complex_numIdEEEvT5_PKS3_S5_NS_24const_host_device_scalarIT6_EEPKT4_S5_PKS7_SB_S5_SD_S8_SB_S5_SD_SB_S5_PS7_21rocsparse_index_base_SF_SF_SF_bbb.numbered_sgpr, 58
	.set _ZN9rocsparseL41csrgemm_numeric_fill_block_per_row_kernelILj256ELj32ELj512ELj137ELj64Ell21rocsparse_complex_numIdEEEvT5_PKS3_S5_NS_24const_host_device_scalarIT6_EEPKT4_S5_PKS7_SB_S5_SD_S8_SB_S5_SD_SB_S5_PS7_21rocsparse_index_base_SF_SF_SF_bbb.num_named_barrier, 0
	.set _ZN9rocsparseL41csrgemm_numeric_fill_block_per_row_kernelILj256ELj32ELj512ELj137ELj64Ell21rocsparse_complex_numIdEEEvT5_PKS3_S5_NS_24const_host_device_scalarIT6_EEPKT4_S5_PKS7_SB_S5_SD_S8_SB_S5_SD_SB_S5_PS7_21rocsparse_index_base_SF_SF_SF_bbb.private_seg_size, 40
	.set _ZN9rocsparseL41csrgemm_numeric_fill_block_per_row_kernelILj256ELj32ELj512ELj137ELj64Ell21rocsparse_complex_numIdEEEvT5_PKS3_S5_NS_24const_host_device_scalarIT6_EEPKT4_S5_PKS7_SB_S5_SD_S8_SB_S5_SD_SB_S5_PS7_21rocsparse_index_base_SF_SF_SF_bbb.uses_vcc, 1
	.set _ZN9rocsparseL41csrgemm_numeric_fill_block_per_row_kernelILj256ELj32ELj512ELj137ELj64Ell21rocsparse_complex_numIdEEEvT5_PKS3_S5_NS_24const_host_device_scalarIT6_EEPKT4_S5_PKS7_SB_S5_SD_S8_SB_S5_SD_SB_S5_PS7_21rocsparse_index_base_SF_SF_SF_bbb.uses_flat_scratch, 0
	.set _ZN9rocsparseL41csrgemm_numeric_fill_block_per_row_kernelILj256ELj32ELj512ELj137ELj64Ell21rocsparse_complex_numIdEEEvT5_PKS3_S5_NS_24const_host_device_scalarIT6_EEPKT4_S5_PKS7_SB_S5_SD_S8_SB_S5_SD_SB_S5_PS7_21rocsparse_index_base_SF_SF_SF_bbb.has_dyn_sized_stack, 0
	.set _ZN9rocsparseL41csrgemm_numeric_fill_block_per_row_kernelILj256ELj32ELj512ELj137ELj64Ell21rocsparse_complex_numIdEEEvT5_PKS3_S5_NS_24const_host_device_scalarIT6_EEPKT4_S5_PKS7_SB_S5_SD_S8_SB_S5_SD_SB_S5_PS7_21rocsparse_index_base_SF_SF_SF_bbb.has_recursion, 0
	.set _ZN9rocsparseL41csrgemm_numeric_fill_block_per_row_kernelILj256ELj32ELj512ELj137ELj64Ell21rocsparse_complex_numIdEEEvT5_PKS3_S5_NS_24const_host_device_scalarIT6_EEPKT4_S5_PKS7_SB_S5_SD_S8_SB_S5_SD_SB_S5_PS7_21rocsparse_index_base_SF_SF_SF_bbb.has_indirect_call, 0
	.section	.AMDGPU.csdata,"",@progbits
; Kernel info:
; codeLenInByte = 2828
; TotalNumSgprs: 64
; NumVgprs: 40
; NumAgprs: 0
; TotalNumVgprs: 40
; ScratchSize: 40
; MemoryBound: 0
; FloatMode: 240
; IeeeMode: 1
; LDSByteSize: 0 bytes/workgroup (compile time only)
; SGPRBlocks: 7
; VGPRBlocks: 4
; NumSGPRsForWavesPerEU: 64
; NumVGPRsForWavesPerEU: 40
; AccumOffset: 40
; Occupancy: 8
; WaveLimiterHint : 1
; COMPUTE_PGM_RSRC2:SCRATCH_EN: 1
; COMPUTE_PGM_RSRC2:USER_SGPR: 2
; COMPUTE_PGM_RSRC2:TRAP_HANDLER: 0
; COMPUTE_PGM_RSRC2:TGID_X_EN: 1
; COMPUTE_PGM_RSRC2:TGID_Y_EN: 0
; COMPUTE_PGM_RSRC2:TGID_Z_EN: 0
; COMPUTE_PGM_RSRC2:TIDIG_COMP_CNT: 0
; COMPUTE_PGM_RSRC3_GFX90A:ACCUM_OFFSET: 9
; COMPUTE_PGM_RSRC3_GFX90A:TG_SPLIT: 0
	.section	.text._ZN9rocsparseL41csrgemm_numeric_fill_block_per_row_kernelILj512ELj32ELj1024ELj137ELj32Ell21rocsparse_complex_numIdEEEvT5_PKS3_S5_NS_24const_host_device_scalarIT6_EEPKT4_S5_PKS7_SB_S5_SD_S8_SB_S5_SD_SB_S5_PS7_21rocsparse_index_base_SF_SF_SF_bbb,"axG",@progbits,_ZN9rocsparseL41csrgemm_numeric_fill_block_per_row_kernelILj512ELj32ELj1024ELj137ELj32Ell21rocsparse_complex_numIdEEEvT5_PKS3_S5_NS_24const_host_device_scalarIT6_EEPKT4_S5_PKS7_SB_S5_SD_S8_SB_S5_SD_SB_S5_PS7_21rocsparse_index_base_SF_SF_SF_bbb,comdat
	.globl	_ZN9rocsparseL41csrgemm_numeric_fill_block_per_row_kernelILj512ELj32ELj1024ELj137ELj32Ell21rocsparse_complex_numIdEEEvT5_PKS3_S5_NS_24const_host_device_scalarIT6_EEPKT4_S5_PKS7_SB_S5_SD_S8_SB_S5_SD_SB_S5_PS7_21rocsparse_index_base_SF_SF_SF_bbb ; -- Begin function _ZN9rocsparseL41csrgemm_numeric_fill_block_per_row_kernelILj512ELj32ELj1024ELj137ELj32Ell21rocsparse_complex_numIdEEEvT5_PKS3_S5_NS_24const_host_device_scalarIT6_EEPKT4_S5_PKS7_SB_S5_SD_S8_SB_S5_SD_SB_S5_PS7_21rocsparse_index_base_SF_SF_SF_bbb
	.p2align	8
	.type	_ZN9rocsparseL41csrgemm_numeric_fill_block_per_row_kernelILj512ELj32ELj1024ELj137ELj32Ell21rocsparse_complex_numIdEEEvT5_PKS3_S5_NS_24const_host_device_scalarIT6_EEPKT4_S5_PKS7_SB_S5_SD_S8_SB_S5_SD_SB_S5_PS7_21rocsparse_index_base_SF_SF_SF_bbb,@function
_ZN9rocsparseL41csrgemm_numeric_fill_block_per_row_kernelILj512ELj32ELj1024ELj137ELj32Ell21rocsparse_complex_numIdEEEvT5_PKS3_S5_NS_24const_host_device_scalarIT6_EEPKT4_S5_PKS7_SB_S5_SD_S8_SB_S5_SD_SB_S5_PS7_21rocsparse_index_base_SF_SF_SF_bbb: ; @_ZN9rocsparseL41csrgemm_numeric_fill_block_per_row_kernelILj512ELj32ELj1024ELj137ELj32Ell21rocsparse_complex_numIdEEEvT5_PKS3_S5_NS_24const_host_device_scalarIT6_EEPKT4_S5_PKS7_SB_S5_SD_S8_SB_S5_SD_SB_S5_PS7_21rocsparse_index_base_SF_SF_SF_bbb
; %bb.0:
	s_load_dword s3, s[0:1], 0xa8
	s_load_dwordx4 s[44:47], s[0:1], 0x98
	s_load_dwordx4 s[8:11], s[0:1], 0x18
	;; [unrolled: 1-line block ×3, first 2 shown]
	v_mov_b64_e32 v[6:7], 0
	s_waitcnt lgkmcnt(0)
	s_bitcmp1_b32 s3, 0
	s_cselect_b64 s[28:29], -1, 0
	s_bitcmp1_b32 s3, 16
	s_cselect_b64 s[30:31], -1, 0
	s_xor_b64 s[4:5], s[30:31], -1
	v_mov_b64_e32 v[2:3], s[8:9]
	v_cndmask_b32_e64 v1, 0, 1, s[4:5]
	scratch_store_dwordx2 off, v[2:3], off offset:16
	v_mov_b64_e32 v[2:3], s[24:25]
	s_bitcmp0_b32 s3, 0
	v_cmp_ne_u32_e64 s[4:5], 1, v1
	v_mov_b64_e32 v[10:11], 0
	v_mov_b64_e32 v[12:13], 0
	scratch_store_dwordx2 off, v[2:3], off offset:24
	s_cbranch_scc1 .LBB146_3
; %bb.1:
	s_mov_b64 s[6:7], src_private_base
	s_and_b64 s[12:13], s[30:31], exec
	s_cselect_b32 s6, s7, s9
	s_cselect_b32 s7, 16, s8
	v_mov_b32_e32 v2, s7
	v_mov_b32_e32 v3, s6
	flat_load_dwordx2 v[10:11], v[2:3]
	s_and_b64 vcc, exec, s[4:5]
	v_mov_b64_e32 v[12:13], s[10:11]
	s_cbranch_vccnz .LBB146_3
; %bb.2:
	v_mov_b64_e32 v[2:3], s[8:9]
	flat_load_dwordx2 v[12:13], v[2:3] offset:8
.LBB146_3:
	s_load_dwordx2 s[34:35], s[0:1], 0x90
	s_load_dwordx8 s[36:43], s[0:1], 0x68
	s_load_dwordx4 s[16:19], s[0:1], 0x48
	s_load_dwordx4 s[20:23], s[0:1], 0x8
	s_load_dwordx8 s[8:15], s[0:1], 0x28
	s_bitcmp1_b32 s3, 8
	s_cselect_b64 s[6:7], -1, 0
	s_bfe_u32 s3, s3, 0x10008
	s_cmp_eq_u32 s3, 0
	v_mov_b64_e32 v[8:9], 0
	s_cbranch_scc1 .LBB146_6
; %bb.4:
	s_mov_b64 s[48:49], src_private_base
	s_and_b64 s[30:31], s[30:31], exec
	s_cselect_b32 s3, s49, s25
	s_cselect_b32 s30, 24, s24
	v_mov_b32_e32 v2, s30
	v_mov_b32_e32 v3, s3
	flat_load_dwordx2 v[8:9], v[2:3]
	s_and_b64 vcc, exec, s[4:5]
	v_mov_b64_e32 v[6:7], s[26:27]
	s_cbranch_vccnz .LBB146_6
; %bb.5:
	v_mov_b64_e32 v[2:3], s[24:25]
	flat_load_dwordx2 v[6:7], v[2:3] offset:8
.LBB146_6:
	s_load_dwordx2 s[48:49], s[0:1], 0x0
	s_mov_b32 s4, 0
	v_lshl_add_u32 v1, v0, 4, 0
	v_add_u32_e32 v1, 0x2000, v1
	v_or_b32_e32 v34, 0xfffffe00, v0
	v_lshl_add_u32 v35, v0, 3, 0
	s_mov_b32 s5, s4
	s_mov_b32 s24, s4
	;; [unrolled: 1-line block ×3, first 2 shown]
	s_mov_b64 s[0:1], 0
	s_waitcnt lgkmcnt(0)
	v_mov_b64_e32 v[18:19], s[48:49]
	v_mov_b64_e32 v[2:3], s[4:5]
	;; [unrolled: 1-line block ×3, first 2 shown]
	v_mov_b32_e32 v14, v35
	v_mov_b32_e32 v15, v34
	;; [unrolled: 1-line block ×3, first 2 shown]
.LBB146_7:                              ; =>This Inner Loop Header: Depth=1
	v_add_co_u32_e32 v15, vcc, 0x200, v15
	s_xor_b64 s[4:5], vcc, -1
	s_and_b64 s[4:5], exec, s[4:5]
	ds_write_b64 v14, v[18:19]
	ds_write2_b64 v16, v[2:3], v[4:5] offset1:1
	v_add_u32_e32 v16, 0x2000, v16
	s_or_b64 s[0:1], s[4:5], s[0:1]
	v_add_u32_e32 v14, 0x1000, v14
	s_andn2_b64 exec, exec, s[0:1]
	s_cbranch_execnz .LBB146_7
; %bb.8:
	s_or_b64 exec, exec, s[0:1]
	s_waitcnt lgkmcnt(0)
	s_barrier
	s_load_dwordx2 s[0:1], s[20:21], 0x0
	s_mov_b32 s3, 0
	v_lshrrev_b32_e32 v36, 5, v0
	s_waitcnt lgkmcnt(0)
	s_lshl_b64 s[0:1], s[0:1], 3
	s_add_u32 s4, s22, s0
	s_addc_u32 s5, s23, s1
	s_lshl_b64 s[0:1], s[2:3], 3
	s_add_u32 s0, s4, s0
	s_addc_u32 s1, s5, s1
	s_load_dwordx2 s[50:51], s[0:1], 0x0
	s_and_b64 vcc, exec, s[28:29]
	s_cbranch_vccz .LBB146_28
; %bb.9:
	s_waitcnt lgkmcnt(0)
	s_lshl_b64 s[0:1], s[50:51], 3
	s_add_u32 s0, s8, s0
	s_addc_u32 s1, s9, s1
	s_load_dwordx4 s[20:23], s[0:1], 0x0
	v_subrev_co_u32_e32 v2, vcc, s44, v36
	s_nop 1
	v_subb_co_u32_e64 v3, s[0:1], 0, 0, vcc
	s_waitcnt lgkmcnt(0)
	s_sub_u32 s0, s22, s44
	s_subb_u32 s1, s23, 0
	v_lshl_add_u64 v[14:15], s[20:21], 0, v[2:3]
	v_cmp_gt_i64_e32 vcc, s[0:1], v[14:15]
	s_and_saveexec_b64 s[2:3], vcc
	s_cbranch_execz .LBB146_27
; %bb.10:
	v_and_b32_e32 v2, 31, v0
	v_subrev_co_u32_e32 v16, vcc, s45, v2
	s_mov_b32 s33, s45
	s_nop 0
	v_subb_co_u32_e64 v17, s[4:5], 0, 0, vcc
	s_mov_b64 s[4:5], 0
	s_movk_i32 s45, 0x89
	s_branch .LBB146_12
.LBB146_11:                             ;   in Loop: Header=BB146_12 Depth=1
	s_or_b64 exec, exec, s[8:9]
	v_lshl_add_u64 v[14:15], v[14:15], 0, 16
	v_cmp_le_i64_e32 vcc, s[0:1], v[14:15]
	s_or_b64 s[4:5], vcc, s[4:5]
	s_andn2_b64 exec, exec, s[4:5]
	s_cbranch_execz .LBB146_27
.LBB146_12:                             ; =>This Loop Header: Depth=1
                                        ;     Child Loop BB146_16 Depth 2
                                        ;       Child Loop BB146_19 Depth 3
	v_lshl_add_u64 v[2:3], v[14:15], 3, s[10:11]
	global_load_dwordx2 v[2:3], v[2:3], off
	s_waitcnt vmcnt(0)
	v_subrev_co_u32_e32 v2, vcc, s44, v2
	s_nop 1
	v_subbrev_co_u32_e32 v3, vcc, 0, v3, vcc
	v_lshl_add_u64 v[2:3], v[2:3], 3, s[14:15]
	global_load_dwordx4 v[2:5], v[2:3], off
	s_waitcnt vmcnt(0)
	v_subrev_co_u32_e32 v18, vcc, s33, v4
	s_nop 1
	v_subbrev_co_u32_e32 v19, vcc, 0, v5, vcc
	v_lshl_add_u64 v[20:21], v[2:3], 0, v[16:17]
	v_cmp_lt_i64_e32 vcc, v[20:21], v[18:19]
	s_and_saveexec_b64 s[8:9], vcc
	s_cbranch_execz .LBB146_11
; %bb.13:                               ;   in Loop: Header=BB146_12 Depth=1
	v_lshl_add_u64 v[2:3], v[14:15], 4, s[12:13]
	global_load_dwordx4 v[2:5], v[2:3], off
	s_mov_b64 s[20:21], 0
	s_waitcnt vmcnt(0)
	v_mul_f64 v[22:23], v[4:5], -v[12:13]
	v_mul_f64 v[24:25], v[10:11], v[4:5]
	v_fmac_f64_e32 v[22:23], v[10:11], v[2:3]
	v_fmac_f64_e32 v[24:25], v[12:13], v[2:3]
	s_branch .LBB146_16
.LBB146_14:                             ;   in Loop: Header=BB146_16 Depth=2
	s_or_b64 exec, exec, s[24:25]
.LBB146_15:                             ;   in Loop: Header=BB146_16 Depth=2
	s_or_b64 exec, exec, s[22:23]
	s_waitcnt vmcnt(0)
	v_mul_f64 v[28:29], v[4:5], -v[24:25]
	v_mul_f64 v[4:5], v[22:23], v[4:5]
	v_fmac_f64_e32 v[28:29], v[22:23], v[2:3]
	v_fmac_f64_e32 v[4:5], v[24:25], v[2:3]
	v_lshl_add_u32 v2, v26, 4, 0
	ds_add_f64 v2, v[28:29] offset:8192
	ds_add_f64 v2, v[4:5] offset:8200
	v_lshl_add_u64 v[20:21], v[20:21], 0, 32
	v_cmp_ge_i64_e32 vcc, v[20:21], v[18:19]
	s_or_b64 s[20:21], vcc, s[20:21]
	s_andn2_b64 exec, exec, s[20:21]
	s_cbranch_execz .LBB146_11
.LBB146_16:                             ;   Parent Loop BB146_12 Depth=1
                                        ; =>  This Loop Header: Depth=2
                                        ;       Child Loop BB146_19 Depth 3
	v_lshl_add_u64 v[2:3], v[20:21], 3, s[16:17]
	global_load_dwordx2 v[26:27], v[2:3], off
	v_lshl_add_u64 v[2:3], v[20:21], 4, s[18:19]
	global_load_dwordx4 v[2:5], v[2:3], off
	s_waitcnt vmcnt(1)
	v_subrev_co_u32_e32 v28, vcc, s33, v26
	v_mul_lo_u32 v26, v28, s45
	v_and_b32_e32 v26, 0x3ff, v26
	v_lshl_add_u32 v37, v26, 3, 0
	ds_read_b64 v[32:33], v37
	v_subbrev_co_u32_e32 v29, vcc, 0, v27, vcc
	s_waitcnt lgkmcnt(0)
	v_cmp_ne_u64_e32 vcc, v[32:33], v[28:29]
	s_and_saveexec_b64 s[22:23], vcc
	s_cbranch_execz .LBB146_15
; %bb.17:                               ;   in Loop: Header=BB146_16 Depth=2
	s_mov_b64 s[24:25], 0
                                        ; implicit-def: $sgpr26_sgpr27
                                        ; implicit-def: $sgpr28_sgpr29
	s_branch .LBB146_19
.LBB146_18:                             ;   in Loop: Header=BB146_19 Depth=3
	s_or_b64 exec, exec, s[54:55]
	s_and_b64 s[30:31], exec, s[52:53]
	s_or_b64 s[24:25], s[30:31], s[24:25]
	s_andn2_b64 s[26:27], s[26:27], exec
	s_and_b64 s[30:31], s[28:29], exec
	s_or_b64 s[26:27], s[26:27], s[30:31]
	s_andn2_b64 exec, exec, s[24:25]
	s_cbranch_execz .LBB146_25
.LBB146_19:                             ;   Parent Loop BB146_12 Depth=1
                                        ;     Parent Loop BB146_16 Depth=2
                                        ; =>    This Inner Loop Header: Depth=3
	v_mov_b64_e32 v[30:31], v[26:27]
	v_cmp_ne_u64_e32 vcc, s[48:49], v[32:33]
	s_mov_b64 s[30:31], 0
                                        ; implicit-def: $vgpr26_vgpr27
	s_and_saveexec_b64 s[52:53], vcc
	s_xor_b64 s[52:53], exec, s[52:53]
; %bb.20:                               ;   in Loop: Header=BB146_19 Depth=3
	v_add_u32_e32 v26, 1, v30
	s_mov_b64 s[30:31], exec
	v_and_b32_e32 v26, 0x3ff, v26
                                        ; implicit-def: $vgpr37
; %bb.21:                               ;   in Loop: Header=BB146_19 Depth=3
	s_andn2_saveexec_b64 s[52:53], s[52:53]
	s_cbranch_execz .LBB146_23
; %bb.22:                               ;   in Loop: Header=BB146_19 Depth=3
	v_mov_b64_e32 v[26:27], s[48:49]
	ds_cmpst_rtn_b64 v[26:27], v37, v[26:27], v[28:29]
	s_andn2_b64 s[30:31], s[30:31], exec
	s_waitcnt lgkmcnt(0)
	v_cmp_ne_u64_e32 vcc, s[48:49], v[26:27]
	s_and_b64 s[54:55], vcc, exec
	s_or_b64 s[30:31], s[30:31], s[54:55]
	v_mov_b64_e32 v[26:27], v[30:31]
.LBB146_23:                             ;   in Loop: Header=BB146_19 Depth=3
	s_or_b64 exec, exec, s[52:53]
	s_mov_b64 s[52:53], -1
	s_or_b64 s[28:29], s[28:29], exec
                                        ; implicit-def: $vgpr37
                                        ; implicit-def: $vgpr32_vgpr33
	s_and_saveexec_b64 s[54:55], s[30:31]
	s_cbranch_execz .LBB146_18
; %bb.24:                               ;   in Loop: Header=BB146_19 Depth=3
	v_lshl_add_u32 v37, v26, 3, 0
	ds_read_b64 v[32:33], v37
	s_andn2_b64 s[28:29], s[28:29], exec
	s_waitcnt lgkmcnt(0)
	v_cmp_eq_u64_e32 vcc, v[32:33], v[28:29]
	s_orn2_b64 s[52:53], vcc, exec
	s_branch .LBB146_18
.LBB146_25:                             ;   in Loop: Header=BB146_16 Depth=2
	s_or_b64 exec, exec, s[24:25]
	s_and_saveexec_b64 s[24:25], s[26:27]
	s_xor_b64 s[24:25], exec, s[24:25]
	s_cbranch_execz .LBB146_14
; %bb.26:                               ;   in Loop: Header=BB146_16 Depth=2
	v_mov_b32_e32 v26, v30
	s_branch .LBB146_14
.LBB146_27:
	s_or_b64 exec, exec, s[2:3]
.LBB146_28:
	s_andn2_b64 vcc, exec, s[6:7]
	s_cbranch_vccnz .LBB146_45
; %bb.29:
	s_waitcnt lgkmcnt(0)
	s_lshl_b64 s[0:1], s[50:51], 3
	s_add_u32 s0, s36, s0
	s_addc_u32 s1, s37, s1
	s_load_dwordx4 s[4:7], s[0:1], 0x0
	v_subrev_co_u32_e32 v2, vcc, s47, v0
	s_waitcnt lgkmcnt(0)
	s_sub_u32 s0, s6, s47
	v_subb_co_u32_e64 v3, s[2:3], 0, 0, vcc
	s_subb_u32 s1, s7, 0
	s_waitcnt vmcnt(0)
	v_lshl_add_u64 v[10:11], s[4:5], 0, v[2:3]
	v_cmp_gt_i64_e32 vcc, s[0:1], v[10:11]
	s_and_saveexec_b64 s[2:3], vcc
	s_cbranch_execz .LBB146_44
; %bb.30:
	s_mov_b32 s22, s47
	s_mov_b64 s[4:5], 0
	s_movk_i32 s23, 0x89
	s_mov_b64 s[6:7], 0x200
	s_branch .LBB146_33
.LBB146_31:                             ;   in Loop: Header=BB146_33 Depth=1
	s_or_b64 exec, exec, s[10:11]
.LBB146_32:                             ;   in Loop: Header=BB146_33 Depth=1
	s_or_b64 exec, exec, s[8:9]
	s_waitcnt vmcnt(0)
	v_mul_f64 v[14:15], v[4:5], -v[6:7]
	v_mul_f64 v[4:5], v[8:9], v[4:5]
	v_fmac_f64_e32 v[14:15], v[8:9], v[2:3]
	v_fmac_f64_e32 v[4:5], v[6:7], v[2:3]
	v_lshl_add_u32 v2, v12, 4, 0
	ds_add_f64 v2, v[14:15] offset:8192
	ds_add_f64 v2, v[4:5] offset:8200
	v_lshl_add_u64 v[10:11], v[10:11], 0, s[6:7]
	v_cmp_le_i64_e32 vcc, s[0:1], v[10:11]
	s_or_b64 s[4:5], vcc, s[4:5]
	s_andn2_b64 exec, exec, s[4:5]
	s_cbranch_execz .LBB146_44
.LBB146_33:                             ; =>This Loop Header: Depth=1
                                        ;     Child Loop BB146_36 Depth 2
	v_lshl_add_u64 v[2:3], v[10:11], 3, s[38:39]
	global_load_dwordx2 v[12:13], v[2:3], off
	v_lshl_add_u64 v[2:3], v[10:11], 4, s[40:41]
	global_load_dwordx4 v[2:5], v[2:3], off
	s_waitcnt vmcnt(1)
	v_subrev_co_u32_e32 v14, vcc, s22, v12
	v_mul_lo_u32 v12, v14, s23
	v_and_b32_e32 v12, 0x3ff, v12
	v_lshl_add_u32 v20, v12, 3, 0
	ds_read_b64 v[18:19], v20
	v_subbrev_co_u32_e32 v15, vcc, 0, v13, vcc
	s_waitcnt lgkmcnt(0)
	v_cmp_ne_u64_e32 vcc, v[18:19], v[14:15]
	s_and_saveexec_b64 s[8:9], vcc
	s_cbranch_execz .LBB146_32
; %bb.34:                               ;   in Loop: Header=BB146_33 Depth=1
	s_mov_b64 s[10:11], 0
                                        ; implicit-def: $sgpr12_sgpr13
                                        ; implicit-def: $sgpr14_sgpr15
	s_branch .LBB146_36
.LBB146_35:                             ;   in Loop: Header=BB146_36 Depth=2
	s_or_b64 exec, exec, s[20:21]
	s_and_b64 s[16:17], exec, s[18:19]
	s_or_b64 s[10:11], s[16:17], s[10:11]
	s_andn2_b64 s[12:13], s[12:13], exec
	s_and_b64 s[16:17], s[14:15], exec
	s_or_b64 s[12:13], s[12:13], s[16:17]
	s_andn2_b64 exec, exec, s[10:11]
	s_cbranch_execz .LBB146_42
.LBB146_36:                             ;   Parent Loop BB146_33 Depth=1
                                        ; =>  This Inner Loop Header: Depth=2
	v_mov_b64_e32 v[16:17], v[12:13]
	v_cmp_ne_u64_e32 vcc, s[48:49], v[18:19]
	s_mov_b64 s[16:17], 0
                                        ; implicit-def: $vgpr12_vgpr13
	s_and_saveexec_b64 s[18:19], vcc
	s_xor_b64 s[18:19], exec, s[18:19]
; %bb.37:                               ;   in Loop: Header=BB146_36 Depth=2
	v_add_u32_e32 v12, 1, v16
	s_mov_b64 s[16:17], exec
	v_and_b32_e32 v12, 0x3ff, v12
                                        ; implicit-def: $vgpr20
; %bb.38:                               ;   in Loop: Header=BB146_36 Depth=2
	s_andn2_saveexec_b64 s[18:19], s[18:19]
	s_cbranch_execz .LBB146_40
; %bb.39:                               ;   in Loop: Header=BB146_36 Depth=2
	v_mov_b64_e32 v[12:13], s[48:49]
	ds_cmpst_rtn_b64 v[12:13], v20, v[12:13], v[14:15]
	s_andn2_b64 s[16:17], s[16:17], exec
	s_waitcnt lgkmcnt(0)
	v_cmp_ne_u64_e32 vcc, s[48:49], v[12:13]
	s_and_b64 s[20:21], vcc, exec
	s_or_b64 s[16:17], s[16:17], s[20:21]
	v_mov_b64_e32 v[12:13], v[16:17]
.LBB146_40:                             ;   in Loop: Header=BB146_36 Depth=2
	s_or_b64 exec, exec, s[18:19]
	s_mov_b64 s[18:19], -1
	s_or_b64 s[14:15], s[14:15], exec
                                        ; implicit-def: $vgpr20
                                        ; implicit-def: $vgpr18_vgpr19
	s_and_saveexec_b64 s[20:21], s[16:17]
	s_cbranch_execz .LBB146_35
; %bb.41:                               ;   in Loop: Header=BB146_36 Depth=2
	v_lshl_add_u32 v20, v12, 3, 0
	ds_read_b64 v[18:19], v20
	s_andn2_b64 s[14:15], s[14:15], exec
	s_waitcnt lgkmcnt(0)
	v_cmp_eq_u64_e32 vcc, v[18:19], v[14:15]
	s_orn2_b64 s[18:19], vcc, exec
	s_branch .LBB146_35
.LBB146_42:                             ;   in Loop: Header=BB146_33 Depth=1
	s_or_b64 exec, exec, s[10:11]
	s_and_saveexec_b64 s[10:11], s[12:13]
	s_xor_b64 s[10:11], exec, s[10:11]
	s_cbranch_execz .LBB146_31
; %bb.43:                               ;   in Loop: Header=BB146_33 Depth=1
	v_mov_b32_e32 v12, v16
	s_branch .LBB146_31
.LBB146_44:
	s_or_b64 exec, exec, s[2:3]
.LBB146_45:
	v_mbcnt_lo_u32_b32 v2, -1, 0
	v_mbcnt_hi_u32_b32 v2, -1, v2
	v_sub_u32_e32 v2, 63, v2
	s_movk_i32 s0, 0x1ff
	s_movk_i32 s6, 0x5f
	;; [unrolled: 1-line block ×14, first 2 shown]
	v_mov_b32_e32 v3, 0
	v_lshrrev_b64 v[4:5], v2, -1
	s_waitcnt vmcnt(0)
	v_lshl_add_u32 v12, v36, 3, 0
	v_cmp_eq_u32_e64 s[0:1], s0, v0
	v_cmp_lt_u32_e64 s[2:3], 31, v0
	v_cmp_lt_u32_e64 s[4:5], 63, v0
	;; [unrolled: 1-line block ×15, first 2 shown]
	s_mov_b64 s[36:37], 0
	v_mov_b64_e32 v[6:7], 0
	s_waitcnt lgkmcnt(0)
	s_barrier
	s_branch .LBB146_47
.LBB146_46:                             ;   in Loop: Header=BB146_47 Depth=1
	s_or_b64 exec, exec, s[38:39]
	s_waitcnt lgkmcnt(0)
	s_barrier
	ds_read_b64 v[8:9], v3 offset:24696
	v_add_co_u32_e32 v34, vcc, 0x200, v34
	s_xor_b64 s[38:39], vcc, -1
	s_and_b64 s[38:39], exec, s[38:39]
	v_add_u32_e32 v1, 0x2000, v1
	s_waitcnt lgkmcnt(0)
	v_lshl_add_u64 v[6:7], v[8:9], 0, v[6:7]
	s_or_b64 s[36:37], s[38:39], s[36:37]
	v_add_u32_e32 v35, 0x1000, v35
	s_andn2_b64 exec, exec, s[36:37]
	s_cbranch_execz .LBB146_81
.LBB146_47:                             ; =>This Inner Loop Header: Depth=1
	ds_read2_b64 v[14:17], v1 offset1:1
	ds_read_b64 v[8:9], v35
	s_waitcnt lgkmcnt(1)
	scratch_store_dwordx4 off, v[14:17], off
	s_waitcnt lgkmcnt(0)
	v_cmp_gt_i64_e32 vcc, s[48:49], v[8:9]
	s_bcnt1_i32_b64 s33, vcc
	v_mov_b32_e32 v2, s33
	v_and_b32_e32 v11, vcc_lo, v4
	v_and_b32_e32 v10, vcc_hi, v5
	v_bcnt_u32_b32 v11, v11, 0
	v_bcnt_u32_b32 v10, v10, v11
	s_barrier
	ds_write_b64 v12, v[2:3] offset:24576
	s_waitcnt lgkmcnt(0)
	s_barrier
	s_and_saveexec_b64 s[38:39], s[2:3]
	s_cbranch_execnz .LBB146_64
; %bb.48:                               ;   in Loop: Header=BB146_47 Depth=1
	s_or_b64 exec, exec, s[38:39]
	s_and_saveexec_b64 s[38:39], s[4:5]
	s_cbranch_execnz .LBB146_65
.LBB146_49:                             ;   in Loop: Header=BB146_47 Depth=1
	s_or_b64 exec, exec, s[38:39]
	s_and_saveexec_b64 s[38:39], s[6:7]
	s_cbranch_execnz .LBB146_66
.LBB146_50:                             ;   in Loop: Header=BB146_47 Depth=1
	s_or_b64 exec, exec, s[38:39]
	s_and_saveexec_b64 s[38:39], s[8:9]
	s_cbranch_execnz .LBB146_67
.LBB146_51:                             ;   in Loop: Header=BB146_47 Depth=1
	s_or_b64 exec, exec, s[38:39]
	s_and_saveexec_b64 s[38:39], s[10:11]
	s_cbranch_execnz .LBB146_68
.LBB146_52:                             ;   in Loop: Header=BB146_47 Depth=1
	s_or_b64 exec, exec, s[38:39]
	s_and_saveexec_b64 s[38:39], s[12:13]
	s_cbranch_execnz .LBB146_69
.LBB146_53:                             ;   in Loop: Header=BB146_47 Depth=1
	s_or_b64 exec, exec, s[38:39]
	s_and_saveexec_b64 s[38:39], s[14:15]
	s_cbranch_execnz .LBB146_70
.LBB146_54:                             ;   in Loop: Header=BB146_47 Depth=1
	s_or_b64 exec, exec, s[38:39]
	s_and_saveexec_b64 s[38:39], s[16:17]
	s_cbranch_execnz .LBB146_71
.LBB146_55:                             ;   in Loop: Header=BB146_47 Depth=1
	s_or_b64 exec, exec, s[38:39]
	s_and_saveexec_b64 s[38:39], s[18:19]
	s_cbranch_execnz .LBB146_72
.LBB146_56:                             ;   in Loop: Header=BB146_47 Depth=1
	s_or_b64 exec, exec, s[38:39]
	s_and_saveexec_b64 s[38:39], s[20:21]
	s_cbranch_execnz .LBB146_73
.LBB146_57:                             ;   in Loop: Header=BB146_47 Depth=1
	s_or_b64 exec, exec, s[38:39]
	s_and_saveexec_b64 s[38:39], s[22:23]
	s_cbranch_execnz .LBB146_74
.LBB146_58:                             ;   in Loop: Header=BB146_47 Depth=1
	s_or_b64 exec, exec, s[38:39]
	s_and_saveexec_b64 s[38:39], s[24:25]
	s_cbranch_execnz .LBB146_75
.LBB146_59:                             ;   in Loop: Header=BB146_47 Depth=1
	s_or_b64 exec, exec, s[38:39]
	s_and_saveexec_b64 s[38:39], s[26:27]
	s_cbranch_execnz .LBB146_76
.LBB146_60:                             ;   in Loop: Header=BB146_47 Depth=1
	s_or_b64 exec, exec, s[38:39]
	s_and_saveexec_b64 s[38:39], s[28:29]
	s_cbranch_execnz .LBB146_77
.LBB146_61:                             ;   in Loop: Header=BB146_47 Depth=1
	s_or_b64 exec, exec, s[38:39]
	s_and_saveexec_b64 s[38:39], s[30:31]
	s_cbranch_execnz .LBB146_78
.LBB146_62:                             ;   in Loop: Header=BB146_47 Depth=1
	s_or_b64 exec, exec, s[38:39]
	v_ashrrev_i32_e32 v11, 31, v10
	s_and_saveexec_b64 s[38:39], vcc
	s_cbranch_execnz .LBB146_79
.LBB146_63:                             ;   in Loop: Header=BB146_47 Depth=1
	s_or_b64 exec, exec, s[38:39]
	s_and_saveexec_b64 s[38:39], s[0:1]
	s_cbranch_execz .LBB146_46
	s_branch .LBB146_80
.LBB146_64:                             ;   in Loop: Header=BB146_47 Depth=1
	ds_read_b32 v2, v3 offset:24576
	s_waitcnt lgkmcnt(0)
	v_add_u32_e32 v10, v2, v10
	s_or_b64 exec, exec, s[38:39]
	s_and_saveexec_b64 s[38:39], s[4:5]
	s_cbranch_execz .LBB146_49
.LBB146_65:                             ;   in Loop: Header=BB146_47 Depth=1
	ds_read_b32 v2, v3 offset:24584
	s_waitcnt lgkmcnt(0)
	v_add_u32_e32 v10, v10, v2
	s_or_b64 exec, exec, s[38:39]
	s_and_saveexec_b64 s[38:39], s[6:7]
	s_cbranch_execz .LBB146_50
.LBB146_66:                             ;   in Loop: Header=BB146_47 Depth=1
	ds_read_b32 v2, v3 offset:24592
	s_waitcnt lgkmcnt(0)
	v_add_u32_e32 v10, v10, v2
	s_or_b64 exec, exec, s[38:39]
	s_and_saveexec_b64 s[38:39], s[8:9]
	s_cbranch_execz .LBB146_51
.LBB146_67:                             ;   in Loop: Header=BB146_47 Depth=1
	ds_read_b32 v2, v3 offset:24600
	s_waitcnt lgkmcnt(0)
	v_add_u32_e32 v10, v10, v2
	s_or_b64 exec, exec, s[38:39]
	s_and_saveexec_b64 s[38:39], s[10:11]
	s_cbranch_execz .LBB146_52
.LBB146_68:                             ;   in Loop: Header=BB146_47 Depth=1
	ds_read_b32 v2, v3 offset:24608
	s_waitcnt lgkmcnt(0)
	v_add_u32_e32 v10, v10, v2
	s_or_b64 exec, exec, s[38:39]
	s_and_saveexec_b64 s[38:39], s[12:13]
	s_cbranch_execz .LBB146_53
.LBB146_69:                             ;   in Loop: Header=BB146_47 Depth=1
	ds_read_b32 v2, v3 offset:24616
	s_waitcnt lgkmcnt(0)
	v_add_u32_e32 v10, v10, v2
	s_or_b64 exec, exec, s[38:39]
	s_and_saveexec_b64 s[38:39], s[14:15]
	s_cbranch_execz .LBB146_54
.LBB146_70:                             ;   in Loop: Header=BB146_47 Depth=1
	ds_read_b32 v2, v3 offset:24624
	s_waitcnt lgkmcnt(0)
	v_add_u32_e32 v10, v10, v2
	s_or_b64 exec, exec, s[38:39]
	s_and_saveexec_b64 s[38:39], s[16:17]
	s_cbranch_execz .LBB146_55
.LBB146_71:                             ;   in Loop: Header=BB146_47 Depth=1
	ds_read_b32 v2, v3 offset:24632
	s_waitcnt lgkmcnt(0)
	v_add_u32_e32 v10, v10, v2
	s_or_b64 exec, exec, s[38:39]
	s_and_saveexec_b64 s[38:39], s[18:19]
	s_cbranch_execz .LBB146_56
.LBB146_72:                             ;   in Loop: Header=BB146_47 Depth=1
	ds_read_b32 v2, v3 offset:24640
	s_waitcnt lgkmcnt(0)
	v_add_u32_e32 v10, v10, v2
	s_or_b64 exec, exec, s[38:39]
	s_and_saveexec_b64 s[38:39], s[20:21]
	s_cbranch_execz .LBB146_57
.LBB146_73:                             ;   in Loop: Header=BB146_47 Depth=1
	ds_read_b32 v2, v3 offset:24648
	s_waitcnt lgkmcnt(0)
	v_add_u32_e32 v10, v10, v2
	s_or_b64 exec, exec, s[38:39]
	s_and_saveexec_b64 s[38:39], s[22:23]
	s_cbranch_execz .LBB146_58
.LBB146_74:                             ;   in Loop: Header=BB146_47 Depth=1
	ds_read_b32 v2, v3 offset:24656
	s_waitcnt lgkmcnt(0)
	v_add_u32_e32 v10, v10, v2
	s_or_b64 exec, exec, s[38:39]
	s_and_saveexec_b64 s[38:39], s[24:25]
	s_cbranch_execz .LBB146_59
.LBB146_75:                             ;   in Loop: Header=BB146_47 Depth=1
	ds_read_b32 v2, v3 offset:24664
	s_waitcnt lgkmcnt(0)
	v_add_u32_e32 v10, v10, v2
	s_or_b64 exec, exec, s[38:39]
	s_and_saveexec_b64 s[38:39], s[26:27]
	s_cbranch_execz .LBB146_60
.LBB146_76:                             ;   in Loop: Header=BB146_47 Depth=1
	ds_read_b32 v2, v3 offset:24672
	s_waitcnt lgkmcnt(0)
	v_add_u32_e32 v10, v10, v2
	s_or_b64 exec, exec, s[38:39]
	s_and_saveexec_b64 s[38:39], s[28:29]
	s_cbranch_execz .LBB146_61
.LBB146_77:                             ;   in Loop: Header=BB146_47 Depth=1
	ds_read_b32 v2, v3 offset:24680
	s_waitcnt lgkmcnt(0)
	v_add_u32_e32 v10, v10, v2
	s_or_b64 exec, exec, s[38:39]
	s_and_saveexec_b64 s[38:39], s[30:31]
	s_cbranch_execz .LBB146_62
.LBB146_78:                             ;   in Loop: Header=BB146_47 Depth=1
	ds_read_b32 v2, v3 offset:24688
	s_waitcnt lgkmcnt(0)
	v_add_u32_e32 v10, v10, v2
	s_or_b64 exec, exec, s[38:39]
	v_ashrrev_i32_e32 v11, 31, v10
	s_and_saveexec_b64 s[38:39], vcc
	s_cbranch_execz .LBB146_63
.LBB146_79:                             ;   in Loop: Header=BB146_47 Depth=1
	scratch_load_dwordx4 v[14:17], off, off
	v_add3_u32 v2, v6, -1, v10
	v_add_u32_e32 v13, v6, v10
	v_lshl_add_u32 v2, v2, 3, 0
	v_lshl_add_u32 v13, v13, 4, 0
	v_add_u32_e32 v13, 0x1ff0, v13
	ds_write_b64 v2, v[8:9]
	s_waitcnt vmcnt(0)
	ds_write2_b64 v13, v[14:15], v[16:17] offset1:1
	s_or_b64 exec, exec, s[38:39]
	s_and_saveexec_b64 s[38:39], s[0:1]
	s_cbranch_execz .LBB146_46
.LBB146_80:                             ;   in Loop: Header=BB146_47 Depth=1
	ds_write_b64 v3, v[10:11] offset:24696
	s_branch .LBB146_46
.LBB146_81:
	s_or_b64 exec, exec, s[36:37]
	s_lshl_b64 s[0:1], s[50:51], 3
	s_add_u32 s4, s42, s0
	s_addc_u32 s5, s43, s1
	s_load_dwordx4 s[0:3], s[4:5], 0x0
	v_mov_b32_e32 v1, 0
	s_waitcnt lgkmcnt(0)
	s_sub_u32 s4, s2, s0
	s_subb_u32 s5, s3, s1
	v_cmp_gt_i64_e32 vcc, s[4:5], v[0:1]
	s_and_saveexec_b64 s[6:7], vcc
	s_cbranch_execz .LBB146_91
; %bb.82:
	s_sub_u32 s8, s0, s46
	s_subb_u32 s9, s1, 0
	s_and_b32 s6, s4, 7
	s_sub_u32 s0, s0, s2
	s_mov_b32 s7, 0
	s_subb_u32 s1, s1, s3
	s_and_b32 s10, s4, -8
	s_cmp_lg_u64 s[6:7], 0
	v_cmp_lt_u64_e64 s[0:1], s[0:1], -7
	s_cselect_b64 s[2:3], -1, 0
	s_mov_b32 s11, s5
	v_cndmask_b32_e64 v2, 0, 1, s[0:1]
	v_cmp_ne_u32_e64 s[0:1], 1, v2
	v_cndmask_b32_e64 v2, 0, 1, s[2:3]
	s_mov_b64 s[12:13], 0
	v_cmp_ne_u32_e64 s[2:3], 1, v2
	s_movk_i32 s18, 0x2000
	s_mov_b64 s[14:15], 0x200
	s_branch .LBB146_84
.LBB146_83:                             ;   in Loop: Header=BB146_84 Depth=1
	s_waitcnt lgkmcnt(0)
	v_lshlrev_b32_e32 v2, 3, v0
	v_add3_u32 v2, v6, v2, s18
	ds_read2_b64 v[6:9], v2 offset1:1
	v_lshl_add_u64 v[0:1], v[0:1], 0, s[14:15]
	v_cmp_le_i64_e32 vcc, s[4:5], v[0:1]
	v_lshl_add_u64 v[2:3], v[4:5], 4, s[34:35]
	s_or_b64 s[12:13], vcc, s[12:13]
	s_waitcnt lgkmcnt(0)
	global_store_dwordx4 v[2:3], v[6:9], off
	s_andn2_b64 exec, exec, s[12:13]
	s_cbranch_execz .LBB146_91
.LBB146_84:                             ; =>This Loop Header: Depth=1
                                        ;     Child Loop BB146_86 Depth 2
                                        ;     Child Loop BB146_90 Depth 2
	v_lshl_add_u32 v6, v0, 3, 0
	ds_read_b64 v[2:3], v6
	s_and_b64 vcc, exec, s[0:1]
	v_mov_b64_e32 v[4:5], s[8:9]
	s_mov_b64 s[16:17], 0
	s_cbranch_vccnz .LBB146_88
; %bb.85:                               ;   in Loop: Header=BB146_84 Depth=1
	s_mov_b32 s19, 0
	v_mov_b64_e32 v[4:5], s[8:9]
.LBB146_86:                             ;   Parent Loop BB146_84 Depth=1
                                        ; =>  This Inner Loop Header: Depth=2
	v_mov_b32_e32 v7, s19
	ds_read2_b64 v[8:11], v7 offset1:1
	ds_read2_b64 v[12:15], v7 offset0:2 offset1:3
	ds_read2_b64 v[16:19], v7 offset0:4 offset1:5
	;; [unrolled: 1-line block ×3, first 2 shown]
	v_mov_b32_e32 v25, s7
	s_waitcnt lgkmcnt(3)
	v_cmp_gt_i64_e32 vcc, v[2:3], v[8:9]
	v_mov_b32_e32 v27, s7
	v_mov_b32_e32 v29, s7
	v_cndmask_b32_e64 v24, 0, 1, vcc
	v_cmp_gt_i64_e32 vcc, v[2:3], v[10:11]
	v_lshl_add_u64 v[4:5], v[4:5], 0, v[24:25]
	v_mov_b32_e32 v31, s7
	v_cndmask_b32_e64 v26, 0, 1, vcc
	s_waitcnt lgkmcnt(2)
	v_cmp_gt_i64_e32 vcc, v[2:3], v[12:13]
	v_lshl_add_u64 v[4:5], v[4:5], 0, v[26:27]
	v_mov_b32_e32 v33, s7
	v_cndmask_b32_e64 v28, 0, 1, vcc
	v_cmp_gt_i64_e32 vcc, v[2:3], v[14:15]
	v_lshl_add_u64 v[4:5], v[4:5], 0, v[28:29]
	v_mov_b32_e32 v35, s7
	v_cndmask_b32_e64 v30, 0, 1, vcc
	s_waitcnt lgkmcnt(1)
	v_cmp_gt_i64_e32 vcc, v[2:3], v[16:17]
	v_lshl_add_u64 v[4:5], v[4:5], 0, v[30:31]
	v_mov_b32_e32 v37, s7
	v_cndmask_b32_e64 v32, 0, 1, vcc
	v_cmp_gt_i64_e32 vcc, v[2:3], v[18:19]
	v_lshl_add_u64 v[4:5], v[4:5], 0, v[32:33]
	s_add_u32 s16, s16, 8
	v_cndmask_b32_e64 v34, 0, 1, vcc
	s_waitcnt lgkmcnt(0)
	v_cmp_gt_i64_e32 vcc, v[2:3], v[20:21]
	v_lshl_add_u64 v[4:5], v[4:5], 0, v[34:35]
	v_mov_b32_e32 v39, s7
	v_cndmask_b32_e64 v36, 0, 1, vcc
	v_cmp_gt_i64_e32 vcc, v[2:3], v[22:23]
	s_addc_u32 s17, s17, 0
	s_add_i32 s19, s19, 64
	v_cndmask_b32_e64 v38, 0, 1, vcc
	v_lshl_add_u64 v[4:5], v[4:5], 0, v[36:37]
	s_cmp_eq_u64 s[10:11], s[16:17]
	v_lshl_add_u64 v[4:5], v[4:5], 0, v[38:39]
	s_cbranch_scc0 .LBB146_86
; %bb.87:                               ;   in Loop: Header=BB146_84 Depth=1
	s_mov_b64 s[16:17], s[10:11]
.LBB146_88:                             ;   in Loop: Header=BB146_84 Depth=1
	s_and_b64 vcc, exec, s[2:3]
	s_cbranch_vccnz .LBB146_83
; %bb.89:                               ;   in Loop: Header=BB146_84 Depth=1
	s_lshl_b32 s16, s16, 3
	s_add_i32 s19, s16, 0
	s_mov_b64 s[16:17], s[6:7]
.LBB146_90:                             ;   Parent Loop BB146_84 Depth=1
                                        ; =>  This Inner Loop Header: Depth=2
	v_mov_b32_e32 v7, s19
	ds_read_b64 v[10:11], v7
	s_add_i32 s19, s19, 8
	s_add_u32 s16, s16, -1
	v_mov_b32_e32 v9, s7
	s_addc_u32 s17, s17, -1
	s_waitcnt lgkmcnt(0)
	v_cmp_gt_i64_e32 vcc, v[2:3], v[10:11]
	s_cmp_lg_u64 s[16:17], 0
	s_nop 0
	v_cndmask_b32_e64 v8, 0, 1, vcc
	v_lshl_add_u64 v[4:5], v[4:5], 0, v[8:9]
	s_cbranch_scc1 .LBB146_90
	s_branch .LBB146_83
.LBB146_91:
	s_endpgm
	.section	.rodata,"a",@progbits
	.p2align	6, 0x0
	.amdhsa_kernel _ZN9rocsparseL41csrgemm_numeric_fill_block_per_row_kernelILj512ELj32ELj1024ELj137ELj32Ell21rocsparse_complex_numIdEEEvT5_PKS3_S5_NS_24const_host_device_scalarIT6_EEPKT4_S5_PKS7_SB_S5_SD_S8_SB_S5_SD_SB_S5_PS7_21rocsparse_index_base_SF_SF_SF_bbb
		.amdhsa_group_segment_fixed_size 0
		.amdhsa_private_segment_fixed_size 40
		.amdhsa_kernarg_size 172
		.amdhsa_user_sgpr_count 2
		.amdhsa_user_sgpr_dispatch_ptr 0
		.amdhsa_user_sgpr_queue_ptr 0
		.amdhsa_user_sgpr_kernarg_segment_ptr 1
		.amdhsa_user_sgpr_dispatch_id 0
		.amdhsa_user_sgpr_kernarg_preload_length 0
		.amdhsa_user_sgpr_kernarg_preload_offset 0
		.amdhsa_user_sgpr_private_segment_size 0
		.amdhsa_uses_dynamic_stack 0
		.amdhsa_enable_private_segment 1
		.amdhsa_system_sgpr_workgroup_id_x 1
		.amdhsa_system_sgpr_workgroup_id_y 0
		.amdhsa_system_sgpr_workgroup_id_z 0
		.amdhsa_system_sgpr_workgroup_info 0
		.amdhsa_system_vgpr_workitem_id 0
		.amdhsa_next_free_vgpr 40
		.amdhsa_next_free_sgpr 56
		.amdhsa_accum_offset 40
		.amdhsa_reserve_vcc 1
		.amdhsa_float_round_mode_32 0
		.amdhsa_float_round_mode_16_64 0
		.amdhsa_float_denorm_mode_32 3
		.amdhsa_float_denorm_mode_16_64 3
		.amdhsa_dx10_clamp 1
		.amdhsa_ieee_mode 1
		.amdhsa_fp16_overflow 0
		.amdhsa_tg_split 0
		.amdhsa_exception_fp_ieee_invalid_op 0
		.amdhsa_exception_fp_denorm_src 0
		.amdhsa_exception_fp_ieee_div_zero 0
		.amdhsa_exception_fp_ieee_overflow 0
		.amdhsa_exception_fp_ieee_underflow 0
		.amdhsa_exception_fp_ieee_inexact 0
		.amdhsa_exception_int_div_zero 0
	.end_amdhsa_kernel
	.section	.text._ZN9rocsparseL41csrgemm_numeric_fill_block_per_row_kernelILj512ELj32ELj1024ELj137ELj32Ell21rocsparse_complex_numIdEEEvT5_PKS3_S5_NS_24const_host_device_scalarIT6_EEPKT4_S5_PKS7_SB_S5_SD_S8_SB_S5_SD_SB_S5_PS7_21rocsparse_index_base_SF_SF_SF_bbb,"axG",@progbits,_ZN9rocsparseL41csrgemm_numeric_fill_block_per_row_kernelILj512ELj32ELj1024ELj137ELj32Ell21rocsparse_complex_numIdEEEvT5_PKS3_S5_NS_24const_host_device_scalarIT6_EEPKT4_S5_PKS7_SB_S5_SD_S8_SB_S5_SD_SB_S5_PS7_21rocsparse_index_base_SF_SF_SF_bbb,comdat
.Lfunc_end146:
	.size	_ZN9rocsparseL41csrgemm_numeric_fill_block_per_row_kernelILj512ELj32ELj1024ELj137ELj32Ell21rocsparse_complex_numIdEEEvT5_PKS3_S5_NS_24const_host_device_scalarIT6_EEPKT4_S5_PKS7_SB_S5_SD_S8_SB_S5_SD_SB_S5_PS7_21rocsparse_index_base_SF_SF_SF_bbb, .Lfunc_end146-_ZN9rocsparseL41csrgemm_numeric_fill_block_per_row_kernelILj512ELj32ELj1024ELj137ELj32Ell21rocsparse_complex_numIdEEEvT5_PKS3_S5_NS_24const_host_device_scalarIT6_EEPKT4_S5_PKS7_SB_S5_SD_S8_SB_S5_SD_SB_S5_PS7_21rocsparse_index_base_SF_SF_SF_bbb
                                        ; -- End function
	.set _ZN9rocsparseL41csrgemm_numeric_fill_block_per_row_kernelILj512ELj32ELj1024ELj137ELj32Ell21rocsparse_complex_numIdEEEvT5_PKS3_S5_NS_24const_host_device_scalarIT6_EEPKT4_S5_PKS7_SB_S5_SD_S8_SB_S5_SD_SB_S5_PS7_21rocsparse_index_base_SF_SF_SF_bbb.num_vgpr, 40
	.set _ZN9rocsparseL41csrgemm_numeric_fill_block_per_row_kernelILj512ELj32ELj1024ELj137ELj32Ell21rocsparse_complex_numIdEEEvT5_PKS3_S5_NS_24const_host_device_scalarIT6_EEPKT4_S5_PKS7_SB_S5_SD_S8_SB_S5_SD_SB_S5_PS7_21rocsparse_index_base_SF_SF_SF_bbb.num_agpr, 0
	.set _ZN9rocsparseL41csrgemm_numeric_fill_block_per_row_kernelILj512ELj32ELj1024ELj137ELj32Ell21rocsparse_complex_numIdEEEvT5_PKS3_S5_NS_24const_host_device_scalarIT6_EEPKT4_S5_PKS7_SB_S5_SD_S8_SB_S5_SD_SB_S5_PS7_21rocsparse_index_base_SF_SF_SF_bbb.numbered_sgpr, 56
	.set _ZN9rocsparseL41csrgemm_numeric_fill_block_per_row_kernelILj512ELj32ELj1024ELj137ELj32Ell21rocsparse_complex_numIdEEEvT5_PKS3_S5_NS_24const_host_device_scalarIT6_EEPKT4_S5_PKS7_SB_S5_SD_S8_SB_S5_SD_SB_S5_PS7_21rocsparse_index_base_SF_SF_SF_bbb.num_named_barrier, 0
	.set _ZN9rocsparseL41csrgemm_numeric_fill_block_per_row_kernelILj512ELj32ELj1024ELj137ELj32Ell21rocsparse_complex_numIdEEEvT5_PKS3_S5_NS_24const_host_device_scalarIT6_EEPKT4_S5_PKS7_SB_S5_SD_S8_SB_S5_SD_SB_S5_PS7_21rocsparse_index_base_SF_SF_SF_bbb.private_seg_size, 40
	.set _ZN9rocsparseL41csrgemm_numeric_fill_block_per_row_kernelILj512ELj32ELj1024ELj137ELj32Ell21rocsparse_complex_numIdEEEvT5_PKS3_S5_NS_24const_host_device_scalarIT6_EEPKT4_S5_PKS7_SB_S5_SD_S8_SB_S5_SD_SB_S5_PS7_21rocsparse_index_base_SF_SF_SF_bbb.uses_vcc, 1
	.set _ZN9rocsparseL41csrgemm_numeric_fill_block_per_row_kernelILj512ELj32ELj1024ELj137ELj32Ell21rocsparse_complex_numIdEEEvT5_PKS3_S5_NS_24const_host_device_scalarIT6_EEPKT4_S5_PKS7_SB_S5_SD_S8_SB_S5_SD_SB_S5_PS7_21rocsparse_index_base_SF_SF_SF_bbb.uses_flat_scratch, 0
	.set _ZN9rocsparseL41csrgemm_numeric_fill_block_per_row_kernelILj512ELj32ELj1024ELj137ELj32Ell21rocsparse_complex_numIdEEEvT5_PKS3_S5_NS_24const_host_device_scalarIT6_EEPKT4_S5_PKS7_SB_S5_SD_S8_SB_S5_SD_SB_S5_PS7_21rocsparse_index_base_SF_SF_SF_bbb.has_dyn_sized_stack, 0
	.set _ZN9rocsparseL41csrgemm_numeric_fill_block_per_row_kernelILj512ELj32ELj1024ELj137ELj32Ell21rocsparse_complex_numIdEEEvT5_PKS3_S5_NS_24const_host_device_scalarIT6_EEPKT4_S5_PKS7_SB_S5_SD_S8_SB_S5_SD_SB_S5_PS7_21rocsparse_index_base_SF_SF_SF_bbb.has_recursion, 0
	.set _ZN9rocsparseL41csrgemm_numeric_fill_block_per_row_kernelILj512ELj32ELj1024ELj137ELj32Ell21rocsparse_complex_numIdEEEvT5_PKS3_S5_NS_24const_host_device_scalarIT6_EEPKT4_S5_PKS7_SB_S5_SD_S8_SB_S5_SD_SB_S5_PS7_21rocsparse_index_base_SF_SF_SF_bbb.has_indirect_call, 0
	.section	.AMDGPU.csdata,"",@progbits
; Kernel info:
; codeLenInByte = 3404
; TotalNumSgprs: 62
; NumVgprs: 40
; NumAgprs: 0
; TotalNumVgprs: 40
; ScratchSize: 40
; MemoryBound: 0
; FloatMode: 240
; IeeeMode: 1
; LDSByteSize: 0 bytes/workgroup (compile time only)
; SGPRBlocks: 7
; VGPRBlocks: 4
; NumSGPRsForWavesPerEU: 62
; NumVGPRsForWavesPerEU: 40
; AccumOffset: 40
; Occupancy: 8
; WaveLimiterHint : 1
; COMPUTE_PGM_RSRC2:SCRATCH_EN: 1
; COMPUTE_PGM_RSRC2:USER_SGPR: 2
; COMPUTE_PGM_RSRC2:TRAP_HANDLER: 0
; COMPUTE_PGM_RSRC2:TGID_X_EN: 1
; COMPUTE_PGM_RSRC2:TGID_Y_EN: 0
; COMPUTE_PGM_RSRC2:TGID_Z_EN: 0
; COMPUTE_PGM_RSRC2:TIDIG_COMP_CNT: 0
; COMPUTE_PGM_RSRC3_GFX90A:ACCUM_OFFSET: 9
; COMPUTE_PGM_RSRC3_GFX90A:TG_SPLIT: 0
	.section	.text._ZN9rocsparseL41csrgemm_numeric_fill_block_per_row_kernelILj512ELj32ELj1024ELj137ELj64Ell21rocsparse_complex_numIdEEEvT5_PKS3_S5_NS_24const_host_device_scalarIT6_EEPKT4_S5_PKS7_SB_S5_SD_S8_SB_S5_SD_SB_S5_PS7_21rocsparse_index_base_SF_SF_SF_bbb,"axG",@progbits,_ZN9rocsparseL41csrgemm_numeric_fill_block_per_row_kernelILj512ELj32ELj1024ELj137ELj64Ell21rocsparse_complex_numIdEEEvT5_PKS3_S5_NS_24const_host_device_scalarIT6_EEPKT4_S5_PKS7_SB_S5_SD_S8_SB_S5_SD_SB_S5_PS7_21rocsparse_index_base_SF_SF_SF_bbb,comdat
	.globl	_ZN9rocsparseL41csrgemm_numeric_fill_block_per_row_kernelILj512ELj32ELj1024ELj137ELj64Ell21rocsparse_complex_numIdEEEvT5_PKS3_S5_NS_24const_host_device_scalarIT6_EEPKT4_S5_PKS7_SB_S5_SD_S8_SB_S5_SD_SB_S5_PS7_21rocsparse_index_base_SF_SF_SF_bbb ; -- Begin function _ZN9rocsparseL41csrgemm_numeric_fill_block_per_row_kernelILj512ELj32ELj1024ELj137ELj64Ell21rocsparse_complex_numIdEEEvT5_PKS3_S5_NS_24const_host_device_scalarIT6_EEPKT4_S5_PKS7_SB_S5_SD_S8_SB_S5_SD_SB_S5_PS7_21rocsparse_index_base_SF_SF_SF_bbb
	.p2align	8
	.type	_ZN9rocsparseL41csrgemm_numeric_fill_block_per_row_kernelILj512ELj32ELj1024ELj137ELj64Ell21rocsparse_complex_numIdEEEvT5_PKS3_S5_NS_24const_host_device_scalarIT6_EEPKT4_S5_PKS7_SB_S5_SD_S8_SB_S5_SD_SB_S5_PS7_21rocsparse_index_base_SF_SF_SF_bbb,@function
_ZN9rocsparseL41csrgemm_numeric_fill_block_per_row_kernelILj512ELj32ELj1024ELj137ELj64Ell21rocsparse_complex_numIdEEEvT5_PKS3_S5_NS_24const_host_device_scalarIT6_EEPKT4_S5_PKS7_SB_S5_SD_S8_SB_S5_SD_SB_S5_PS7_21rocsparse_index_base_SF_SF_SF_bbb: ; @_ZN9rocsparseL41csrgemm_numeric_fill_block_per_row_kernelILj512ELj32ELj1024ELj137ELj64Ell21rocsparse_complex_numIdEEEvT5_PKS3_S5_NS_24const_host_device_scalarIT6_EEPKT4_S5_PKS7_SB_S5_SD_S8_SB_S5_SD_SB_S5_PS7_21rocsparse_index_base_SF_SF_SF_bbb
; %bb.0:
	s_load_dword s3, s[0:1], 0xa8
	s_load_dwordx4 s[28:31], s[0:1], 0x98
	s_load_dwordx4 s[8:11], s[0:1], 0x18
	;; [unrolled: 1-line block ×3, first 2 shown]
	v_mov_b64_e32 v[6:7], 0
	s_waitcnt lgkmcnt(0)
	s_bitcmp1_b32 s3, 0
	s_cselect_b64 s[44:45], -1, 0
	s_bitcmp1_b32 s3, 16
	s_cselect_b64 s[46:47], -1, 0
	s_xor_b64 s[4:5], s[46:47], -1
	v_mov_b64_e32 v[2:3], s[8:9]
	v_cndmask_b32_e64 v1, 0, 1, s[4:5]
	scratch_store_dwordx2 off, v[2:3], off offset:16
	v_mov_b64_e32 v[2:3], s[40:41]
	s_bitcmp0_b32 s3, 0
	v_cmp_ne_u32_e64 s[4:5], 1, v1
	v_mov_b64_e32 v[10:11], 0
	v_mov_b64_e32 v[12:13], 0
	scratch_store_dwordx2 off, v[2:3], off offset:24
	s_cbranch_scc1 .LBB147_3
; %bb.1:
	s_mov_b64 s[6:7], src_private_base
	s_and_b64 s[12:13], s[46:47], exec
	s_cselect_b32 s6, s7, s9
	s_cselect_b32 s7, 16, s8
	v_mov_b32_e32 v2, s7
	v_mov_b32_e32 v3, s6
	flat_load_dwordx2 v[10:11], v[2:3]
	s_and_b64 vcc, exec, s[4:5]
	v_mov_b64_e32 v[12:13], s[10:11]
	s_cbranch_vccnz .LBB147_3
; %bb.2:
	v_mov_b64_e32 v[2:3], s[8:9]
	flat_load_dwordx2 v[12:13], v[2:3] offset:8
.LBB147_3:
	s_load_dwordx2 s[34:35], s[0:1], 0x90
	s_load_dwordx8 s[12:19], s[0:1], 0x68
	s_load_dwordx4 s[8:11], s[0:1], 0x48
	s_load_dwordx4 s[36:39], s[0:1], 0x8
	s_load_dwordx8 s[20:27], s[0:1], 0x28
	s_bitcmp1_b32 s3, 8
	s_cselect_b64 s[6:7], -1, 0
	s_bfe_u32 s3, s3, 0x10008
	s_cmp_eq_u32 s3, 0
	v_mov_b64_e32 v[8:9], 0
	s_cbranch_scc1 .LBB147_6
; %bb.4:
	s_mov_b64 s[48:49], src_private_base
	s_and_b64 s[46:47], s[46:47], exec
	s_cselect_b32 s3, s49, s41
	s_cselect_b32 s33, 24, s40
	v_mov_b32_e32 v2, s33
	v_mov_b32_e32 v3, s3
	flat_load_dwordx2 v[8:9], v[2:3]
	s_and_b64 vcc, exec, s[4:5]
	v_mov_b64_e32 v[6:7], s[42:43]
	s_cbranch_vccnz .LBB147_6
; %bb.5:
	v_mov_b64_e32 v[2:3], s[40:41]
	flat_load_dwordx2 v[6:7], v[2:3] offset:8
.LBB147_6:
	s_load_dwordx2 s[40:41], s[0:1], 0x0
	s_mov_b32 s4, 0
	v_lshl_add_u32 v1, v0, 4, 0
	v_add_u32_e32 v1, 0x2000, v1
	v_or_b32_e32 v34, 0xfffffe00, v0
	v_lshl_add_u32 v35, v0, 3, 0
	s_mov_b32 s5, s4
	s_mov_b32 s42, s4
	;; [unrolled: 1-line block ×3, first 2 shown]
	s_mov_b64 s[0:1], 0
	s_waitcnt lgkmcnt(0)
	v_mov_b64_e32 v[18:19], s[40:41]
	v_mov_b64_e32 v[2:3], s[4:5]
	;; [unrolled: 1-line block ×3, first 2 shown]
	v_mov_b32_e32 v14, v35
	v_mov_b32_e32 v15, v34
	;; [unrolled: 1-line block ×3, first 2 shown]
.LBB147_7:                              ; =>This Inner Loop Header: Depth=1
	v_add_co_u32_e32 v15, vcc, 0x200, v15
	s_xor_b64 s[4:5], vcc, -1
	s_and_b64 s[4:5], exec, s[4:5]
	ds_write_b64 v14, v[18:19]
	ds_write2_b64 v16, v[2:3], v[4:5] offset1:1
	v_add_u32_e32 v16, 0x2000, v16
	s_or_b64 s[0:1], s[4:5], s[0:1]
	v_add_u32_e32 v14, 0x1000, v14
	s_andn2_b64 exec, exec, s[0:1]
	s_cbranch_execnz .LBB147_7
; %bb.8:
	s_or_b64 exec, exec, s[0:1]
	s_waitcnt lgkmcnt(0)
	s_barrier
	s_load_dwordx2 s[0:1], s[36:37], 0x0
	s_mov_b32 s3, 0
	s_waitcnt lgkmcnt(0)
	s_lshl_b64 s[0:1], s[0:1], 3
	s_add_u32 s4, s38, s0
	s_addc_u32 s5, s39, s1
	s_lshl_b64 s[0:1], s[2:3], 3
	s_add_u32 s0, s4, s0
	s_addc_u32 s1, s5, s1
	s_load_dwordx2 s[36:37], s[0:1], 0x0
	s_and_b64 vcc, exec, s[44:45]
	s_cbranch_vccz .LBB147_28
; %bb.9:
	s_waitcnt lgkmcnt(0)
	s_lshl_b64 s[0:1], s[36:37], 3
	s_add_u32 s0, s20, s0
	s_addc_u32 s1, s21, s1
	s_load_dwordx4 s[44:47], s[0:1], 0x0
	v_lshrrev_b32_e32 v2, 5, v0
	v_subrev_co_u32_e32 v2, vcc, s28, v2
	s_waitcnt lgkmcnt(0)
	s_sub_u32 s0, s46, s28
	v_subb_co_u32_e64 v3, s[2:3], 0, 0, vcc
	s_subb_u32 s1, s47, 0
	v_lshl_add_u64 v[14:15], s[44:45], 0, v[2:3]
	v_cmp_gt_i64_e32 vcc, s[0:1], v[14:15]
	s_and_saveexec_b64 s[2:3], vcc
	s_cbranch_execz .LBB147_27
; %bb.10:
	v_and_b32_e32 v2, 31, v0
	v_subrev_co_u32_e32 v16, vcc, s29, v2
	s_mov_b32 s33, s29
	s_nop 0
	v_subb_co_u32_e64 v17, s[4:5], 0, 0, vcc
	s_mov_b64 s[4:5], 0
	s_movk_i32 s29, 0x89
	s_branch .LBB147_12
.LBB147_11:                             ;   in Loop: Header=BB147_12 Depth=1
	s_or_b64 exec, exec, s[20:21]
	v_lshl_add_u64 v[14:15], v[14:15], 0, 16
	v_cmp_le_i64_e32 vcc, s[0:1], v[14:15]
	s_or_b64 s[4:5], vcc, s[4:5]
	s_andn2_b64 exec, exec, s[4:5]
	s_cbranch_execz .LBB147_27
.LBB147_12:                             ; =>This Loop Header: Depth=1
                                        ;     Child Loop BB147_16 Depth 2
                                        ;       Child Loop BB147_19 Depth 3
	v_lshl_add_u64 v[2:3], v[14:15], 3, s[22:23]
	global_load_dwordx2 v[2:3], v[2:3], off
	s_waitcnt vmcnt(0)
	v_subrev_co_u32_e32 v2, vcc, s28, v2
	s_nop 1
	v_subbrev_co_u32_e32 v3, vcc, 0, v3, vcc
	v_lshl_add_u64 v[2:3], v[2:3], 3, s[26:27]
	global_load_dwordx4 v[2:5], v[2:3], off
	s_waitcnt vmcnt(0)
	v_subrev_co_u32_e32 v18, vcc, s33, v4
	s_nop 1
	v_subbrev_co_u32_e32 v19, vcc, 0, v5, vcc
	v_lshl_add_u64 v[20:21], v[2:3], 0, v[16:17]
	v_cmp_lt_i64_e32 vcc, v[20:21], v[18:19]
	s_and_saveexec_b64 s[20:21], vcc
	s_cbranch_execz .LBB147_11
; %bb.13:                               ;   in Loop: Header=BB147_12 Depth=1
	v_lshl_add_u64 v[2:3], v[14:15], 4, s[24:25]
	global_load_dwordx4 v[2:5], v[2:3], off
	s_mov_b64 s[38:39], 0
	s_waitcnt vmcnt(0)
	v_mul_f64 v[22:23], v[4:5], -v[12:13]
	v_mul_f64 v[24:25], v[10:11], v[4:5]
	v_fmac_f64_e32 v[22:23], v[10:11], v[2:3]
	v_fmac_f64_e32 v[24:25], v[12:13], v[2:3]
	s_branch .LBB147_16
.LBB147_14:                             ;   in Loop: Header=BB147_16 Depth=2
	s_or_b64 exec, exec, s[44:45]
.LBB147_15:                             ;   in Loop: Header=BB147_16 Depth=2
	s_or_b64 exec, exec, s[42:43]
	s_waitcnt vmcnt(0)
	v_mul_f64 v[28:29], v[4:5], -v[24:25]
	v_mul_f64 v[4:5], v[22:23], v[4:5]
	v_fmac_f64_e32 v[28:29], v[22:23], v[2:3]
	v_fmac_f64_e32 v[4:5], v[24:25], v[2:3]
	v_lshl_add_u32 v2, v26, 4, 0
	ds_add_f64 v2, v[28:29] offset:8192
	ds_add_f64 v2, v[4:5] offset:8200
	v_lshl_add_u64 v[20:21], v[20:21], 0, 32
	v_cmp_ge_i64_e32 vcc, v[20:21], v[18:19]
	s_or_b64 s[38:39], vcc, s[38:39]
	s_andn2_b64 exec, exec, s[38:39]
	s_cbranch_execz .LBB147_11
.LBB147_16:                             ;   Parent Loop BB147_12 Depth=1
                                        ; =>  This Loop Header: Depth=2
                                        ;       Child Loop BB147_19 Depth 3
	v_lshl_add_u64 v[2:3], v[20:21], 3, s[8:9]
	global_load_dwordx2 v[26:27], v[2:3], off
	v_lshl_add_u64 v[2:3], v[20:21], 4, s[10:11]
	global_load_dwordx4 v[2:5], v[2:3], off
	s_waitcnt vmcnt(1)
	v_subrev_co_u32_e32 v28, vcc, s33, v26
	v_mul_lo_u32 v26, v28, s29
	v_and_b32_e32 v26, 0x3ff, v26
	v_lshl_add_u32 v36, v26, 3, 0
	ds_read_b64 v[32:33], v36
	v_subbrev_co_u32_e32 v29, vcc, 0, v27, vcc
	s_waitcnt lgkmcnt(0)
	v_cmp_ne_u64_e32 vcc, v[32:33], v[28:29]
	s_and_saveexec_b64 s[42:43], vcc
	s_cbranch_execz .LBB147_15
; %bb.17:                               ;   in Loop: Header=BB147_16 Depth=2
	s_mov_b64 s[44:45], 0
                                        ; implicit-def: $sgpr46_sgpr47
                                        ; implicit-def: $sgpr48_sgpr49
	s_branch .LBB147_19
.LBB147_18:                             ;   in Loop: Header=BB147_19 Depth=3
	s_or_b64 exec, exec, s[54:55]
	s_and_b64 s[50:51], exec, s[52:53]
	s_or_b64 s[44:45], s[50:51], s[44:45]
	s_andn2_b64 s[46:47], s[46:47], exec
	s_and_b64 s[50:51], s[48:49], exec
	s_or_b64 s[46:47], s[46:47], s[50:51]
	s_andn2_b64 exec, exec, s[44:45]
	s_cbranch_execz .LBB147_25
.LBB147_19:                             ;   Parent Loop BB147_12 Depth=1
                                        ;     Parent Loop BB147_16 Depth=2
                                        ; =>    This Inner Loop Header: Depth=3
	v_mov_b64_e32 v[30:31], v[26:27]
	v_cmp_ne_u64_e32 vcc, s[40:41], v[32:33]
	s_mov_b64 s[50:51], 0
                                        ; implicit-def: $vgpr26_vgpr27
	s_and_saveexec_b64 s[52:53], vcc
	s_xor_b64 s[52:53], exec, s[52:53]
; %bb.20:                               ;   in Loop: Header=BB147_19 Depth=3
	v_add_u32_e32 v26, 1, v30
	s_mov_b64 s[50:51], exec
	v_and_b32_e32 v26, 0x3ff, v26
                                        ; implicit-def: $vgpr36
; %bb.21:                               ;   in Loop: Header=BB147_19 Depth=3
	s_andn2_saveexec_b64 s[52:53], s[52:53]
	s_cbranch_execz .LBB147_23
; %bb.22:                               ;   in Loop: Header=BB147_19 Depth=3
	v_mov_b64_e32 v[26:27], s[40:41]
	ds_cmpst_rtn_b64 v[26:27], v36, v[26:27], v[28:29]
	s_andn2_b64 s[50:51], s[50:51], exec
	s_waitcnt lgkmcnt(0)
	v_cmp_ne_u64_e32 vcc, s[40:41], v[26:27]
	s_and_b64 s[54:55], vcc, exec
	s_or_b64 s[50:51], s[50:51], s[54:55]
	v_mov_b64_e32 v[26:27], v[30:31]
.LBB147_23:                             ;   in Loop: Header=BB147_19 Depth=3
	s_or_b64 exec, exec, s[52:53]
	s_mov_b64 s[52:53], -1
	s_or_b64 s[48:49], s[48:49], exec
                                        ; implicit-def: $vgpr36
                                        ; implicit-def: $vgpr32_vgpr33
	s_and_saveexec_b64 s[54:55], s[50:51]
	s_cbranch_execz .LBB147_18
; %bb.24:                               ;   in Loop: Header=BB147_19 Depth=3
	v_lshl_add_u32 v36, v26, 3, 0
	ds_read_b64 v[32:33], v36
	s_andn2_b64 s[48:49], s[48:49], exec
	s_waitcnt lgkmcnt(0)
	v_cmp_eq_u64_e32 vcc, v[32:33], v[28:29]
	s_orn2_b64 s[52:53], vcc, exec
	s_branch .LBB147_18
.LBB147_25:                             ;   in Loop: Header=BB147_16 Depth=2
	s_or_b64 exec, exec, s[44:45]
	s_and_saveexec_b64 s[44:45], s[46:47]
	s_xor_b64 s[44:45], exec, s[44:45]
	s_cbranch_execz .LBB147_14
; %bb.26:                               ;   in Loop: Header=BB147_16 Depth=2
	v_mov_b32_e32 v26, v30
	s_branch .LBB147_14
.LBB147_27:
	s_or_b64 exec, exec, s[2:3]
.LBB147_28:
	s_andn2_b64 vcc, exec, s[6:7]
	s_cbranch_vccnz .LBB147_45
; %bb.29:
	s_waitcnt lgkmcnt(0)
	s_lshl_b64 s[0:1], s[36:37], 3
	s_add_u32 s0, s12, s0
	s_addc_u32 s1, s13, s1
	s_load_dwordx4 s[4:7], s[0:1], 0x0
	v_subrev_co_u32_e32 v2, vcc, s31, v0
	s_waitcnt lgkmcnt(0)
	s_sub_u32 s0, s6, s31
	v_subb_co_u32_e64 v3, s[2:3], 0, 0, vcc
	s_subb_u32 s1, s7, 0
	s_waitcnt vmcnt(0)
	v_lshl_add_u64 v[10:11], s[4:5], 0, v[2:3]
	v_cmp_gt_i64_e32 vcc, s[0:1], v[10:11]
	s_and_saveexec_b64 s[2:3], vcc
	s_cbranch_execz .LBB147_44
; %bb.30:
	s_mov_b32 s28, s31
	s_mov_b64 s[4:5], 0
	s_movk_i32 s29, 0x89
	s_mov_b64 s[6:7], 0x200
	s_branch .LBB147_33
.LBB147_31:                             ;   in Loop: Header=BB147_33 Depth=1
	s_or_b64 exec, exec, s[10:11]
.LBB147_32:                             ;   in Loop: Header=BB147_33 Depth=1
	s_or_b64 exec, exec, s[8:9]
	s_waitcnt vmcnt(0)
	v_mul_f64 v[14:15], v[4:5], -v[6:7]
	v_mul_f64 v[4:5], v[8:9], v[4:5]
	v_fmac_f64_e32 v[14:15], v[8:9], v[2:3]
	v_fmac_f64_e32 v[4:5], v[6:7], v[2:3]
	v_lshl_add_u32 v2, v12, 4, 0
	ds_add_f64 v2, v[14:15] offset:8192
	ds_add_f64 v2, v[4:5] offset:8200
	v_lshl_add_u64 v[10:11], v[10:11], 0, s[6:7]
	v_cmp_le_i64_e32 vcc, s[0:1], v[10:11]
	s_or_b64 s[4:5], vcc, s[4:5]
	s_andn2_b64 exec, exec, s[4:5]
	s_cbranch_execz .LBB147_44
.LBB147_33:                             ; =>This Loop Header: Depth=1
                                        ;     Child Loop BB147_36 Depth 2
	v_lshl_add_u64 v[2:3], v[10:11], 3, s[14:15]
	global_load_dwordx2 v[12:13], v[2:3], off
	v_lshl_add_u64 v[2:3], v[10:11], 4, s[16:17]
	global_load_dwordx4 v[2:5], v[2:3], off
	s_waitcnt vmcnt(1)
	v_subrev_co_u32_e32 v14, vcc, s28, v12
	v_mul_lo_u32 v12, v14, s29
	v_and_b32_e32 v12, 0x3ff, v12
	v_lshl_add_u32 v20, v12, 3, 0
	ds_read_b64 v[18:19], v20
	v_subbrev_co_u32_e32 v15, vcc, 0, v13, vcc
	s_waitcnt lgkmcnt(0)
	v_cmp_ne_u64_e32 vcc, v[18:19], v[14:15]
	s_and_saveexec_b64 s[8:9], vcc
	s_cbranch_execz .LBB147_32
; %bb.34:                               ;   in Loop: Header=BB147_33 Depth=1
	s_mov_b64 s[10:11], 0
                                        ; implicit-def: $sgpr12_sgpr13
                                        ; implicit-def: $sgpr20_sgpr21
	s_branch .LBB147_36
.LBB147_35:                             ;   in Loop: Header=BB147_36 Depth=2
	s_or_b64 exec, exec, s[26:27]
	s_and_b64 s[22:23], exec, s[24:25]
	s_or_b64 s[10:11], s[22:23], s[10:11]
	s_andn2_b64 s[12:13], s[12:13], exec
	s_and_b64 s[22:23], s[20:21], exec
	s_or_b64 s[12:13], s[12:13], s[22:23]
	s_andn2_b64 exec, exec, s[10:11]
	s_cbranch_execz .LBB147_42
.LBB147_36:                             ;   Parent Loop BB147_33 Depth=1
                                        ; =>  This Inner Loop Header: Depth=2
	v_mov_b64_e32 v[16:17], v[12:13]
	v_cmp_ne_u64_e32 vcc, s[40:41], v[18:19]
	s_mov_b64 s[22:23], 0
                                        ; implicit-def: $vgpr12_vgpr13
	s_and_saveexec_b64 s[24:25], vcc
	s_xor_b64 s[24:25], exec, s[24:25]
; %bb.37:                               ;   in Loop: Header=BB147_36 Depth=2
	v_add_u32_e32 v12, 1, v16
	s_mov_b64 s[22:23], exec
	v_and_b32_e32 v12, 0x3ff, v12
                                        ; implicit-def: $vgpr20
; %bb.38:                               ;   in Loop: Header=BB147_36 Depth=2
	s_andn2_saveexec_b64 s[24:25], s[24:25]
	s_cbranch_execz .LBB147_40
; %bb.39:                               ;   in Loop: Header=BB147_36 Depth=2
	v_mov_b64_e32 v[12:13], s[40:41]
	ds_cmpst_rtn_b64 v[12:13], v20, v[12:13], v[14:15]
	s_andn2_b64 s[22:23], s[22:23], exec
	s_waitcnt lgkmcnt(0)
	v_cmp_ne_u64_e32 vcc, s[40:41], v[12:13]
	s_and_b64 s[26:27], vcc, exec
	s_or_b64 s[22:23], s[22:23], s[26:27]
	v_mov_b64_e32 v[12:13], v[16:17]
.LBB147_40:                             ;   in Loop: Header=BB147_36 Depth=2
	s_or_b64 exec, exec, s[24:25]
	s_mov_b64 s[24:25], -1
	s_or_b64 s[20:21], s[20:21], exec
                                        ; implicit-def: $vgpr20
                                        ; implicit-def: $vgpr18_vgpr19
	s_and_saveexec_b64 s[26:27], s[22:23]
	s_cbranch_execz .LBB147_35
; %bb.41:                               ;   in Loop: Header=BB147_36 Depth=2
	v_lshl_add_u32 v20, v12, 3, 0
	ds_read_b64 v[18:19], v20
	s_andn2_b64 s[20:21], s[20:21], exec
	s_waitcnt lgkmcnt(0)
	v_cmp_eq_u64_e32 vcc, v[18:19], v[14:15]
	s_orn2_b64 s[24:25], vcc, exec
	s_branch .LBB147_35
.LBB147_42:                             ;   in Loop: Header=BB147_33 Depth=1
	s_or_b64 exec, exec, s[10:11]
	s_and_saveexec_b64 s[10:11], s[12:13]
	s_xor_b64 s[10:11], exec, s[10:11]
	s_cbranch_execz .LBB147_31
; %bb.43:                               ;   in Loop: Header=BB147_33 Depth=1
	v_mov_b32_e32 v12, v16
	s_branch .LBB147_31
.LBB147_44:
	s_or_b64 exec, exec, s[2:3]
.LBB147_45:
	v_mbcnt_lo_u32_b32 v2, -1, 0
	v_mbcnt_hi_u32_b32 v2, -1, v2
	v_sub_u32_e32 v2, 63, v2
	v_lshrrev_b64 v[4:5], v2, -1
	v_lshrrev_b32_e32 v2, 3, v0
	v_and_b32_e32 v2, 56, v2
	s_movk_i32 s0, 0x1ff
	s_movk_i32 s4, 0x7f
	s_movk_i32 s6, 0xbf
	s_movk_i32 s8, 0xff
	s_movk_i32 s10, 0x13f
	s_movk_i32 s12, 0x17f
	s_movk_i32 s14, 0x1bf
	v_mov_b32_e32 v3, 0
	s_waitcnt vmcnt(0)
	v_add_u32_e32 v12, 0, v2
	v_cmp_eq_u32_e64 s[0:1], s0, v0
	v_cmp_lt_u32_e64 s[2:3], 63, v0
	v_cmp_lt_u32_e64 s[4:5], s4, v0
	;; [unrolled: 1-line block ×7, first 2 shown]
	s_mov_b64 s[16:17], 0
	v_mov_b64_e32 v[6:7], 0
	s_waitcnt lgkmcnt(0)
	s_barrier
	s_branch .LBB147_47
.LBB147_46:                             ;   in Loop: Header=BB147_47 Depth=1
	s_or_b64 exec, exec, s[20:21]
	s_waitcnt lgkmcnt(0)
	s_barrier
	ds_read_b64 v[8:9], v3 offset:24632
	v_add_co_u32_e32 v34, vcc, 0x200, v34
	s_xor_b64 s[20:21], vcc, -1
	s_and_b64 s[20:21], exec, s[20:21]
	v_add_u32_e32 v1, 0x2000, v1
	s_waitcnt lgkmcnt(0)
	v_lshl_add_u64 v[6:7], v[8:9], 0, v[6:7]
	s_or_b64 s[16:17], s[20:21], s[16:17]
	v_add_u32_e32 v35, 0x1000, v35
	s_andn2_b64 exec, exec, s[16:17]
	s_cbranch_execz .LBB147_65
.LBB147_47:                             ; =>This Inner Loop Header: Depth=1
	ds_read2_b64 v[14:17], v1 offset1:1
	ds_read_b64 v[8:9], v35
	s_waitcnt lgkmcnt(1)
	scratch_store_dwordx4 off, v[14:17], off
	s_waitcnt lgkmcnt(0)
	v_cmp_gt_i64_e32 vcc, s[40:41], v[8:9]
	s_bcnt1_i32_b64 s20, vcc
	v_mov_b32_e32 v2, s20
	v_and_b32_e32 v11, vcc_lo, v4
	v_and_b32_e32 v10, vcc_hi, v5
	v_bcnt_u32_b32 v11, v11, 0
	v_bcnt_u32_b32 v10, v10, v11
	s_barrier
	ds_write_b64 v12, v[2:3] offset:24576
	s_waitcnt lgkmcnt(0)
	s_barrier
	s_and_saveexec_b64 s[20:21], s[2:3]
	s_cbranch_execnz .LBB147_56
; %bb.48:                               ;   in Loop: Header=BB147_47 Depth=1
	s_or_b64 exec, exec, s[20:21]
	s_and_saveexec_b64 s[20:21], s[4:5]
	s_cbranch_execnz .LBB147_57
.LBB147_49:                             ;   in Loop: Header=BB147_47 Depth=1
	s_or_b64 exec, exec, s[20:21]
	s_and_saveexec_b64 s[20:21], s[6:7]
	s_cbranch_execnz .LBB147_58
.LBB147_50:                             ;   in Loop: Header=BB147_47 Depth=1
	s_or_b64 exec, exec, s[20:21]
	s_and_saveexec_b64 s[20:21], s[8:9]
	s_cbranch_execnz .LBB147_59
.LBB147_51:                             ;   in Loop: Header=BB147_47 Depth=1
	s_or_b64 exec, exec, s[20:21]
	s_and_saveexec_b64 s[20:21], s[10:11]
	s_cbranch_execnz .LBB147_60
.LBB147_52:                             ;   in Loop: Header=BB147_47 Depth=1
	s_or_b64 exec, exec, s[20:21]
	s_and_saveexec_b64 s[20:21], s[12:13]
	s_cbranch_execnz .LBB147_61
.LBB147_53:                             ;   in Loop: Header=BB147_47 Depth=1
	s_or_b64 exec, exec, s[20:21]
	s_and_saveexec_b64 s[20:21], s[14:15]
	s_cbranch_execnz .LBB147_62
.LBB147_54:                             ;   in Loop: Header=BB147_47 Depth=1
	s_or_b64 exec, exec, s[20:21]
	v_ashrrev_i32_e32 v11, 31, v10
	s_and_saveexec_b64 s[20:21], vcc
	s_cbranch_execnz .LBB147_63
.LBB147_55:                             ;   in Loop: Header=BB147_47 Depth=1
	s_or_b64 exec, exec, s[20:21]
	s_and_saveexec_b64 s[20:21], s[0:1]
	s_cbranch_execz .LBB147_46
	s_branch .LBB147_64
.LBB147_56:                             ;   in Loop: Header=BB147_47 Depth=1
	ds_read_b32 v2, v3 offset:24576
	s_waitcnt lgkmcnt(0)
	v_add_u32_e32 v10, v2, v10
	s_or_b64 exec, exec, s[20:21]
	s_and_saveexec_b64 s[20:21], s[4:5]
	s_cbranch_execz .LBB147_49
.LBB147_57:                             ;   in Loop: Header=BB147_47 Depth=1
	ds_read_b32 v2, v3 offset:24584
	s_waitcnt lgkmcnt(0)
	v_add_u32_e32 v10, v10, v2
	s_or_b64 exec, exec, s[20:21]
	s_and_saveexec_b64 s[20:21], s[6:7]
	s_cbranch_execz .LBB147_50
.LBB147_58:                             ;   in Loop: Header=BB147_47 Depth=1
	ds_read_b32 v2, v3 offset:24592
	s_waitcnt lgkmcnt(0)
	v_add_u32_e32 v10, v10, v2
	s_or_b64 exec, exec, s[20:21]
	s_and_saveexec_b64 s[20:21], s[8:9]
	s_cbranch_execz .LBB147_51
.LBB147_59:                             ;   in Loop: Header=BB147_47 Depth=1
	ds_read_b32 v2, v3 offset:24600
	s_waitcnt lgkmcnt(0)
	v_add_u32_e32 v10, v10, v2
	s_or_b64 exec, exec, s[20:21]
	s_and_saveexec_b64 s[20:21], s[10:11]
	s_cbranch_execz .LBB147_52
.LBB147_60:                             ;   in Loop: Header=BB147_47 Depth=1
	ds_read_b32 v2, v3 offset:24608
	s_waitcnt lgkmcnt(0)
	v_add_u32_e32 v10, v10, v2
	s_or_b64 exec, exec, s[20:21]
	s_and_saveexec_b64 s[20:21], s[12:13]
	s_cbranch_execz .LBB147_53
.LBB147_61:                             ;   in Loop: Header=BB147_47 Depth=1
	ds_read_b32 v2, v3 offset:24616
	s_waitcnt lgkmcnt(0)
	v_add_u32_e32 v10, v10, v2
	s_or_b64 exec, exec, s[20:21]
	s_and_saveexec_b64 s[20:21], s[14:15]
	s_cbranch_execz .LBB147_54
.LBB147_62:                             ;   in Loop: Header=BB147_47 Depth=1
	ds_read_b32 v2, v3 offset:24624
	s_waitcnt lgkmcnt(0)
	v_add_u32_e32 v10, v10, v2
	s_or_b64 exec, exec, s[20:21]
	v_ashrrev_i32_e32 v11, 31, v10
	s_and_saveexec_b64 s[20:21], vcc
	s_cbranch_execz .LBB147_55
.LBB147_63:                             ;   in Loop: Header=BB147_47 Depth=1
	scratch_load_dwordx4 v[14:17], off, off
	v_add3_u32 v2, v6, -1, v10
	v_add_u32_e32 v13, v6, v10
	v_lshl_add_u32 v2, v2, 3, 0
	v_lshl_add_u32 v13, v13, 4, 0
	v_add_u32_e32 v13, 0x1ff0, v13
	ds_write_b64 v2, v[8:9]
	s_waitcnt vmcnt(0)
	ds_write2_b64 v13, v[14:15], v[16:17] offset1:1
	s_or_b64 exec, exec, s[20:21]
	s_and_saveexec_b64 s[20:21], s[0:1]
	s_cbranch_execz .LBB147_46
.LBB147_64:                             ;   in Loop: Header=BB147_47 Depth=1
	ds_write_b64 v3, v[10:11] offset:24632
	s_branch .LBB147_46
.LBB147_65:
	s_or_b64 exec, exec, s[16:17]
	s_lshl_b64 s[0:1], s[36:37], 3
	s_add_u32 s4, s18, s0
	s_addc_u32 s5, s19, s1
	s_load_dwordx4 s[0:3], s[4:5], 0x0
	v_mov_b32_e32 v1, 0
	s_waitcnt lgkmcnt(0)
	s_sub_u32 s4, s2, s0
	s_subb_u32 s5, s3, s1
	v_cmp_gt_i64_e32 vcc, s[4:5], v[0:1]
	s_and_saveexec_b64 s[6:7], vcc
	s_cbranch_execz .LBB147_75
; %bb.66:
	s_sub_u32 s8, s0, s30
	s_subb_u32 s9, s1, 0
	s_and_b32 s6, s4, 7
	s_sub_u32 s0, s0, s2
	s_mov_b32 s7, 0
	s_subb_u32 s1, s1, s3
	s_and_b32 s10, s4, -8
	s_cmp_lg_u64 s[6:7], 0
	v_cmp_lt_u64_e64 s[0:1], s[0:1], -7
	s_cselect_b64 s[2:3], -1, 0
	s_mov_b32 s11, s5
	v_cndmask_b32_e64 v2, 0, 1, s[0:1]
	v_cmp_ne_u32_e64 s[0:1], 1, v2
	v_cndmask_b32_e64 v2, 0, 1, s[2:3]
	s_mov_b64 s[12:13], 0
	v_cmp_ne_u32_e64 s[2:3], 1, v2
	s_movk_i32 s18, 0x2000
	s_mov_b64 s[14:15], 0x200
	s_branch .LBB147_68
.LBB147_67:                             ;   in Loop: Header=BB147_68 Depth=1
	s_waitcnt lgkmcnt(0)
	v_lshlrev_b32_e32 v2, 3, v0
	v_add3_u32 v2, v6, v2, s18
	ds_read2_b64 v[6:9], v2 offset1:1
	v_lshl_add_u64 v[0:1], v[0:1], 0, s[14:15]
	v_cmp_le_i64_e32 vcc, s[4:5], v[0:1]
	v_lshl_add_u64 v[2:3], v[4:5], 4, s[34:35]
	s_or_b64 s[12:13], vcc, s[12:13]
	s_waitcnt lgkmcnt(0)
	global_store_dwordx4 v[2:3], v[6:9], off
	s_andn2_b64 exec, exec, s[12:13]
	s_cbranch_execz .LBB147_75
.LBB147_68:                             ; =>This Loop Header: Depth=1
                                        ;     Child Loop BB147_70 Depth 2
                                        ;     Child Loop BB147_74 Depth 2
	v_lshl_add_u32 v6, v0, 3, 0
	ds_read_b64 v[2:3], v6
	s_and_b64 vcc, exec, s[0:1]
	v_mov_b64_e32 v[4:5], s[8:9]
	s_mov_b64 s[16:17], 0
	s_cbranch_vccnz .LBB147_72
; %bb.69:                               ;   in Loop: Header=BB147_68 Depth=1
	s_mov_b32 s19, 0
	v_mov_b64_e32 v[4:5], s[8:9]
.LBB147_70:                             ;   Parent Loop BB147_68 Depth=1
                                        ; =>  This Inner Loop Header: Depth=2
	v_mov_b32_e32 v7, s19
	ds_read2_b64 v[8:11], v7 offset1:1
	ds_read2_b64 v[12:15], v7 offset0:2 offset1:3
	ds_read2_b64 v[16:19], v7 offset0:4 offset1:5
	;; [unrolled: 1-line block ×3, first 2 shown]
	v_mov_b32_e32 v25, s7
	s_waitcnt lgkmcnt(3)
	v_cmp_gt_i64_e32 vcc, v[2:3], v[8:9]
	v_mov_b32_e32 v27, s7
	v_mov_b32_e32 v29, s7
	v_cndmask_b32_e64 v24, 0, 1, vcc
	v_cmp_gt_i64_e32 vcc, v[2:3], v[10:11]
	v_lshl_add_u64 v[4:5], v[4:5], 0, v[24:25]
	v_mov_b32_e32 v31, s7
	v_cndmask_b32_e64 v26, 0, 1, vcc
	s_waitcnt lgkmcnt(2)
	v_cmp_gt_i64_e32 vcc, v[2:3], v[12:13]
	v_lshl_add_u64 v[4:5], v[4:5], 0, v[26:27]
	v_mov_b32_e32 v33, s7
	v_cndmask_b32_e64 v28, 0, 1, vcc
	v_cmp_gt_i64_e32 vcc, v[2:3], v[14:15]
	v_lshl_add_u64 v[4:5], v[4:5], 0, v[28:29]
	v_mov_b32_e32 v35, s7
	v_cndmask_b32_e64 v30, 0, 1, vcc
	s_waitcnt lgkmcnt(1)
	v_cmp_gt_i64_e32 vcc, v[2:3], v[16:17]
	v_lshl_add_u64 v[4:5], v[4:5], 0, v[30:31]
	v_mov_b32_e32 v37, s7
	v_cndmask_b32_e64 v32, 0, 1, vcc
	v_cmp_gt_i64_e32 vcc, v[2:3], v[18:19]
	v_lshl_add_u64 v[4:5], v[4:5], 0, v[32:33]
	s_add_u32 s16, s16, 8
	v_cndmask_b32_e64 v34, 0, 1, vcc
	s_waitcnt lgkmcnt(0)
	v_cmp_gt_i64_e32 vcc, v[2:3], v[20:21]
	v_lshl_add_u64 v[4:5], v[4:5], 0, v[34:35]
	v_mov_b32_e32 v39, s7
	v_cndmask_b32_e64 v36, 0, 1, vcc
	v_cmp_gt_i64_e32 vcc, v[2:3], v[22:23]
	s_addc_u32 s17, s17, 0
	s_add_i32 s19, s19, 64
	v_cndmask_b32_e64 v38, 0, 1, vcc
	v_lshl_add_u64 v[4:5], v[4:5], 0, v[36:37]
	s_cmp_eq_u64 s[10:11], s[16:17]
	v_lshl_add_u64 v[4:5], v[4:5], 0, v[38:39]
	s_cbranch_scc0 .LBB147_70
; %bb.71:                               ;   in Loop: Header=BB147_68 Depth=1
	s_mov_b64 s[16:17], s[10:11]
.LBB147_72:                             ;   in Loop: Header=BB147_68 Depth=1
	s_and_b64 vcc, exec, s[2:3]
	s_cbranch_vccnz .LBB147_67
; %bb.73:                               ;   in Loop: Header=BB147_68 Depth=1
	s_lshl_b32 s16, s16, 3
	s_add_i32 s19, s16, 0
	s_mov_b64 s[16:17], s[6:7]
.LBB147_74:                             ;   Parent Loop BB147_68 Depth=1
                                        ; =>  This Inner Loop Header: Depth=2
	v_mov_b32_e32 v7, s19
	ds_read_b64 v[10:11], v7
	s_add_i32 s19, s19, 8
	s_add_u32 s16, s16, -1
	v_mov_b32_e32 v9, s7
	s_addc_u32 s17, s17, -1
	s_waitcnt lgkmcnt(0)
	v_cmp_gt_i64_e32 vcc, v[2:3], v[10:11]
	s_cmp_lg_u64 s[16:17], 0
	s_nop 0
	v_cndmask_b32_e64 v8, 0, 1, vcc
	v_lshl_add_u64 v[4:5], v[4:5], 0, v[8:9]
	s_cbranch_scc1 .LBB147_74
	s_branch .LBB147_67
.LBB147_75:
	s_endpgm
	.section	.rodata,"a",@progbits
	.p2align	6, 0x0
	.amdhsa_kernel _ZN9rocsparseL41csrgemm_numeric_fill_block_per_row_kernelILj512ELj32ELj1024ELj137ELj64Ell21rocsparse_complex_numIdEEEvT5_PKS3_S5_NS_24const_host_device_scalarIT6_EEPKT4_S5_PKS7_SB_S5_SD_S8_SB_S5_SD_SB_S5_PS7_21rocsparse_index_base_SF_SF_SF_bbb
		.amdhsa_group_segment_fixed_size 0
		.amdhsa_private_segment_fixed_size 40
		.amdhsa_kernarg_size 172
		.amdhsa_user_sgpr_count 2
		.amdhsa_user_sgpr_dispatch_ptr 0
		.amdhsa_user_sgpr_queue_ptr 0
		.amdhsa_user_sgpr_kernarg_segment_ptr 1
		.amdhsa_user_sgpr_dispatch_id 0
		.amdhsa_user_sgpr_kernarg_preload_length 0
		.amdhsa_user_sgpr_kernarg_preload_offset 0
		.amdhsa_user_sgpr_private_segment_size 0
		.amdhsa_uses_dynamic_stack 0
		.amdhsa_enable_private_segment 1
		.amdhsa_system_sgpr_workgroup_id_x 1
		.amdhsa_system_sgpr_workgroup_id_y 0
		.amdhsa_system_sgpr_workgroup_id_z 0
		.amdhsa_system_sgpr_workgroup_info 0
		.amdhsa_system_vgpr_workitem_id 0
		.amdhsa_next_free_vgpr 40
		.amdhsa_next_free_sgpr 56
		.amdhsa_accum_offset 40
		.amdhsa_reserve_vcc 1
		.amdhsa_float_round_mode_32 0
		.amdhsa_float_round_mode_16_64 0
		.amdhsa_float_denorm_mode_32 3
		.amdhsa_float_denorm_mode_16_64 3
		.amdhsa_dx10_clamp 1
		.amdhsa_ieee_mode 1
		.amdhsa_fp16_overflow 0
		.amdhsa_tg_split 0
		.amdhsa_exception_fp_ieee_invalid_op 0
		.amdhsa_exception_fp_denorm_src 0
		.amdhsa_exception_fp_ieee_div_zero 0
		.amdhsa_exception_fp_ieee_overflow 0
		.amdhsa_exception_fp_ieee_underflow 0
		.amdhsa_exception_fp_ieee_inexact 0
		.amdhsa_exception_int_div_zero 0
	.end_amdhsa_kernel
	.section	.text._ZN9rocsparseL41csrgemm_numeric_fill_block_per_row_kernelILj512ELj32ELj1024ELj137ELj64Ell21rocsparse_complex_numIdEEEvT5_PKS3_S5_NS_24const_host_device_scalarIT6_EEPKT4_S5_PKS7_SB_S5_SD_S8_SB_S5_SD_SB_S5_PS7_21rocsparse_index_base_SF_SF_SF_bbb,"axG",@progbits,_ZN9rocsparseL41csrgemm_numeric_fill_block_per_row_kernelILj512ELj32ELj1024ELj137ELj64Ell21rocsparse_complex_numIdEEEvT5_PKS3_S5_NS_24const_host_device_scalarIT6_EEPKT4_S5_PKS7_SB_S5_SD_S8_SB_S5_SD_SB_S5_PS7_21rocsparse_index_base_SF_SF_SF_bbb,comdat
.Lfunc_end147:
	.size	_ZN9rocsparseL41csrgemm_numeric_fill_block_per_row_kernelILj512ELj32ELj1024ELj137ELj64Ell21rocsparse_complex_numIdEEEvT5_PKS3_S5_NS_24const_host_device_scalarIT6_EEPKT4_S5_PKS7_SB_S5_SD_S8_SB_S5_SD_SB_S5_PS7_21rocsparse_index_base_SF_SF_SF_bbb, .Lfunc_end147-_ZN9rocsparseL41csrgemm_numeric_fill_block_per_row_kernelILj512ELj32ELj1024ELj137ELj64Ell21rocsparse_complex_numIdEEEvT5_PKS3_S5_NS_24const_host_device_scalarIT6_EEPKT4_S5_PKS7_SB_S5_SD_S8_SB_S5_SD_SB_S5_PS7_21rocsparse_index_base_SF_SF_SF_bbb
                                        ; -- End function
	.set _ZN9rocsparseL41csrgemm_numeric_fill_block_per_row_kernelILj512ELj32ELj1024ELj137ELj64Ell21rocsparse_complex_numIdEEEvT5_PKS3_S5_NS_24const_host_device_scalarIT6_EEPKT4_S5_PKS7_SB_S5_SD_S8_SB_S5_SD_SB_S5_PS7_21rocsparse_index_base_SF_SF_SF_bbb.num_vgpr, 40
	.set _ZN9rocsparseL41csrgemm_numeric_fill_block_per_row_kernelILj512ELj32ELj1024ELj137ELj64Ell21rocsparse_complex_numIdEEEvT5_PKS3_S5_NS_24const_host_device_scalarIT6_EEPKT4_S5_PKS7_SB_S5_SD_S8_SB_S5_SD_SB_S5_PS7_21rocsparse_index_base_SF_SF_SF_bbb.num_agpr, 0
	.set _ZN9rocsparseL41csrgemm_numeric_fill_block_per_row_kernelILj512ELj32ELj1024ELj137ELj64Ell21rocsparse_complex_numIdEEEvT5_PKS3_S5_NS_24const_host_device_scalarIT6_EEPKT4_S5_PKS7_SB_S5_SD_S8_SB_S5_SD_SB_S5_PS7_21rocsparse_index_base_SF_SF_SF_bbb.numbered_sgpr, 56
	.set _ZN9rocsparseL41csrgemm_numeric_fill_block_per_row_kernelILj512ELj32ELj1024ELj137ELj64Ell21rocsparse_complex_numIdEEEvT5_PKS3_S5_NS_24const_host_device_scalarIT6_EEPKT4_S5_PKS7_SB_S5_SD_S8_SB_S5_SD_SB_S5_PS7_21rocsparse_index_base_SF_SF_SF_bbb.num_named_barrier, 0
	.set _ZN9rocsparseL41csrgemm_numeric_fill_block_per_row_kernelILj512ELj32ELj1024ELj137ELj64Ell21rocsparse_complex_numIdEEEvT5_PKS3_S5_NS_24const_host_device_scalarIT6_EEPKT4_S5_PKS7_SB_S5_SD_S8_SB_S5_SD_SB_S5_PS7_21rocsparse_index_base_SF_SF_SF_bbb.private_seg_size, 40
	.set _ZN9rocsparseL41csrgemm_numeric_fill_block_per_row_kernelILj512ELj32ELj1024ELj137ELj64Ell21rocsparse_complex_numIdEEEvT5_PKS3_S5_NS_24const_host_device_scalarIT6_EEPKT4_S5_PKS7_SB_S5_SD_S8_SB_S5_SD_SB_S5_PS7_21rocsparse_index_base_SF_SF_SF_bbb.uses_vcc, 1
	.set _ZN9rocsparseL41csrgemm_numeric_fill_block_per_row_kernelILj512ELj32ELj1024ELj137ELj64Ell21rocsparse_complex_numIdEEEvT5_PKS3_S5_NS_24const_host_device_scalarIT6_EEPKT4_S5_PKS7_SB_S5_SD_S8_SB_S5_SD_SB_S5_PS7_21rocsparse_index_base_SF_SF_SF_bbb.uses_flat_scratch, 0
	.set _ZN9rocsparseL41csrgemm_numeric_fill_block_per_row_kernelILj512ELj32ELj1024ELj137ELj64Ell21rocsparse_complex_numIdEEEvT5_PKS3_S5_NS_24const_host_device_scalarIT6_EEPKT4_S5_PKS7_SB_S5_SD_S8_SB_S5_SD_SB_S5_PS7_21rocsparse_index_base_SF_SF_SF_bbb.has_dyn_sized_stack, 0
	.set _ZN9rocsparseL41csrgemm_numeric_fill_block_per_row_kernelILj512ELj32ELj1024ELj137ELj64Ell21rocsparse_complex_numIdEEEvT5_PKS3_S5_NS_24const_host_device_scalarIT6_EEPKT4_S5_PKS7_SB_S5_SD_S8_SB_S5_SD_SB_S5_PS7_21rocsparse_index_base_SF_SF_SF_bbb.has_recursion, 0
	.set _ZN9rocsparseL41csrgemm_numeric_fill_block_per_row_kernelILj512ELj32ELj1024ELj137ELj64Ell21rocsparse_complex_numIdEEEvT5_PKS3_S5_NS_24const_host_device_scalarIT6_EEPKT4_S5_PKS7_SB_S5_SD_S8_SB_S5_SD_SB_S5_PS7_21rocsparse_index_base_SF_SF_SF_bbb.has_indirect_call, 0
	.section	.AMDGPU.csdata,"",@progbits
; Kernel info:
; codeLenInByte = 2992
; TotalNumSgprs: 62
; NumVgprs: 40
; NumAgprs: 0
; TotalNumVgprs: 40
; ScratchSize: 40
; MemoryBound: 0
; FloatMode: 240
; IeeeMode: 1
; LDSByteSize: 0 bytes/workgroup (compile time only)
; SGPRBlocks: 7
; VGPRBlocks: 4
; NumSGPRsForWavesPerEU: 62
; NumVGPRsForWavesPerEU: 40
; AccumOffset: 40
; Occupancy: 8
; WaveLimiterHint : 1
; COMPUTE_PGM_RSRC2:SCRATCH_EN: 1
; COMPUTE_PGM_RSRC2:USER_SGPR: 2
; COMPUTE_PGM_RSRC2:TRAP_HANDLER: 0
; COMPUTE_PGM_RSRC2:TGID_X_EN: 1
; COMPUTE_PGM_RSRC2:TGID_Y_EN: 0
; COMPUTE_PGM_RSRC2:TGID_Z_EN: 0
; COMPUTE_PGM_RSRC2:TIDIG_COMP_CNT: 0
; COMPUTE_PGM_RSRC3_GFX90A:ACCUM_OFFSET: 9
; COMPUTE_PGM_RSRC3_GFX90A:TG_SPLIT: 0
	.section	.text._ZN9rocsparseL41csrgemm_numeric_fill_block_per_row_kernelILj1024ELj32ELj2048ELj137ELj32Ell21rocsparse_complex_numIdEEEvT5_PKS3_S5_NS_24const_host_device_scalarIT6_EEPKT4_S5_PKS7_SB_S5_SD_S8_SB_S5_SD_SB_S5_PS7_21rocsparse_index_base_SF_SF_SF_bbb,"axG",@progbits,_ZN9rocsparseL41csrgemm_numeric_fill_block_per_row_kernelILj1024ELj32ELj2048ELj137ELj32Ell21rocsparse_complex_numIdEEEvT5_PKS3_S5_NS_24const_host_device_scalarIT6_EEPKT4_S5_PKS7_SB_S5_SD_S8_SB_S5_SD_SB_S5_PS7_21rocsparse_index_base_SF_SF_SF_bbb,comdat
	.globl	_ZN9rocsparseL41csrgemm_numeric_fill_block_per_row_kernelILj1024ELj32ELj2048ELj137ELj32Ell21rocsparse_complex_numIdEEEvT5_PKS3_S5_NS_24const_host_device_scalarIT6_EEPKT4_S5_PKS7_SB_S5_SD_S8_SB_S5_SD_SB_S5_PS7_21rocsparse_index_base_SF_SF_SF_bbb ; -- Begin function _ZN9rocsparseL41csrgemm_numeric_fill_block_per_row_kernelILj1024ELj32ELj2048ELj137ELj32Ell21rocsparse_complex_numIdEEEvT5_PKS3_S5_NS_24const_host_device_scalarIT6_EEPKT4_S5_PKS7_SB_S5_SD_S8_SB_S5_SD_SB_S5_PS7_21rocsparse_index_base_SF_SF_SF_bbb
	.p2align	8
	.type	_ZN9rocsparseL41csrgemm_numeric_fill_block_per_row_kernelILj1024ELj32ELj2048ELj137ELj32Ell21rocsparse_complex_numIdEEEvT5_PKS3_S5_NS_24const_host_device_scalarIT6_EEPKT4_S5_PKS7_SB_S5_SD_S8_SB_S5_SD_SB_S5_PS7_21rocsparse_index_base_SF_SF_SF_bbb,@function
_ZN9rocsparseL41csrgemm_numeric_fill_block_per_row_kernelILj1024ELj32ELj2048ELj137ELj32Ell21rocsparse_complex_numIdEEEvT5_PKS3_S5_NS_24const_host_device_scalarIT6_EEPKT4_S5_PKS7_SB_S5_SD_S8_SB_S5_SD_SB_S5_PS7_21rocsparse_index_base_SF_SF_SF_bbb: ; @_ZN9rocsparseL41csrgemm_numeric_fill_block_per_row_kernelILj1024ELj32ELj2048ELj137ELj32Ell21rocsparse_complex_numIdEEEvT5_PKS3_S5_NS_24const_host_device_scalarIT6_EEPKT4_S5_PKS7_SB_S5_SD_S8_SB_S5_SD_SB_S5_PS7_21rocsparse_index_base_SF_SF_SF_bbb
; %bb.0:
	s_load_dword s3, s[0:1], 0xa8
	s_load_dwordx4 s[68:71], s[0:1], 0x98
	s_load_dwordx4 s[8:11], s[0:1], 0x18
	;; [unrolled: 1-line block ×3, first 2 shown]
	v_mov_b64_e32 v[6:7], 0
	s_waitcnt lgkmcnt(0)
	s_bitcmp1_b32 s3, 0
	s_cselect_b64 s[28:29], -1, 0
	s_bitcmp1_b32 s3, 16
	s_cselect_b64 s[30:31], -1, 0
	s_xor_b64 s[4:5], s[30:31], -1
	v_mov_b64_e32 v[2:3], s[8:9]
	v_cndmask_b32_e64 v1, 0, 1, s[4:5]
	scratch_store_dwordx2 off, v[2:3], off offset:16
	v_mov_b64_e32 v[2:3], s[24:25]
	s_bitcmp0_b32 s3, 0
	v_cmp_ne_u32_e64 s[4:5], 1, v1
	v_mov_b64_e32 v[10:11], 0
	v_mov_b64_e32 v[12:13], 0
	scratch_store_dwordx2 off, v[2:3], off offset:24
	s_cbranch_scc1 .LBB148_3
; %bb.1:
	s_mov_b64 s[6:7], src_private_base
	s_and_b64 s[12:13], s[30:31], exec
	s_cselect_b32 s6, s7, s9
	s_cselect_b32 s7, 16, s8
	v_mov_b32_e32 v2, s7
	v_mov_b32_e32 v3, s6
	flat_load_dwordx2 v[10:11], v[2:3]
	s_and_b64 vcc, exec, s[4:5]
	v_mov_b64_e32 v[12:13], s[10:11]
	s_cbranch_vccnz .LBB148_3
; %bb.2:
	v_mov_b64_e32 v[2:3], s[8:9]
	flat_load_dwordx2 v[12:13], v[2:3] offset:8
.LBB148_3:
	s_load_dwordx2 s[72:73], s[0:1], 0x90
	s_load_dwordx8 s[60:67], s[0:1], 0x68
	s_load_dwordx4 s[16:19], s[0:1], 0x48
	s_load_dwordx4 s[20:23], s[0:1], 0x8
	s_load_dwordx8 s[8:15], s[0:1], 0x28
	s_bitcmp1_b32 s3, 8
	s_cselect_b64 s[6:7], -1, 0
	s_bfe_u32 s3, s3, 0x10008
	s_cmp_eq_u32 s3, 0
	v_mov_b64_e32 v[8:9], 0
	s_cbranch_scc1 .LBB148_6
; %bb.4:
	s_mov_b64 s[34:35], src_private_base
	s_and_b64 s[30:31], s[30:31], exec
	s_cselect_b32 s3, s35, s25
	s_cselect_b32 s30, 24, s24
	v_mov_b32_e32 v2, s30
	v_mov_b32_e32 v3, s3
	flat_load_dwordx2 v[8:9], v[2:3]
	s_and_b64 vcc, exec, s[4:5]
	v_mov_b64_e32 v[6:7], s[26:27]
	s_cbranch_vccnz .LBB148_6
; %bb.5:
	v_mov_b64_e32 v[2:3], s[24:25]
	flat_load_dwordx2 v[6:7], v[2:3] offset:8
.LBB148_6:
	s_load_dwordx2 s[74:75], s[0:1], 0x0
	s_mov_b32 s4, 0
	v_lshl_add_u32 v1, v0, 4, 0
	v_add_u32_e32 v1, 0x4000, v1
	v_or_b32_e32 v34, 0xfffffc00, v0
	v_lshl_add_u32 v35, v0, 3, 0
	s_mov_b32 s5, s4
	s_mov_b32 s24, s4
	;; [unrolled: 1-line block ×3, first 2 shown]
	s_mov_b64 s[0:1], 0
	s_waitcnt lgkmcnt(0)
	v_mov_b64_e32 v[18:19], s[74:75]
	v_mov_b64_e32 v[2:3], s[4:5]
	;; [unrolled: 1-line block ×3, first 2 shown]
	v_mov_b32_e32 v14, v35
	v_mov_b32_e32 v15, v34
	;; [unrolled: 1-line block ×3, first 2 shown]
.LBB148_7:                              ; =>This Inner Loop Header: Depth=1
	v_add_co_u32_e32 v15, vcc, 0x400, v15
	s_xor_b64 s[4:5], vcc, -1
	s_and_b64 s[4:5], exec, s[4:5]
	ds_write_b64 v14, v[18:19]
	ds_write2_b64 v16, v[2:3], v[4:5] offset1:1
	v_add_u32_e32 v16, 0x4000, v16
	s_or_b64 s[0:1], s[4:5], s[0:1]
	v_add_u32_e32 v14, 0x2000, v14
	s_andn2_b64 exec, exec, s[0:1]
	s_cbranch_execnz .LBB148_7
; %bb.8:
	s_or_b64 exec, exec, s[0:1]
	s_waitcnt lgkmcnt(0)
	s_barrier
	s_load_dwordx2 s[0:1], s[20:21], 0x0
	s_mov_b32 s3, 0
	v_lshrrev_b32_e32 v36, 5, v0
	s_waitcnt lgkmcnt(0)
	s_lshl_b64 s[0:1], s[0:1], 3
	s_add_u32 s4, s22, s0
	s_addc_u32 s5, s23, s1
	s_lshl_b64 s[0:1], s[2:3], 3
	s_add_u32 s0, s4, s0
	s_addc_u32 s1, s5, s1
	s_load_dwordx2 s[76:77], s[0:1], 0x0
	s_and_b64 vcc, exec, s[28:29]
	s_cbranch_vccz .LBB148_28
; %bb.9:
	s_waitcnt lgkmcnt(0)
	s_lshl_b64 s[0:1], s[76:77], 3
	s_add_u32 s0, s8, s0
	s_addc_u32 s1, s9, s1
	s_load_dwordx4 s[20:23], s[0:1], 0x0
	v_subrev_co_u32_e32 v2, vcc, s68, v36
	s_nop 1
	v_subb_co_u32_e64 v3, s[0:1], 0, 0, vcc
	s_waitcnt lgkmcnt(0)
	s_sub_u32 s0, s22, s68
	s_subb_u32 s1, s23, 0
	v_lshl_add_u64 v[14:15], s[20:21], 0, v[2:3]
	v_cmp_gt_i64_e32 vcc, s[0:1], v[14:15]
	s_and_saveexec_b64 s[2:3], vcc
	s_cbranch_execz .LBB148_27
; %bb.10:
	v_and_b32_e32 v2, 31, v0
	v_subrev_co_u32_e32 v16, vcc, s69, v2
	s_mov_b32 s33, s69
	s_nop 0
	v_subb_co_u32_e64 v17, s[4:5], 0, 0, vcc
	s_mov_b64 s[4:5], 0
	s_movk_i32 s38, 0x89
	s_branch .LBB148_12
.LBB148_11:                             ;   in Loop: Header=BB148_12 Depth=1
	s_or_b64 exec, exec, s[8:9]
	v_lshl_add_u64 v[14:15], v[14:15], 0, 32
	v_cmp_le_i64_e32 vcc, s[0:1], v[14:15]
	s_or_b64 s[4:5], vcc, s[4:5]
	s_andn2_b64 exec, exec, s[4:5]
	s_cbranch_execz .LBB148_27
.LBB148_12:                             ; =>This Loop Header: Depth=1
                                        ;     Child Loop BB148_16 Depth 2
                                        ;       Child Loop BB148_19 Depth 3
	v_lshl_add_u64 v[2:3], v[14:15], 3, s[10:11]
	global_load_dwordx2 v[2:3], v[2:3], off
	s_waitcnt vmcnt(0)
	v_subrev_co_u32_e32 v2, vcc, s68, v2
	s_nop 1
	v_subbrev_co_u32_e32 v3, vcc, 0, v3, vcc
	v_lshl_add_u64 v[2:3], v[2:3], 3, s[14:15]
	global_load_dwordx4 v[2:5], v[2:3], off
	s_waitcnt vmcnt(0)
	v_subrev_co_u32_e32 v18, vcc, s33, v4
	s_nop 1
	v_subbrev_co_u32_e32 v19, vcc, 0, v5, vcc
	v_lshl_add_u64 v[20:21], v[2:3], 0, v[16:17]
	v_cmp_lt_i64_e32 vcc, v[20:21], v[18:19]
	s_and_saveexec_b64 s[8:9], vcc
	s_cbranch_execz .LBB148_11
; %bb.13:                               ;   in Loop: Header=BB148_12 Depth=1
	v_lshl_add_u64 v[2:3], v[14:15], 4, s[12:13]
	global_load_dwordx4 v[2:5], v[2:3], off
	s_mov_b64 s[20:21], 0
	s_waitcnt vmcnt(0)
	v_mul_f64 v[22:23], v[4:5], -v[12:13]
	v_mul_f64 v[24:25], v[10:11], v[4:5]
	v_fmac_f64_e32 v[22:23], v[10:11], v[2:3]
	v_fmac_f64_e32 v[24:25], v[12:13], v[2:3]
	s_branch .LBB148_16
.LBB148_14:                             ;   in Loop: Header=BB148_16 Depth=2
	s_or_b64 exec, exec, s[24:25]
.LBB148_15:                             ;   in Loop: Header=BB148_16 Depth=2
	s_or_b64 exec, exec, s[22:23]
	s_waitcnt vmcnt(0)
	v_mul_f64 v[28:29], v[4:5], -v[24:25]
	v_mul_f64 v[4:5], v[22:23], v[4:5]
	v_fmac_f64_e32 v[28:29], v[22:23], v[2:3]
	v_fmac_f64_e32 v[4:5], v[24:25], v[2:3]
	v_lshl_add_u32 v2, v26, 4, 0
	ds_add_f64 v2, v[28:29] offset:16384
	ds_add_f64 v2, v[4:5] offset:16392
	v_lshl_add_u64 v[20:21], v[20:21], 0, 32
	v_cmp_ge_i64_e32 vcc, v[20:21], v[18:19]
	s_or_b64 s[20:21], vcc, s[20:21]
	s_andn2_b64 exec, exec, s[20:21]
	s_cbranch_execz .LBB148_11
.LBB148_16:                             ;   Parent Loop BB148_12 Depth=1
                                        ; =>  This Loop Header: Depth=2
                                        ;       Child Loop BB148_19 Depth 3
	v_lshl_add_u64 v[2:3], v[20:21], 3, s[16:17]
	global_load_dwordx2 v[26:27], v[2:3], off
	v_lshl_add_u64 v[2:3], v[20:21], 4, s[18:19]
	global_load_dwordx4 v[2:5], v[2:3], off
	s_waitcnt vmcnt(1)
	v_subrev_co_u32_e32 v28, vcc, s33, v26
	v_mul_lo_u32 v26, v28, s38
	v_and_b32_e32 v26, 0x7ff, v26
	v_lshl_add_u32 v37, v26, 3, 0
	ds_read_b64 v[32:33], v37
	v_subbrev_co_u32_e32 v29, vcc, 0, v27, vcc
	s_waitcnt lgkmcnt(0)
	v_cmp_ne_u64_e32 vcc, v[32:33], v[28:29]
	s_and_saveexec_b64 s[22:23], vcc
	s_cbranch_execz .LBB148_15
; %bb.17:                               ;   in Loop: Header=BB148_16 Depth=2
	s_mov_b64 s[24:25], 0
                                        ; implicit-def: $sgpr26_sgpr27
                                        ; implicit-def: $sgpr28_sgpr29
	s_branch .LBB148_19
.LBB148_18:                             ;   in Loop: Header=BB148_19 Depth=3
	s_or_b64 exec, exec, s[36:37]
	s_and_b64 s[30:31], exec, s[34:35]
	s_or_b64 s[24:25], s[30:31], s[24:25]
	s_andn2_b64 s[26:27], s[26:27], exec
	s_and_b64 s[30:31], s[28:29], exec
	s_or_b64 s[26:27], s[26:27], s[30:31]
	s_andn2_b64 exec, exec, s[24:25]
	s_cbranch_execz .LBB148_25
.LBB148_19:                             ;   Parent Loop BB148_12 Depth=1
                                        ;     Parent Loop BB148_16 Depth=2
                                        ; =>    This Inner Loop Header: Depth=3
	v_mov_b64_e32 v[30:31], v[26:27]
	v_cmp_ne_u64_e32 vcc, s[74:75], v[32:33]
	s_mov_b64 s[30:31], 0
                                        ; implicit-def: $vgpr26_vgpr27
	s_and_saveexec_b64 s[34:35], vcc
	s_xor_b64 s[34:35], exec, s[34:35]
; %bb.20:                               ;   in Loop: Header=BB148_19 Depth=3
	v_add_u32_e32 v26, 1, v30
	s_mov_b64 s[30:31], exec
	v_and_b32_e32 v26, 0x7ff, v26
                                        ; implicit-def: $vgpr37
; %bb.21:                               ;   in Loop: Header=BB148_19 Depth=3
	s_andn2_saveexec_b64 s[34:35], s[34:35]
	s_cbranch_execz .LBB148_23
; %bb.22:                               ;   in Loop: Header=BB148_19 Depth=3
	v_mov_b64_e32 v[26:27], s[74:75]
	ds_cmpst_rtn_b64 v[26:27], v37, v[26:27], v[28:29]
	s_andn2_b64 s[30:31], s[30:31], exec
	s_waitcnt lgkmcnt(0)
	v_cmp_ne_u64_e32 vcc, s[74:75], v[26:27]
	s_and_b64 s[36:37], vcc, exec
	s_or_b64 s[30:31], s[30:31], s[36:37]
	v_mov_b64_e32 v[26:27], v[30:31]
.LBB148_23:                             ;   in Loop: Header=BB148_19 Depth=3
	s_or_b64 exec, exec, s[34:35]
	s_mov_b64 s[34:35], -1
	s_or_b64 s[28:29], s[28:29], exec
                                        ; implicit-def: $vgpr37
                                        ; implicit-def: $vgpr32_vgpr33
	s_and_saveexec_b64 s[36:37], s[30:31]
	s_cbranch_execz .LBB148_18
; %bb.24:                               ;   in Loop: Header=BB148_19 Depth=3
	v_lshl_add_u32 v37, v26, 3, 0
	ds_read_b64 v[32:33], v37
	s_andn2_b64 s[28:29], s[28:29], exec
	s_waitcnt lgkmcnt(0)
	v_cmp_eq_u64_e32 vcc, v[32:33], v[28:29]
	s_orn2_b64 s[34:35], vcc, exec
	s_branch .LBB148_18
.LBB148_25:                             ;   in Loop: Header=BB148_16 Depth=2
	s_or_b64 exec, exec, s[24:25]
	s_and_saveexec_b64 s[24:25], s[26:27]
	s_xor_b64 s[24:25], exec, s[24:25]
	s_cbranch_execz .LBB148_14
; %bb.26:                               ;   in Loop: Header=BB148_16 Depth=2
	v_mov_b32_e32 v26, v30
	s_branch .LBB148_14
.LBB148_27:
	s_or_b64 exec, exec, s[2:3]
.LBB148_28:
	s_andn2_b64 vcc, exec, s[6:7]
	s_cbranch_vccnz .LBB148_45
; %bb.29:
	s_waitcnt lgkmcnt(0)
	s_lshl_b64 s[0:1], s[76:77], 3
	s_add_u32 s0, s60, s0
	s_addc_u32 s1, s61, s1
	s_load_dwordx4 s[4:7], s[0:1], 0x0
	v_subrev_co_u32_e32 v2, vcc, s71, v0
	s_waitcnt lgkmcnt(0)
	s_sub_u32 s0, s6, s71
	v_subb_co_u32_e64 v3, s[2:3], 0, 0, vcc
	s_subb_u32 s1, s7, 0
	s_waitcnt vmcnt(0)
	v_lshl_add_u64 v[10:11], s[4:5], 0, v[2:3]
	v_cmp_gt_i64_e32 vcc, s[0:1], v[10:11]
	s_and_saveexec_b64 s[2:3], vcc
	s_cbranch_execz .LBB148_44
; %bb.30:
	s_mov_b32 s22, s71
	s_mov_b64 s[4:5], 0
	s_movk_i32 s23, 0x89
	s_mov_b64 s[6:7], 0x400
	s_branch .LBB148_33
.LBB148_31:                             ;   in Loop: Header=BB148_33 Depth=1
	s_or_b64 exec, exec, s[10:11]
.LBB148_32:                             ;   in Loop: Header=BB148_33 Depth=1
	s_or_b64 exec, exec, s[8:9]
	s_waitcnt vmcnt(0)
	v_mul_f64 v[14:15], v[4:5], -v[6:7]
	v_mul_f64 v[4:5], v[8:9], v[4:5]
	v_fmac_f64_e32 v[14:15], v[8:9], v[2:3]
	v_fmac_f64_e32 v[4:5], v[6:7], v[2:3]
	v_lshl_add_u32 v2, v12, 4, 0
	ds_add_f64 v2, v[14:15] offset:16384
	ds_add_f64 v2, v[4:5] offset:16392
	v_lshl_add_u64 v[10:11], v[10:11], 0, s[6:7]
	v_cmp_le_i64_e32 vcc, s[0:1], v[10:11]
	s_or_b64 s[4:5], vcc, s[4:5]
	s_andn2_b64 exec, exec, s[4:5]
	s_cbranch_execz .LBB148_44
.LBB148_33:                             ; =>This Loop Header: Depth=1
                                        ;     Child Loop BB148_36 Depth 2
	v_lshl_add_u64 v[2:3], v[10:11], 3, s[62:63]
	global_load_dwordx2 v[12:13], v[2:3], off
	v_lshl_add_u64 v[2:3], v[10:11], 4, s[64:65]
	global_load_dwordx4 v[2:5], v[2:3], off
	s_waitcnt vmcnt(1)
	v_subrev_co_u32_e32 v14, vcc, s22, v12
	v_mul_lo_u32 v12, v14, s23
	v_and_b32_e32 v12, 0x7ff, v12
	v_lshl_add_u32 v20, v12, 3, 0
	ds_read_b64 v[18:19], v20
	v_subbrev_co_u32_e32 v15, vcc, 0, v13, vcc
	s_waitcnt lgkmcnt(0)
	v_cmp_ne_u64_e32 vcc, v[18:19], v[14:15]
	s_and_saveexec_b64 s[8:9], vcc
	s_cbranch_execz .LBB148_32
; %bb.34:                               ;   in Loop: Header=BB148_33 Depth=1
	s_mov_b64 s[10:11], 0
                                        ; implicit-def: $sgpr12_sgpr13
                                        ; implicit-def: $sgpr14_sgpr15
	s_branch .LBB148_36
.LBB148_35:                             ;   in Loop: Header=BB148_36 Depth=2
	s_or_b64 exec, exec, s[20:21]
	s_and_b64 s[16:17], exec, s[18:19]
	s_or_b64 s[10:11], s[16:17], s[10:11]
	s_andn2_b64 s[12:13], s[12:13], exec
	s_and_b64 s[16:17], s[14:15], exec
	s_or_b64 s[12:13], s[12:13], s[16:17]
	s_andn2_b64 exec, exec, s[10:11]
	s_cbranch_execz .LBB148_42
.LBB148_36:                             ;   Parent Loop BB148_33 Depth=1
                                        ; =>  This Inner Loop Header: Depth=2
	v_mov_b64_e32 v[16:17], v[12:13]
	v_cmp_ne_u64_e32 vcc, s[74:75], v[18:19]
	s_mov_b64 s[16:17], 0
                                        ; implicit-def: $vgpr12_vgpr13
	s_and_saveexec_b64 s[18:19], vcc
	s_xor_b64 s[18:19], exec, s[18:19]
; %bb.37:                               ;   in Loop: Header=BB148_36 Depth=2
	v_add_u32_e32 v12, 1, v16
	s_mov_b64 s[16:17], exec
	v_and_b32_e32 v12, 0x7ff, v12
                                        ; implicit-def: $vgpr20
; %bb.38:                               ;   in Loop: Header=BB148_36 Depth=2
	s_andn2_saveexec_b64 s[18:19], s[18:19]
	s_cbranch_execz .LBB148_40
; %bb.39:                               ;   in Loop: Header=BB148_36 Depth=2
	v_mov_b64_e32 v[12:13], s[74:75]
	ds_cmpst_rtn_b64 v[12:13], v20, v[12:13], v[14:15]
	s_andn2_b64 s[16:17], s[16:17], exec
	s_waitcnt lgkmcnt(0)
	v_cmp_ne_u64_e32 vcc, s[74:75], v[12:13]
	s_and_b64 s[20:21], vcc, exec
	s_or_b64 s[16:17], s[16:17], s[20:21]
	v_mov_b64_e32 v[12:13], v[16:17]
.LBB148_40:                             ;   in Loop: Header=BB148_36 Depth=2
	s_or_b64 exec, exec, s[18:19]
	s_mov_b64 s[18:19], -1
	s_or_b64 s[14:15], s[14:15], exec
                                        ; implicit-def: $vgpr20
                                        ; implicit-def: $vgpr18_vgpr19
	s_and_saveexec_b64 s[20:21], s[16:17]
	s_cbranch_execz .LBB148_35
; %bb.41:                               ;   in Loop: Header=BB148_36 Depth=2
	v_lshl_add_u32 v20, v12, 3, 0
	ds_read_b64 v[18:19], v20
	s_andn2_b64 s[14:15], s[14:15], exec
	s_waitcnt lgkmcnt(0)
	v_cmp_eq_u64_e32 vcc, v[18:19], v[14:15]
	s_orn2_b64 s[18:19], vcc, exec
	s_branch .LBB148_35
.LBB148_42:                             ;   in Loop: Header=BB148_33 Depth=1
	s_or_b64 exec, exec, s[10:11]
	s_and_saveexec_b64 s[10:11], s[12:13]
	s_xor_b64 s[10:11], exec, s[10:11]
	s_cbranch_execz .LBB148_31
; %bb.43:                               ;   in Loop: Header=BB148_33 Depth=1
	v_mov_b32_e32 v12, v16
	s_branch .LBB148_31
.LBB148_44:
	s_or_b64 exec, exec, s[2:3]
.LBB148_45:
	s_movk_i32 s33, 0x1ff
	v_cmp_lt_u32_e64 s[34:35], s33, v0
	s_movk_i32 s33, 0x21f
	v_cmp_lt_u32_e64 s[36:37], s33, v0
	;; [unrolled: 2-line block ×12, first 2 shown]
	s_movk_i32 s33, 0x37f
	v_mbcnt_lo_u32_b32 v2, -1, 0
	v_cmp_lt_u32_e64 s[58:59], s33, v0
	s_movk_i32 s33, 0x39f
	v_mbcnt_hi_u32_b32 v2, -1, v2
	v_cmp_lt_u32_e64 s[60:61], s33, v0
	s_movk_i32 s33, 0x3bf
	v_sub_u32_e32 v2, 63, v2
	s_movk_i32 s0, 0x3ff
	s_movk_i32 s6, 0x5f
	;; [unrolled: 1-line block ×14, first 2 shown]
	v_cmp_lt_u32_e64 s[62:63], s33, v0
	s_movk_i32 s33, 0x3df
	v_mov_b32_e32 v3, 0
	v_lshrrev_b64 v[4:5], v2, -1
	s_waitcnt vmcnt(0)
	v_lshl_add_u32 v12, v36, 3, 0
	v_cmp_eq_u32_e64 s[0:1], s0, v0
	v_cmp_lt_u32_e64 s[2:3], 31, v0
	v_cmp_lt_u32_e64 s[4:5], 63, v0
	;; [unrolled: 1-line block ×16, first 2 shown]
	s_mov_b64 s[68:69], 0
	v_mov_b64_e32 v[6:7], 0
	s_waitcnt lgkmcnt(0)
	s_barrier
	s_branch .LBB148_47
.LBB148_46:                             ;   in Loop: Header=BB148_47 Depth=1
	s_or_b64 exec, exec, s[78:79]
	s_waitcnt lgkmcnt(0)
	s_barrier
	ds_read_b64 v[8:9], v3 offset:49400
	v_add_co_u32_e32 v34, vcc, 0x400, v34
	s_xor_b64 s[78:79], vcc, -1
	s_and_b64 s[78:79], exec, s[78:79]
	v_add_u32_e32 v1, 0x4000, v1
	s_waitcnt lgkmcnt(0)
	v_lshl_add_u64 v[6:7], v[8:9], 0, v[6:7]
	s_or_b64 s[68:69], s[78:79], s[68:69]
	v_add_u32_e32 v35, 0x2000, v35
	s_andn2_b64 exec, exec, s[68:69]
	s_cbranch_execz .LBB148_113
.LBB148_47:                             ; =>This Inner Loop Header: Depth=1
	ds_read2_b64 v[14:17], v1 offset1:1
	ds_read_b64 v[8:9], v35
	s_waitcnt lgkmcnt(1)
	scratch_store_dwordx4 off, v[14:17], off
	s_waitcnt lgkmcnt(0)
	v_cmp_gt_i64_e32 vcc, s[74:75], v[8:9]
	s_bcnt1_i32_b64 s33, vcc
	v_mov_b32_e32 v2, s33
	v_and_b32_e32 v11, vcc_lo, v4
	v_and_b32_e32 v10, vcc_hi, v5
	v_bcnt_u32_b32 v11, v11, 0
	v_bcnt_u32_b32 v10, v10, v11
	s_barrier
	ds_write_b64 v12, v[2:3] offset:49152
	s_waitcnt lgkmcnt(0)
	s_barrier
	s_and_saveexec_b64 s[78:79], s[2:3]
	s_cbranch_execnz .LBB148_80
; %bb.48:                               ;   in Loop: Header=BB148_47 Depth=1
	s_or_b64 exec, exec, s[78:79]
	s_and_saveexec_b64 s[78:79], s[4:5]
	s_cbranch_execnz .LBB148_81
.LBB148_49:                             ;   in Loop: Header=BB148_47 Depth=1
	s_or_b64 exec, exec, s[78:79]
	s_and_saveexec_b64 s[78:79], s[6:7]
	s_cbranch_execnz .LBB148_82
.LBB148_50:                             ;   in Loop: Header=BB148_47 Depth=1
	s_or_b64 exec, exec, s[78:79]
	s_and_saveexec_b64 s[78:79], s[8:9]
	s_cbranch_execnz .LBB148_83
.LBB148_51:                             ;   in Loop: Header=BB148_47 Depth=1
	s_or_b64 exec, exec, s[78:79]
	s_and_saveexec_b64 s[78:79], s[10:11]
	s_cbranch_execnz .LBB148_84
.LBB148_52:                             ;   in Loop: Header=BB148_47 Depth=1
	s_or_b64 exec, exec, s[78:79]
	s_and_saveexec_b64 s[78:79], s[12:13]
	s_cbranch_execnz .LBB148_85
.LBB148_53:                             ;   in Loop: Header=BB148_47 Depth=1
	s_or_b64 exec, exec, s[78:79]
	s_and_saveexec_b64 s[78:79], s[14:15]
	s_cbranch_execnz .LBB148_86
.LBB148_54:                             ;   in Loop: Header=BB148_47 Depth=1
	s_or_b64 exec, exec, s[78:79]
	s_and_saveexec_b64 s[78:79], s[16:17]
	s_cbranch_execnz .LBB148_87
.LBB148_55:                             ;   in Loop: Header=BB148_47 Depth=1
	s_or_b64 exec, exec, s[78:79]
	s_and_saveexec_b64 s[78:79], s[18:19]
	s_cbranch_execnz .LBB148_88
.LBB148_56:                             ;   in Loop: Header=BB148_47 Depth=1
	s_or_b64 exec, exec, s[78:79]
	s_and_saveexec_b64 s[78:79], s[20:21]
	s_cbranch_execnz .LBB148_89
.LBB148_57:                             ;   in Loop: Header=BB148_47 Depth=1
	s_or_b64 exec, exec, s[78:79]
	s_and_saveexec_b64 s[78:79], s[22:23]
	s_cbranch_execnz .LBB148_90
.LBB148_58:                             ;   in Loop: Header=BB148_47 Depth=1
	s_or_b64 exec, exec, s[78:79]
	s_and_saveexec_b64 s[78:79], s[24:25]
	s_cbranch_execnz .LBB148_91
.LBB148_59:                             ;   in Loop: Header=BB148_47 Depth=1
	s_or_b64 exec, exec, s[78:79]
	s_and_saveexec_b64 s[78:79], s[26:27]
	s_cbranch_execnz .LBB148_92
.LBB148_60:                             ;   in Loop: Header=BB148_47 Depth=1
	s_or_b64 exec, exec, s[78:79]
	s_and_saveexec_b64 s[78:79], s[28:29]
	s_cbranch_execnz .LBB148_93
.LBB148_61:                             ;   in Loop: Header=BB148_47 Depth=1
	s_or_b64 exec, exec, s[78:79]
	s_and_saveexec_b64 s[78:79], s[30:31]
	s_cbranch_execnz .LBB148_94
.LBB148_62:                             ;   in Loop: Header=BB148_47 Depth=1
	s_or_b64 exec, exec, s[78:79]
	s_and_saveexec_b64 s[78:79], s[34:35]
	s_cbranch_execnz .LBB148_95
.LBB148_63:                             ;   in Loop: Header=BB148_47 Depth=1
	s_or_b64 exec, exec, s[78:79]
	s_and_saveexec_b64 s[78:79], s[36:37]
	s_cbranch_execnz .LBB148_96
.LBB148_64:                             ;   in Loop: Header=BB148_47 Depth=1
	s_or_b64 exec, exec, s[78:79]
	s_and_saveexec_b64 s[78:79], s[38:39]
	s_cbranch_execnz .LBB148_97
.LBB148_65:                             ;   in Loop: Header=BB148_47 Depth=1
	s_or_b64 exec, exec, s[78:79]
	s_and_saveexec_b64 s[78:79], s[40:41]
	s_cbranch_execnz .LBB148_98
.LBB148_66:                             ;   in Loop: Header=BB148_47 Depth=1
	s_or_b64 exec, exec, s[78:79]
	s_and_saveexec_b64 s[78:79], s[42:43]
	s_cbranch_execnz .LBB148_99
.LBB148_67:                             ;   in Loop: Header=BB148_47 Depth=1
	s_or_b64 exec, exec, s[78:79]
	s_and_saveexec_b64 s[78:79], s[44:45]
	s_cbranch_execnz .LBB148_100
.LBB148_68:                             ;   in Loop: Header=BB148_47 Depth=1
	s_or_b64 exec, exec, s[78:79]
	s_and_saveexec_b64 s[78:79], s[46:47]
	s_cbranch_execnz .LBB148_101
.LBB148_69:                             ;   in Loop: Header=BB148_47 Depth=1
	s_or_b64 exec, exec, s[78:79]
	s_and_saveexec_b64 s[78:79], s[48:49]
	s_cbranch_execnz .LBB148_102
.LBB148_70:                             ;   in Loop: Header=BB148_47 Depth=1
	s_or_b64 exec, exec, s[78:79]
	s_and_saveexec_b64 s[78:79], s[50:51]
	s_cbranch_execnz .LBB148_103
.LBB148_71:                             ;   in Loop: Header=BB148_47 Depth=1
	s_or_b64 exec, exec, s[78:79]
	s_and_saveexec_b64 s[78:79], s[52:53]
	s_cbranch_execnz .LBB148_104
.LBB148_72:                             ;   in Loop: Header=BB148_47 Depth=1
	s_or_b64 exec, exec, s[78:79]
	s_and_saveexec_b64 s[78:79], s[54:55]
	s_cbranch_execnz .LBB148_105
.LBB148_73:                             ;   in Loop: Header=BB148_47 Depth=1
	s_or_b64 exec, exec, s[78:79]
	s_and_saveexec_b64 s[78:79], s[56:57]
	s_cbranch_execnz .LBB148_106
.LBB148_74:                             ;   in Loop: Header=BB148_47 Depth=1
	s_or_b64 exec, exec, s[78:79]
	s_and_saveexec_b64 s[78:79], s[58:59]
	s_cbranch_execnz .LBB148_107
.LBB148_75:                             ;   in Loop: Header=BB148_47 Depth=1
	s_or_b64 exec, exec, s[78:79]
	s_and_saveexec_b64 s[78:79], s[60:61]
	s_cbranch_execnz .LBB148_108
.LBB148_76:                             ;   in Loop: Header=BB148_47 Depth=1
	s_or_b64 exec, exec, s[78:79]
	s_and_saveexec_b64 s[78:79], s[62:63]
	s_cbranch_execnz .LBB148_109
.LBB148_77:                             ;   in Loop: Header=BB148_47 Depth=1
	s_or_b64 exec, exec, s[78:79]
	s_and_saveexec_b64 s[78:79], s[64:65]
	s_cbranch_execnz .LBB148_110
.LBB148_78:                             ;   in Loop: Header=BB148_47 Depth=1
	s_or_b64 exec, exec, s[78:79]
	v_ashrrev_i32_e32 v11, 31, v10
	s_and_saveexec_b64 s[78:79], vcc
	s_cbranch_execnz .LBB148_111
.LBB148_79:                             ;   in Loop: Header=BB148_47 Depth=1
	s_or_b64 exec, exec, s[78:79]
	s_and_saveexec_b64 s[78:79], s[0:1]
	s_cbranch_execz .LBB148_46
	s_branch .LBB148_112
.LBB148_80:                             ;   in Loop: Header=BB148_47 Depth=1
	ds_read_b32 v2, v3 offset:49152
	s_waitcnt lgkmcnt(0)
	v_add_u32_e32 v10, v2, v10
	s_or_b64 exec, exec, s[78:79]
	s_and_saveexec_b64 s[78:79], s[4:5]
	s_cbranch_execz .LBB148_49
.LBB148_81:                             ;   in Loop: Header=BB148_47 Depth=1
	ds_read_b32 v2, v3 offset:49160
	s_waitcnt lgkmcnt(0)
	v_add_u32_e32 v10, v10, v2
	s_or_b64 exec, exec, s[78:79]
	s_and_saveexec_b64 s[78:79], s[6:7]
	s_cbranch_execz .LBB148_50
.LBB148_82:                             ;   in Loop: Header=BB148_47 Depth=1
	ds_read_b32 v2, v3 offset:49168
	s_waitcnt lgkmcnt(0)
	v_add_u32_e32 v10, v10, v2
	s_or_b64 exec, exec, s[78:79]
	s_and_saveexec_b64 s[78:79], s[8:9]
	s_cbranch_execz .LBB148_51
.LBB148_83:                             ;   in Loop: Header=BB148_47 Depth=1
	ds_read_b32 v2, v3 offset:49176
	s_waitcnt lgkmcnt(0)
	v_add_u32_e32 v10, v10, v2
	s_or_b64 exec, exec, s[78:79]
	s_and_saveexec_b64 s[78:79], s[10:11]
	s_cbranch_execz .LBB148_52
.LBB148_84:                             ;   in Loop: Header=BB148_47 Depth=1
	ds_read_b32 v2, v3 offset:49184
	s_waitcnt lgkmcnt(0)
	v_add_u32_e32 v10, v10, v2
	s_or_b64 exec, exec, s[78:79]
	s_and_saveexec_b64 s[78:79], s[12:13]
	s_cbranch_execz .LBB148_53
.LBB148_85:                             ;   in Loop: Header=BB148_47 Depth=1
	ds_read_b32 v2, v3 offset:49192
	s_waitcnt lgkmcnt(0)
	v_add_u32_e32 v10, v10, v2
	s_or_b64 exec, exec, s[78:79]
	s_and_saveexec_b64 s[78:79], s[14:15]
	s_cbranch_execz .LBB148_54
.LBB148_86:                             ;   in Loop: Header=BB148_47 Depth=1
	ds_read_b32 v2, v3 offset:49200
	s_waitcnt lgkmcnt(0)
	v_add_u32_e32 v10, v10, v2
	s_or_b64 exec, exec, s[78:79]
	s_and_saveexec_b64 s[78:79], s[16:17]
	s_cbranch_execz .LBB148_55
.LBB148_87:                             ;   in Loop: Header=BB148_47 Depth=1
	ds_read_b32 v2, v3 offset:49208
	s_waitcnt lgkmcnt(0)
	v_add_u32_e32 v10, v10, v2
	s_or_b64 exec, exec, s[78:79]
	s_and_saveexec_b64 s[78:79], s[18:19]
	s_cbranch_execz .LBB148_56
.LBB148_88:                             ;   in Loop: Header=BB148_47 Depth=1
	ds_read_b32 v2, v3 offset:49216
	s_waitcnt lgkmcnt(0)
	v_add_u32_e32 v10, v10, v2
	s_or_b64 exec, exec, s[78:79]
	s_and_saveexec_b64 s[78:79], s[20:21]
	s_cbranch_execz .LBB148_57
.LBB148_89:                             ;   in Loop: Header=BB148_47 Depth=1
	ds_read_b32 v2, v3 offset:49224
	s_waitcnt lgkmcnt(0)
	v_add_u32_e32 v10, v10, v2
	s_or_b64 exec, exec, s[78:79]
	s_and_saveexec_b64 s[78:79], s[22:23]
	s_cbranch_execz .LBB148_58
.LBB148_90:                             ;   in Loop: Header=BB148_47 Depth=1
	ds_read_b32 v2, v3 offset:49232
	s_waitcnt lgkmcnt(0)
	v_add_u32_e32 v10, v10, v2
	s_or_b64 exec, exec, s[78:79]
	s_and_saveexec_b64 s[78:79], s[24:25]
	s_cbranch_execz .LBB148_59
.LBB148_91:                             ;   in Loop: Header=BB148_47 Depth=1
	ds_read_b32 v2, v3 offset:49240
	s_waitcnt lgkmcnt(0)
	v_add_u32_e32 v10, v10, v2
	s_or_b64 exec, exec, s[78:79]
	s_and_saveexec_b64 s[78:79], s[26:27]
	s_cbranch_execz .LBB148_60
.LBB148_92:                             ;   in Loop: Header=BB148_47 Depth=1
	ds_read_b32 v2, v3 offset:49248
	s_waitcnt lgkmcnt(0)
	v_add_u32_e32 v10, v10, v2
	s_or_b64 exec, exec, s[78:79]
	s_and_saveexec_b64 s[78:79], s[28:29]
	s_cbranch_execz .LBB148_61
.LBB148_93:                             ;   in Loop: Header=BB148_47 Depth=1
	ds_read_b32 v2, v3 offset:49256
	s_waitcnt lgkmcnt(0)
	v_add_u32_e32 v10, v10, v2
	s_or_b64 exec, exec, s[78:79]
	s_and_saveexec_b64 s[78:79], s[30:31]
	s_cbranch_execz .LBB148_62
.LBB148_94:                             ;   in Loop: Header=BB148_47 Depth=1
	ds_read_b32 v2, v3 offset:49264
	s_waitcnt lgkmcnt(0)
	v_add_u32_e32 v10, v10, v2
	s_or_b64 exec, exec, s[78:79]
	s_and_saveexec_b64 s[78:79], s[34:35]
	s_cbranch_execz .LBB148_63
.LBB148_95:                             ;   in Loop: Header=BB148_47 Depth=1
	ds_read_b32 v2, v3 offset:49272
	s_waitcnt lgkmcnt(0)
	v_add_u32_e32 v10, v10, v2
	s_or_b64 exec, exec, s[78:79]
	s_and_saveexec_b64 s[78:79], s[36:37]
	s_cbranch_execz .LBB148_64
.LBB148_96:                             ;   in Loop: Header=BB148_47 Depth=1
	ds_read_b32 v2, v3 offset:49280
	s_waitcnt lgkmcnt(0)
	v_add_u32_e32 v10, v10, v2
	s_or_b64 exec, exec, s[78:79]
	s_and_saveexec_b64 s[78:79], s[38:39]
	s_cbranch_execz .LBB148_65
.LBB148_97:                             ;   in Loop: Header=BB148_47 Depth=1
	ds_read_b32 v2, v3 offset:49288
	s_waitcnt lgkmcnt(0)
	v_add_u32_e32 v10, v10, v2
	s_or_b64 exec, exec, s[78:79]
	s_and_saveexec_b64 s[78:79], s[40:41]
	s_cbranch_execz .LBB148_66
.LBB148_98:                             ;   in Loop: Header=BB148_47 Depth=1
	ds_read_b32 v2, v3 offset:49296
	s_waitcnt lgkmcnt(0)
	v_add_u32_e32 v10, v10, v2
	s_or_b64 exec, exec, s[78:79]
	s_and_saveexec_b64 s[78:79], s[42:43]
	s_cbranch_execz .LBB148_67
.LBB148_99:                             ;   in Loop: Header=BB148_47 Depth=1
	ds_read_b32 v2, v3 offset:49304
	s_waitcnt lgkmcnt(0)
	v_add_u32_e32 v10, v10, v2
	s_or_b64 exec, exec, s[78:79]
	s_and_saveexec_b64 s[78:79], s[44:45]
	s_cbranch_execz .LBB148_68
.LBB148_100:                            ;   in Loop: Header=BB148_47 Depth=1
	ds_read_b32 v2, v3 offset:49312
	s_waitcnt lgkmcnt(0)
	v_add_u32_e32 v10, v10, v2
	s_or_b64 exec, exec, s[78:79]
	s_and_saveexec_b64 s[78:79], s[46:47]
	s_cbranch_execz .LBB148_69
.LBB148_101:                            ;   in Loop: Header=BB148_47 Depth=1
	ds_read_b32 v2, v3 offset:49320
	s_waitcnt lgkmcnt(0)
	v_add_u32_e32 v10, v10, v2
	s_or_b64 exec, exec, s[78:79]
	s_and_saveexec_b64 s[78:79], s[48:49]
	s_cbranch_execz .LBB148_70
.LBB148_102:                            ;   in Loop: Header=BB148_47 Depth=1
	ds_read_b32 v2, v3 offset:49328
	s_waitcnt lgkmcnt(0)
	v_add_u32_e32 v10, v10, v2
	s_or_b64 exec, exec, s[78:79]
	s_and_saveexec_b64 s[78:79], s[50:51]
	s_cbranch_execz .LBB148_71
.LBB148_103:                            ;   in Loop: Header=BB148_47 Depth=1
	ds_read_b32 v2, v3 offset:49336
	s_waitcnt lgkmcnt(0)
	v_add_u32_e32 v10, v10, v2
	s_or_b64 exec, exec, s[78:79]
	s_and_saveexec_b64 s[78:79], s[52:53]
	s_cbranch_execz .LBB148_72
.LBB148_104:                            ;   in Loop: Header=BB148_47 Depth=1
	ds_read_b32 v2, v3 offset:49344
	s_waitcnt lgkmcnt(0)
	v_add_u32_e32 v10, v10, v2
	s_or_b64 exec, exec, s[78:79]
	s_and_saveexec_b64 s[78:79], s[54:55]
	s_cbranch_execz .LBB148_73
.LBB148_105:                            ;   in Loop: Header=BB148_47 Depth=1
	ds_read_b32 v2, v3 offset:49352
	s_waitcnt lgkmcnt(0)
	v_add_u32_e32 v10, v10, v2
	s_or_b64 exec, exec, s[78:79]
	s_and_saveexec_b64 s[78:79], s[56:57]
	s_cbranch_execz .LBB148_74
.LBB148_106:                            ;   in Loop: Header=BB148_47 Depth=1
	ds_read_b32 v2, v3 offset:49360
	s_waitcnt lgkmcnt(0)
	v_add_u32_e32 v10, v10, v2
	s_or_b64 exec, exec, s[78:79]
	s_and_saveexec_b64 s[78:79], s[58:59]
	s_cbranch_execz .LBB148_75
.LBB148_107:                            ;   in Loop: Header=BB148_47 Depth=1
	ds_read_b32 v2, v3 offset:49368
	s_waitcnt lgkmcnt(0)
	v_add_u32_e32 v10, v10, v2
	s_or_b64 exec, exec, s[78:79]
	s_and_saveexec_b64 s[78:79], s[60:61]
	s_cbranch_execz .LBB148_76
.LBB148_108:                            ;   in Loop: Header=BB148_47 Depth=1
	ds_read_b32 v2, v3 offset:49376
	s_waitcnt lgkmcnt(0)
	v_add_u32_e32 v10, v10, v2
	s_or_b64 exec, exec, s[78:79]
	s_and_saveexec_b64 s[78:79], s[62:63]
	s_cbranch_execz .LBB148_77
.LBB148_109:                            ;   in Loop: Header=BB148_47 Depth=1
	ds_read_b32 v2, v3 offset:49384
	s_waitcnt lgkmcnt(0)
	v_add_u32_e32 v10, v10, v2
	s_or_b64 exec, exec, s[78:79]
	s_and_saveexec_b64 s[78:79], s[64:65]
	s_cbranch_execz .LBB148_78
.LBB148_110:                            ;   in Loop: Header=BB148_47 Depth=1
	ds_read_b32 v2, v3 offset:49392
	s_waitcnt lgkmcnt(0)
	v_add_u32_e32 v10, v10, v2
	s_or_b64 exec, exec, s[78:79]
	v_ashrrev_i32_e32 v11, 31, v10
	s_and_saveexec_b64 s[78:79], vcc
	s_cbranch_execz .LBB148_79
.LBB148_111:                            ;   in Loop: Header=BB148_47 Depth=1
	scratch_load_dwordx4 v[14:17], off, off
	v_add3_u32 v2, v6, -1, v10
	v_add_u32_e32 v13, v6, v10
	v_lshl_add_u32 v2, v2, 3, 0
	v_lshl_add_u32 v13, v13, 4, 0
	v_add_u32_e32 v13, 0x3ff0, v13
	ds_write_b64 v2, v[8:9]
	s_waitcnt vmcnt(0)
	ds_write2_b64 v13, v[14:15], v[16:17] offset1:1
	s_or_b64 exec, exec, s[78:79]
	s_and_saveexec_b64 s[78:79], s[0:1]
	s_cbranch_execz .LBB148_46
.LBB148_112:                            ;   in Loop: Header=BB148_47 Depth=1
	ds_write_b64 v3, v[10:11] offset:49400
	s_branch .LBB148_46
.LBB148_113:
	s_or_b64 exec, exec, s[68:69]
	s_lshl_b64 s[0:1], s[76:77], 3
	s_add_u32 s4, s66, s0
	s_addc_u32 s5, s67, s1
	s_load_dwordx4 s[0:3], s[4:5], 0x0
	v_mov_b32_e32 v1, 0
	s_waitcnt lgkmcnt(0)
	s_sub_u32 s4, s2, s0
	s_subb_u32 s5, s3, s1
	v_cmp_gt_i64_e32 vcc, s[4:5], v[0:1]
	s_and_saveexec_b64 s[6:7], vcc
	s_cbranch_execz .LBB148_123
; %bb.114:
	s_sub_u32 s8, s0, s70
	s_subb_u32 s9, s1, 0
	s_and_b32 s6, s4, 7
	s_sub_u32 s0, s0, s2
	s_mov_b32 s7, 0
	s_subb_u32 s1, s1, s3
	s_and_b32 s10, s4, -8
	s_cmp_lg_u64 s[6:7], 0
	v_cmp_lt_u64_e64 s[0:1], s[0:1], -7
	s_cselect_b64 s[2:3], -1, 0
	s_mov_b32 s11, s5
	v_cndmask_b32_e64 v2, 0, 1, s[0:1]
	v_cmp_ne_u32_e64 s[0:1], 1, v2
	v_cndmask_b32_e64 v2, 0, 1, s[2:3]
	s_mov_b64 s[12:13], 0
	v_cmp_ne_u32_e64 s[2:3], 1, v2
	s_movk_i32 s18, 0x4000
	s_mov_b64 s[14:15], 0x400
	s_branch .LBB148_116
.LBB148_115:                            ;   in Loop: Header=BB148_116 Depth=1
	s_waitcnt lgkmcnt(0)
	v_lshlrev_b32_e32 v2, 3, v0
	v_add3_u32 v2, v6, v2, s18
	ds_read2_b64 v[6:9], v2 offset1:1
	v_lshl_add_u64 v[0:1], v[0:1], 0, s[14:15]
	v_cmp_le_i64_e32 vcc, s[4:5], v[0:1]
	v_lshl_add_u64 v[2:3], v[4:5], 4, s[72:73]
	s_or_b64 s[12:13], vcc, s[12:13]
	s_waitcnt lgkmcnt(0)
	global_store_dwordx4 v[2:3], v[6:9], off
	s_andn2_b64 exec, exec, s[12:13]
	s_cbranch_execz .LBB148_123
.LBB148_116:                            ; =>This Loop Header: Depth=1
                                        ;     Child Loop BB148_118 Depth 2
                                        ;     Child Loop BB148_122 Depth 2
	v_lshl_add_u32 v6, v0, 3, 0
	ds_read_b64 v[2:3], v6
	s_and_b64 vcc, exec, s[0:1]
	v_mov_b64_e32 v[4:5], s[8:9]
	s_mov_b64 s[16:17], 0
	s_cbranch_vccnz .LBB148_120
; %bb.117:                              ;   in Loop: Header=BB148_116 Depth=1
	s_mov_b32 s19, 0
	v_mov_b64_e32 v[4:5], s[8:9]
.LBB148_118:                            ;   Parent Loop BB148_116 Depth=1
                                        ; =>  This Inner Loop Header: Depth=2
	v_mov_b32_e32 v7, s19
	ds_read2_b64 v[8:11], v7 offset1:1
	ds_read2_b64 v[12:15], v7 offset0:2 offset1:3
	ds_read2_b64 v[16:19], v7 offset0:4 offset1:5
	;; [unrolled: 1-line block ×3, first 2 shown]
	v_mov_b32_e32 v25, s7
	s_waitcnt lgkmcnt(3)
	v_cmp_gt_i64_e32 vcc, v[2:3], v[8:9]
	v_mov_b32_e32 v27, s7
	v_mov_b32_e32 v29, s7
	v_cndmask_b32_e64 v24, 0, 1, vcc
	v_cmp_gt_i64_e32 vcc, v[2:3], v[10:11]
	v_lshl_add_u64 v[4:5], v[4:5], 0, v[24:25]
	v_mov_b32_e32 v31, s7
	v_cndmask_b32_e64 v26, 0, 1, vcc
	s_waitcnt lgkmcnt(2)
	v_cmp_gt_i64_e32 vcc, v[2:3], v[12:13]
	v_lshl_add_u64 v[4:5], v[4:5], 0, v[26:27]
	v_mov_b32_e32 v33, s7
	v_cndmask_b32_e64 v28, 0, 1, vcc
	v_cmp_gt_i64_e32 vcc, v[2:3], v[14:15]
	v_lshl_add_u64 v[4:5], v[4:5], 0, v[28:29]
	v_mov_b32_e32 v35, s7
	v_cndmask_b32_e64 v30, 0, 1, vcc
	s_waitcnt lgkmcnt(1)
	v_cmp_gt_i64_e32 vcc, v[2:3], v[16:17]
	v_lshl_add_u64 v[4:5], v[4:5], 0, v[30:31]
	v_mov_b32_e32 v37, s7
	v_cndmask_b32_e64 v32, 0, 1, vcc
	v_cmp_gt_i64_e32 vcc, v[2:3], v[18:19]
	v_lshl_add_u64 v[4:5], v[4:5], 0, v[32:33]
	s_add_u32 s16, s16, 8
	v_cndmask_b32_e64 v34, 0, 1, vcc
	s_waitcnt lgkmcnt(0)
	v_cmp_gt_i64_e32 vcc, v[2:3], v[20:21]
	v_lshl_add_u64 v[4:5], v[4:5], 0, v[34:35]
	v_mov_b32_e32 v39, s7
	v_cndmask_b32_e64 v36, 0, 1, vcc
	v_cmp_gt_i64_e32 vcc, v[2:3], v[22:23]
	s_addc_u32 s17, s17, 0
	s_add_i32 s19, s19, 64
	v_cndmask_b32_e64 v38, 0, 1, vcc
	v_lshl_add_u64 v[4:5], v[4:5], 0, v[36:37]
	s_cmp_eq_u64 s[10:11], s[16:17]
	v_lshl_add_u64 v[4:5], v[4:5], 0, v[38:39]
	s_cbranch_scc0 .LBB148_118
; %bb.119:                              ;   in Loop: Header=BB148_116 Depth=1
	s_mov_b64 s[16:17], s[10:11]
.LBB148_120:                            ;   in Loop: Header=BB148_116 Depth=1
	s_and_b64 vcc, exec, s[2:3]
	s_cbranch_vccnz .LBB148_115
; %bb.121:                              ;   in Loop: Header=BB148_116 Depth=1
	s_lshl_b32 s16, s16, 3
	s_add_i32 s19, s16, 0
	s_mov_b64 s[16:17], s[6:7]
.LBB148_122:                            ;   Parent Loop BB148_116 Depth=1
                                        ; =>  This Inner Loop Header: Depth=2
	v_mov_b32_e32 v7, s19
	ds_read_b64 v[10:11], v7
	s_add_i32 s19, s19, 8
	s_add_u32 s16, s16, -1
	v_mov_b32_e32 v9, s7
	s_addc_u32 s17, s17, -1
	s_waitcnt lgkmcnt(0)
	v_cmp_gt_i64_e32 vcc, v[2:3], v[10:11]
	s_cmp_lg_u64 s[16:17], 0
	s_nop 0
	v_cndmask_b32_e64 v8, 0, 1, vcc
	v_lshl_add_u64 v[4:5], v[4:5], 0, v[8:9]
	s_cbranch_scc1 .LBB148_122
	s_branch .LBB148_115
.LBB148_123:
	s_endpgm
	.section	.rodata,"a",@progbits
	.p2align	6, 0x0
	.amdhsa_kernel _ZN9rocsparseL41csrgemm_numeric_fill_block_per_row_kernelILj1024ELj32ELj2048ELj137ELj32Ell21rocsparse_complex_numIdEEEvT5_PKS3_S5_NS_24const_host_device_scalarIT6_EEPKT4_S5_PKS7_SB_S5_SD_S8_SB_S5_SD_SB_S5_PS7_21rocsparse_index_base_SF_SF_SF_bbb
		.amdhsa_group_segment_fixed_size 0
		.amdhsa_private_segment_fixed_size 40
		.amdhsa_kernarg_size 172
		.amdhsa_user_sgpr_count 2
		.amdhsa_user_sgpr_dispatch_ptr 0
		.amdhsa_user_sgpr_queue_ptr 0
		.amdhsa_user_sgpr_kernarg_segment_ptr 1
		.amdhsa_user_sgpr_dispatch_id 0
		.amdhsa_user_sgpr_kernarg_preload_length 0
		.amdhsa_user_sgpr_kernarg_preload_offset 0
		.amdhsa_user_sgpr_private_segment_size 0
		.amdhsa_uses_dynamic_stack 0
		.amdhsa_enable_private_segment 1
		.amdhsa_system_sgpr_workgroup_id_x 1
		.amdhsa_system_sgpr_workgroup_id_y 0
		.amdhsa_system_sgpr_workgroup_id_z 0
		.amdhsa_system_sgpr_workgroup_info 0
		.amdhsa_system_vgpr_workitem_id 0
		.amdhsa_next_free_vgpr 40
		.amdhsa_next_free_sgpr 80
		.amdhsa_accum_offset 40
		.amdhsa_reserve_vcc 1
		.amdhsa_float_round_mode_32 0
		.amdhsa_float_round_mode_16_64 0
		.amdhsa_float_denorm_mode_32 3
		.amdhsa_float_denorm_mode_16_64 3
		.amdhsa_dx10_clamp 1
		.amdhsa_ieee_mode 1
		.amdhsa_fp16_overflow 0
		.amdhsa_tg_split 0
		.amdhsa_exception_fp_ieee_invalid_op 0
		.amdhsa_exception_fp_denorm_src 0
		.amdhsa_exception_fp_ieee_div_zero 0
		.amdhsa_exception_fp_ieee_overflow 0
		.amdhsa_exception_fp_ieee_underflow 0
		.amdhsa_exception_fp_ieee_inexact 0
		.amdhsa_exception_int_div_zero 0
	.end_amdhsa_kernel
	.section	.text._ZN9rocsparseL41csrgemm_numeric_fill_block_per_row_kernelILj1024ELj32ELj2048ELj137ELj32Ell21rocsparse_complex_numIdEEEvT5_PKS3_S5_NS_24const_host_device_scalarIT6_EEPKT4_S5_PKS7_SB_S5_SD_S8_SB_S5_SD_SB_S5_PS7_21rocsparse_index_base_SF_SF_SF_bbb,"axG",@progbits,_ZN9rocsparseL41csrgemm_numeric_fill_block_per_row_kernelILj1024ELj32ELj2048ELj137ELj32Ell21rocsparse_complex_numIdEEEvT5_PKS3_S5_NS_24const_host_device_scalarIT6_EEPKT4_S5_PKS7_SB_S5_SD_S8_SB_S5_SD_SB_S5_PS7_21rocsparse_index_base_SF_SF_SF_bbb,comdat
.Lfunc_end148:
	.size	_ZN9rocsparseL41csrgemm_numeric_fill_block_per_row_kernelILj1024ELj32ELj2048ELj137ELj32Ell21rocsparse_complex_numIdEEEvT5_PKS3_S5_NS_24const_host_device_scalarIT6_EEPKT4_S5_PKS7_SB_S5_SD_S8_SB_S5_SD_SB_S5_PS7_21rocsparse_index_base_SF_SF_SF_bbb, .Lfunc_end148-_ZN9rocsparseL41csrgemm_numeric_fill_block_per_row_kernelILj1024ELj32ELj2048ELj137ELj32Ell21rocsparse_complex_numIdEEEvT5_PKS3_S5_NS_24const_host_device_scalarIT6_EEPKT4_S5_PKS7_SB_S5_SD_S8_SB_S5_SD_SB_S5_PS7_21rocsparse_index_base_SF_SF_SF_bbb
                                        ; -- End function
	.set _ZN9rocsparseL41csrgemm_numeric_fill_block_per_row_kernelILj1024ELj32ELj2048ELj137ELj32Ell21rocsparse_complex_numIdEEEvT5_PKS3_S5_NS_24const_host_device_scalarIT6_EEPKT4_S5_PKS7_SB_S5_SD_S8_SB_S5_SD_SB_S5_PS7_21rocsparse_index_base_SF_SF_SF_bbb.num_vgpr, 40
	.set _ZN9rocsparseL41csrgemm_numeric_fill_block_per_row_kernelILj1024ELj32ELj2048ELj137ELj32Ell21rocsparse_complex_numIdEEEvT5_PKS3_S5_NS_24const_host_device_scalarIT6_EEPKT4_S5_PKS7_SB_S5_SD_S8_SB_S5_SD_SB_S5_PS7_21rocsparse_index_base_SF_SF_SF_bbb.num_agpr, 0
	.set _ZN9rocsparseL41csrgemm_numeric_fill_block_per_row_kernelILj1024ELj32ELj2048ELj137ELj32Ell21rocsparse_complex_numIdEEEvT5_PKS3_S5_NS_24const_host_device_scalarIT6_EEPKT4_S5_PKS7_SB_S5_SD_S8_SB_S5_SD_SB_S5_PS7_21rocsparse_index_base_SF_SF_SF_bbb.numbered_sgpr, 80
	.set _ZN9rocsparseL41csrgemm_numeric_fill_block_per_row_kernelILj1024ELj32ELj2048ELj137ELj32Ell21rocsparse_complex_numIdEEEvT5_PKS3_S5_NS_24const_host_device_scalarIT6_EEPKT4_S5_PKS7_SB_S5_SD_S8_SB_S5_SD_SB_S5_PS7_21rocsparse_index_base_SF_SF_SF_bbb.num_named_barrier, 0
	.set _ZN9rocsparseL41csrgemm_numeric_fill_block_per_row_kernelILj1024ELj32ELj2048ELj137ELj32Ell21rocsparse_complex_numIdEEEvT5_PKS3_S5_NS_24const_host_device_scalarIT6_EEPKT4_S5_PKS7_SB_S5_SD_S8_SB_S5_SD_SB_S5_PS7_21rocsparse_index_base_SF_SF_SF_bbb.private_seg_size, 40
	.set _ZN9rocsparseL41csrgemm_numeric_fill_block_per_row_kernelILj1024ELj32ELj2048ELj137ELj32Ell21rocsparse_complex_numIdEEEvT5_PKS3_S5_NS_24const_host_device_scalarIT6_EEPKT4_S5_PKS7_SB_S5_SD_S8_SB_S5_SD_SB_S5_PS7_21rocsparse_index_base_SF_SF_SF_bbb.uses_vcc, 1
	.set _ZN9rocsparseL41csrgemm_numeric_fill_block_per_row_kernelILj1024ELj32ELj2048ELj137ELj32Ell21rocsparse_complex_numIdEEEvT5_PKS3_S5_NS_24const_host_device_scalarIT6_EEPKT4_S5_PKS7_SB_S5_SD_S8_SB_S5_SD_SB_S5_PS7_21rocsparse_index_base_SF_SF_SF_bbb.uses_flat_scratch, 0
	.set _ZN9rocsparseL41csrgemm_numeric_fill_block_per_row_kernelILj1024ELj32ELj2048ELj137ELj32Ell21rocsparse_complex_numIdEEEvT5_PKS3_S5_NS_24const_host_device_scalarIT6_EEPKT4_S5_PKS7_SB_S5_SD_S8_SB_S5_SD_SB_S5_PS7_21rocsparse_index_base_SF_SF_SF_bbb.has_dyn_sized_stack, 0
	.set _ZN9rocsparseL41csrgemm_numeric_fill_block_per_row_kernelILj1024ELj32ELj2048ELj137ELj32Ell21rocsparse_complex_numIdEEEvT5_PKS3_S5_NS_24const_host_device_scalarIT6_EEPKT4_S5_PKS7_SB_S5_SD_S8_SB_S5_SD_SB_S5_PS7_21rocsparse_index_base_SF_SF_SF_bbb.has_recursion, 0
	.set _ZN9rocsparseL41csrgemm_numeric_fill_block_per_row_kernelILj1024ELj32ELj2048ELj137ELj32Ell21rocsparse_complex_numIdEEEvT5_PKS3_S5_NS_24const_host_device_scalarIT6_EEPKT4_S5_PKS7_SB_S5_SD_S8_SB_S5_SD_SB_S5_PS7_21rocsparse_index_base_SF_SF_SF_bbb.has_indirect_call, 0
	.section	.AMDGPU.csdata,"",@progbits
; Kernel info:
; codeLenInByte = 4236
; TotalNumSgprs: 86
; NumVgprs: 40
; NumAgprs: 0
; TotalNumVgprs: 40
; ScratchSize: 40
; MemoryBound: 0
; FloatMode: 240
; IeeeMode: 1
; LDSByteSize: 0 bytes/workgroup (compile time only)
; SGPRBlocks: 10
; VGPRBlocks: 4
; NumSGPRsForWavesPerEU: 86
; NumVGPRsForWavesPerEU: 40
; AccumOffset: 40
; Occupancy: 8
; WaveLimiterHint : 1
; COMPUTE_PGM_RSRC2:SCRATCH_EN: 1
; COMPUTE_PGM_RSRC2:USER_SGPR: 2
; COMPUTE_PGM_RSRC2:TRAP_HANDLER: 0
; COMPUTE_PGM_RSRC2:TGID_X_EN: 1
; COMPUTE_PGM_RSRC2:TGID_Y_EN: 0
; COMPUTE_PGM_RSRC2:TGID_Z_EN: 0
; COMPUTE_PGM_RSRC2:TIDIG_COMP_CNT: 0
; COMPUTE_PGM_RSRC3_GFX90A:ACCUM_OFFSET: 9
; COMPUTE_PGM_RSRC3_GFX90A:TG_SPLIT: 0
	.section	.text._ZN9rocsparseL41csrgemm_numeric_fill_block_per_row_kernelILj1024ELj32ELj2048ELj137ELj64Ell21rocsparse_complex_numIdEEEvT5_PKS3_S5_NS_24const_host_device_scalarIT6_EEPKT4_S5_PKS7_SB_S5_SD_S8_SB_S5_SD_SB_S5_PS7_21rocsparse_index_base_SF_SF_SF_bbb,"axG",@progbits,_ZN9rocsparseL41csrgemm_numeric_fill_block_per_row_kernelILj1024ELj32ELj2048ELj137ELj64Ell21rocsparse_complex_numIdEEEvT5_PKS3_S5_NS_24const_host_device_scalarIT6_EEPKT4_S5_PKS7_SB_S5_SD_S8_SB_S5_SD_SB_S5_PS7_21rocsparse_index_base_SF_SF_SF_bbb,comdat
	.globl	_ZN9rocsparseL41csrgemm_numeric_fill_block_per_row_kernelILj1024ELj32ELj2048ELj137ELj64Ell21rocsparse_complex_numIdEEEvT5_PKS3_S5_NS_24const_host_device_scalarIT6_EEPKT4_S5_PKS7_SB_S5_SD_S8_SB_S5_SD_SB_S5_PS7_21rocsparse_index_base_SF_SF_SF_bbb ; -- Begin function _ZN9rocsparseL41csrgemm_numeric_fill_block_per_row_kernelILj1024ELj32ELj2048ELj137ELj64Ell21rocsparse_complex_numIdEEEvT5_PKS3_S5_NS_24const_host_device_scalarIT6_EEPKT4_S5_PKS7_SB_S5_SD_S8_SB_S5_SD_SB_S5_PS7_21rocsparse_index_base_SF_SF_SF_bbb
	.p2align	8
	.type	_ZN9rocsparseL41csrgemm_numeric_fill_block_per_row_kernelILj1024ELj32ELj2048ELj137ELj64Ell21rocsparse_complex_numIdEEEvT5_PKS3_S5_NS_24const_host_device_scalarIT6_EEPKT4_S5_PKS7_SB_S5_SD_S8_SB_S5_SD_SB_S5_PS7_21rocsparse_index_base_SF_SF_SF_bbb,@function
_ZN9rocsparseL41csrgemm_numeric_fill_block_per_row_kernelILj1024ELj32ELj2048ELj137ELj64Ell21rocsparse_complex_numIdEEEvT5_PKS3_S5_NS_24const_host_device_scalarIT6_EEPKT4_S5_PKS7_SB_S5_SD_S8_SB_S5_SD_SB_S5_PS7_21rocsparse_index_base_SF_SF_SF_bbb: ; @_ZN9rocsparseL41csrgemm_numeric_fill_block_per_row_kernelILj1024ELj32ELj2048ELj137ELj64Ell21rocsparse_complex_numIdEEEvT5_PKS3_S5_NS_24const_host_device_scalarIT6_EEPKT4_S5_PKS7_SB_S5_SD_S8_SB_S5_SD_SB_S5_PS7_21rocsparse_index_base_SF_SF_SF_bbb
; %bb.0:
	s_load_dword s3, s[0:1], 0xa8
	s_load_dwordx4 s[44:47], s[0:1], 0x98
	s_load_dwordx4 s[8:11], s[0:1], 0x18
	;; [unrolled: 1-line block ×3, first 2 shown]
	v_mov_b64_e32 v[6:7], 0
	s_waitcnt lgkmcnt(0)
	s_bitcmp1_b32 s3, 0
	s_cselect_b64 s[28:29], -1, 0
	s_bitcmp1_b32 s3, 16
	s_cselect_b64 s[30:31], -1, 0
	s_xor_b64 s[4:5], s[30:31], -1
	v_mov_b64_e32 v[2:3], s[8:9]
	v_cndmask_b32_e64 v1, 0, 1, s[4:5]
	scratch_store_dwordx2 off, v[2:3], off offset:16
	v_mov_b64_e32 v[2:3], s[24:25]
	s_bitcmp0_b32 s3, 0
	v_cmp_ne_u32_e64 s[4:5], 1, v1
	v_mov_b64_e32 v[10:11], 0
	v_mov_b64_e32 v[12:13], 0
	scratch_store_dwordx2 off, v[2:3], off offset:24
	s_cbranch_scc1 .LBB149_3
; %bb.1:
	s_mov_b64 s[6:7], src_private_base
	s_and_b64 s[12:13], s[30:31], exec
	s_cselect_b32 s6, s7, s9
	s_cselect_b32 s7, 16, s8
	v_mov_b32_e32 v2, s7
	v_mov_b32_e32 v3, s6
	flat_load_dwordx2 v[10:11], v[2:3]
	s_and_b64 vcc, exec, s[4:5]
	v_mov_b64_e32 v[12:13], s[10:11]
	s_cbranch_vccnz .LBB149_3
; %bb.2:
	v_mov_b64_e32 v[2:3], s[8:9]
	flat_load_dwordx2 v[12:13], v[2:3] offset:8
.LBB149_3:
	s_load_dwordx2 s[34:35], s[0:1], 0x90
	s_load_dwordx8 s[36:43], s[0:1], 0x68
	s_load_dwordx4 s[16:19], s[0:1], 0x48
	s_load_dwordx4 s[20:23], s[0:1], 0x8
	s_load_dwordx8 s[8:15], s[0:1], 0x28
	s_bitcmp1_b32 s3, 8
	s_cselect_b64 s[6:7], -1, 0
	s_bfe_u32 s3, s3, 0x10008
	s_cmp_eq_u32 s3, 0
	v_mov_b64_e32 v[8:9], 0
	s_cbranch_scc1 .LBB149_6
; %bb.4:
	s_mov_b64 s[48:49], src_private_base
	s_and_b64 s[30:31], s[30:31], exec
	s_cselect_b32 s3, s49, s25
	s_cselect_b32 s30, 24, s24
	v_mov_b32_e32 v2, s30
	v_mov_b32_e32 v3, s3
	flat_load_dwordx2 v[8:9], v[2:3]
	s_and_b64 vcc, exec, s[4:5]
	v_mov_b64_e32 v[6:7], s[26:27]
	s_cbranch_vccnz .LBB149_6
; %bb.5:
	v_mov_b64_e32 v[2:3], s[24:25]
	flat_load_dwordx2 v[6:7], v[2:3] offset:8
.LBB149_6:
	s_load_dwordx2 s[48:49], s[0:1], 0x0
	s_mov_b32 s4, 0
	v_lshl_add_u32 v1, v0, 4, 0
	v_add_u32_e32 v1, 0x4000, v1
	v_or_b32_e32 v34, 0xfffffc00, v0
	v_lshl_add_u32 v35, v0, 3, 0
	s_mov_b32 s5, s4
	s_mov_b32 s24, s4
	s_mov_b32 s25, s4
	s_mov_b64 s[0:1], 0
	s_waitcnt lgkmcnt(0)
	v_mov_b64_e32 v[18:19], s[48:49]
	v_mov_b64_e32 v[2:3], s[4:5]
	;; [unrolled: 1-line block ×3, first 2 shown]
	v_mov_b32_e32 v14, v35
	v_mov_b32_e32 v15, v34
	;; [unrolled: 1-line block ×3, first 2 shown]
.LBB149_7:                              ; =>This Inner Loop Header: Depth=1
	v_add_co_u32_e32 v15, vcc, 0x400, v15
	s_xor_b64 s[4:5], vcc, -1
	s_and_b64 s[4:5], exec, s[4:5]
	ds_write_b64 v14, v[18:19]
	ds_write2_b64 v16, v[2:3], v[4:5] offset1:1
	v_add_u32_e32 v16, 0x4000, v16
	s_or_b64 s[0:1], s[4:5], s[0:1]
	v_add_u32_e32 v14, 0x2000, v14
	s_andn2_b64 exec, exec, s[0:1]
	s_cbranch_execnz .LBB149_7
; %bb.8:
	s_or_b64 exec, exec, s[0:1]
	s_waitcnt lgkmcnt(0)
	s_barrier
	s_load_dwordx2 s[0:1], s[20:21], 0x0
	s_mov_b32 s3, 0
	s_waitcnt lgkmcnt(0)
	s_lshl_b64 s[0:1], s[0:1], 3
	s_add_u32 s4, s22, s0
	s_addc_u32 s5, s23, s1
	s_lshl_b64 s[0:1], s[2:3], 3
	s_add_u32 s0, s4, s0
	s_addc_u32 s1, s5, s1
	s_load_dwordx2 s[50:51], s[0:1], 0x0
	s_and_b64 vcc, exec, s[28:29]
	s_cbranch_vccz .LBB149_28
; %bb.9:
	s_waitcnt lgkmcnt(0)
	s_lshl_b64 s[0:1], s[50:51], 3
	s_add_u32 s0, s8, s0
	s_addc_u32 s1, s9, s1
	s_load_dwordx4 s[20:23], s[0:1], 0x0
	v_lshrrev_b32_e32 v2, 5, v0
	v_subrev_co_u32_e32 v2, vcc, s44, v2
	s_waitcnt lgkmcnt(0)
	s_sub_u32 s0, s22, s44
	v_subb_co_u32_e64 v3, s[2:3], 0, 0, vcc
	s_subb_u32 s1, s23, 0
	v_lshl_add_u64 v[14:15], s[20:21], 0, v[2:3]
	v_cmp_gt_i64_e32 vcc, s[0:1], v[14:15]
	s_and_saveexec_b64 s[2:3], vcc
	s_cbranch_execz .LBB149_27
; %bb.10:
	v_and_b32_e32 v2, 31, v0
	v_subrev_co_u32_e32 v16, vcc, s45, v2
	s_mov_b32 s33, s45
	s_nop 0
	v_subb_co_u32_e64 v17, s[4:5], 0, 0, vcc
	s_mov_b64 s[4:5], 0
	s_movk_i32 s45, 0x89
	s_branch .LBB149_12
.LBB149_11:                             ;   in Loop: Header=BB149_12 Depth=1
	s_or_b64 exec, exec, s[8:9]
	v_lshl_add_u64 v[14:15], v[14:15], 0, 32
	v_cmp_le_i64_e32 vcc, s[0:1], v[14:15]
	s_or_b64 s[4:5], vcc, s[4:5]
	s_andn2_b64 exec, exec, s[4:5]
	s_cbranch_execz .LBB149_27
.LBB149_12:                             ; =>This Loop Header: Depth=1
                                        ;     Child Loop BB149_16 Depth 2
                                        ;       Child Loop BB149_19 Depth 3
	v_lshl_add_u64 v[2:3], v[14:15], 3, s[10:11]
	global_load_dwordx2 v[2:3], v[2:3], off
	s_waitcnt vmcnt(0)
	v_subrev_co_u32_e32 v2, vcc, s44, v2
	s_nop 1
	v_subbrev_co_u32_e32 v3, vcc, 0, v3, vcc
	v_lshl_add_u64 v[2:3], v[2:3], 3, s[14:15]
	global_load_dwordx4 v[2:5], v[2:3], off
	s_waitcnt vmcnt(0)
	v_subrev_co_u32_e32 v18, vcc, s33, v4
	s_nop 1
	v_subbrev_co_u32_e32 v19, vcc, 0, v5, vcc
	v_lshl_add_u64 v[20:21], v[2:3], 0, v[16:17]
	v_cmp_lt_i64_e32 vcc, v[20:21], v[18:19]
	s_and_saveexec_b64 s[8:9], vcc
	s_cbranch_execz .LBB149_11
; %bb.13:                               ;   in Loop: Header=BB149_12 Depth=1
	v_lshl_add_u64 v[2:3], v[14:15], 4, s[12:13]
	global_load_dwordx4 v[2:5], v[2:3], off
	s_mov_b64 s[20:21], 0
	s_waitcnt vmcnt(0)
	v_mul_f64 v[22:23], v[4:5], -v[12:13]
	v_mul_f64 v[24:25], v[10:11], v[4:5]
	v_fmac_f64_e32 v[22:23], v[10:11], v[2:3]
	v_fmac_f64_e32 v[24:25], v[12:13], v[2:3]
	s_branch .LBB149_16
.LBB149_14:                             ;   in Loop: Header=BB149_16 Depth=2
	s_or_b64 exec, exec, s[24:25]
.LBB149_15:                             ;   in Loop: Header=BB149_16 Depth=2
	s_or_b64 exec, exec, s[22:23]
	s_waitcnt vmcnt(0)
	v_mul_f64 v[28:29], v[4:5], -v[24:25]
	v_mul_f64 v[4:5], v[22:23], v[4:5]
	v_fmac_f64_e32 v[28:29], v[22:23], v[2:3]
	v_fmac_f64_e32 v[4:5], v[24:25], v[2:3]
	v_lshl_add_u32 v2, v26, 4, 0
	ds_add_f64 v2, v[28:29] offset:16384
	ds_add_f64 v2, v[4:5] offset:16392
	v_lshl_add_u64 v[20:21], v[20:21], 0, 32
	v_cmp_ge_i64_e32 vcc, v[20:21], v[18:19]
	s_or_b64 s[20:21], vcc, s[20:21]
	s_andn2_b64 exec, exec, s[20:21]
	s_cbranch_execz .LBB149_11
.LBB149_16:                             ;   Parent Loop BB149_12 Depth=1
                                        ; =>  This Loop Header: Depth=2
                                        ;       Child Loop BB149_19 Depth 3
	v_lshl_add_u64 v[2:3], v[20:21], 3, s[16:17]
	global_load_dwordx2 v[26:27], v[2:3], off
	v_lshl_add_u64 v[2:3], v[20:21], 4, s[18:19]
	global_load_dwordx4 v[2:5], v[2:3], off
	s_waitcnt vmcnt(1)
	v_subrev_co_u32_e32 v28, vcc, s33, v26
	v_mul_lo_u32 v26, v28, s45
	v_and_b32_e32 v26, 0x7ff, v26
	v_lshl_add_u32 v36, v26, 3, 0
	ds_read_b64 v[32:33], v36
	v_subbrev_co_u32_e32 v29, vcc, 0, v27, vcc
	s_waitcnt lgkmcnt(0)
	v_cmp_ne_u64_e32 vcc, v[32:33], v[28:29]
	s_and_saveexec_b64 s[22:23], vcc
	s_cbranch_execz .LBB149_15
; %bb.17:                               ;   in Loop: Header=BB149_16 Depth=2
	s_mov_b64 s[24:25], 0
                                        ; implicit-def: $sgpr26_sgpr27
                                        ; implicit-def: $sgpr28_sgpr29
	s_branch .LBB149_19
.LBB149_18:                             ;   in Loop: Header=BB149_19 Depth=3
	s_or_b64 exec, exec, s[54:55]
	s_and_b64 s[30:31], exec, s[52:53]
	s_or_b64 s[24:25], s[30:31], s[24:25]
	s_andn2_b64 s[26:27], s[26:27], exec
	s_and_b64 s[30:31], s[28:29], exec
	s_or_b64 s[26:27], s[26:27], s[30:31]
	s_andn2_b64 exec, exec, s[24:25]
	s_cbranch_execz .LBB149_25
.LBB149_19:                             ;   Parent Loop BB149_12 Depth=1
                                        ;     Parent Loop BB149_16 Depth=2
                                        ; =>    This Inner Loop Header: Depth=3
	v_mov_b64_e32 v[30:31], v[26:27]
	v_cmp_ne_u64_e32 vcc, s[48:49], v[32:33]
	s_mov_b64 s[30:31], 0
                                        ; implicit-def: $vgpr26_vgpr27
	s_and_saveexec_b64 s[52:53], vcc
	s_xor_b64 s[52:53], exec, s[52:53]
; %bb.20:                               ;   in Loop: Header=BB149_19 Depth=3
	v_add_u32_e32 v26, 1, v30
	s_mov_b64 s[30:31], exec
	v_and_b32_e32 v26, 0x7ff, v26
                                        ; implicit-def: $vgpr36
; %bb.21:                               ;   in Loop: Header=BB149_19 Depth=3
	s_andn2_saveexec_b64 s[52:53], s[52:53]
	s_cbranch_execz .LBB149_23
; %bb.22:                               ;   in Loop: Header=BB149_19 Depth=3
	v_mov_b64_e32 v[26:27], s[48:49]
	ds_cmpst_rtn_b64 v[26:27], v36, v[26:27], v[28:29]
	s_andn2_b64 s[30:31], s[30:31], exec
	s_waitcnt lgkmcnt(0)
	v_cmp_ne_u64_e32 vcc, s[48:49], v[26:27]
	s_and_b64 s[54:55], vcc, exec
	s_or_b64 s[30:31], s[30:31], s[54:55]
	v_mov_b64_e32 v[26:27], v[30:31]
.LBB149_23:                             ;   in Loop: Header=BB149_19 Depth=3
	s_or_b64 exec, exec, s[52:53]
	s_mov_b64 s[52:53], -1
	s_or_b64 s[28:29], s[28:29], exec
                                        ; implicit-def: $vgpr36
                                        ; implicit-def: $vgpr32_vgpr33
	s_and_saveexec_b64 s[54:55], s[30:31]
	s_cbranch_execz .LBB149_18
; %bb.24:                               ;   in Loop: Header=BB149_19 Depth=3
	v_lshl_add_u32 v36, v26, 3, 0
	ds_read_b64 v[32:33], v36
	s_andn2_b64 s[28:29], s[28:29], exec
	s_waitcnt lgkmcnt(0)
	v_cmp_eq_u64_e32 vcc, v[32:33], v[28:29]
	s_orn2_b64 s[52:53], vcc, exec
	s_branch .LBB149_18
.LBB149_25:                             ;   in Loop: Header=BB149_16 Depth=2
	s_or_b64 exec, exec, s[24:25]
	s_and_saveexec_b64 s[24:25], s[26:27]
	s_xor_b64 s[24:25], exec, s[24:25]
	s_cbranch_execz .LBB149_14
; %bb.26:                               ;   in Loop: Header=BB149_16 Depth=2
	v_mov_b32_e32 v26, v30
	s_branch .LBB149_14
.LBB149_27:
	s_or_b64 exec, exec, s[2:3]
.LBB149_28:
	s_andn2_b64 vcc, exec, s[6:7]
	s_cbranch_vccnz .LBB149_45
; %bb.29:
	s_waitcnt lgkmcnt(0)
	s_lshl_b64 s[0:1], s[50:51], 3
	s_add_u32 s0, s36, s0
	s_addc_u32 s1, s37, s1
	s_load_dwordx4 s[4:7], s[0:1], 0x0
	v_subrev_co_u32_e32 v2, vcc, s47, v0
	s_waitcnt lgkmcnt(0)
	s_sub_u32 s0, s6, s47
	v_subb_co_u32_e64 v3, s[2:3], 0, 0, vcc
	s_subb_u32 s1, s7, 0
	s_waitcnt vmcnt(0)
	v_lshl_add_u64 v[10:11], s[4:5], 0, v[2:3]
	v_cmp_gt_i64_e32 vcc, s[0:1], v[10:11]
	s_and_saveexec_b64 s[2:3], vcc
	s_cbranch_execz .LBB149_44
; %bb.30:
	s_mov_b32 s22, s47
	s_mov_b64 s[4:5], 0
	s_movk_i32 s23, 0x89
	s_mov_b64 s[6:7], 0x400
	s_branch .LBB149_33
.LBB149_31:                             ;   in Loop: Header=BB149_33 Depth=1
	s_or_b64 exec, exec, s[10:11]
.LBB149_32:                             ;   in Loop: Header=BB149_33 Depth=1
	s_or_b64 exec, exec, s[8:9]
	s_waitcnt vmcnt(0)
	v_mul_f64 v[14:15], v[4:5], -v[6:7]
	v_mul_f64 v[4:5], v[8:9], v[4:5]
	v_fmac_f64_e32 v[14:15], v[8:9], v[2:3]
	v_fmac_f64_e32 v[4:5], v[6:7], v[2:3]
	v_lshl_add_u32 v2, v12, 4, 0
	ds_add_f64 v2, v[14:15] offset:16384
	ds_add_f64 v2, v[4:5] offset:16392
	v_lshl_add_u64 v[10:11], v[10:11], 0, s[6:7]
	v_cmp_le_i64_e32 vcc, s[0:1], v[10:11]
	s_or_b64 s[4:5], vcc, s[4:5]
	s_andn2_b64 exec, exec, s[4:5]
	s_cbranch_execz .LBB149_44
.LBB149_33:                             ; =>This Loop Header: Depth=1
                                        ;     Child Loop BB149_36 Depth 2
	v_lshl_add_u64 v[2:3], v[10:11], 3, s[38:39]
	global_load_dwordx2 v[12:13], v[2:3], off
	v_lshl_add_u64 v[2:3], v[10:11], 4, s[40:41]
	global_load_dwordx4 v[2:5], v[2:3], off
	s_waitcnt vmcnt(1)
	v_subrev_co_u32_e32 v14, vcc, s22, v12
	v_mul_lo_u32 v12, v14, s23
	v_and_b32_e32 v12, 0x7ff, v12
	v_lshl_add_u32 v20, v12, 3, 0
	ds_read_b64 v[18:19], v20
	v_subbrev_co_u32_e32 v15, vcc, 0, v13, vcc
	s_waitcnt lgkmcnt(0)
	v_cmp_ne_u64_e32 vcc, v[18:19], v[14:15]
	s_and_saveexec_b64 s[8:9], vcc
	s_cbranch_execz .LBB149_32
; %bb.34:                               ;   in Loop: Header=BB149_33 Depth=1
	s_mov_b64 s[10:11], 0
                                        ; implicit-def: $sgpr12_sgpr13
                                        ; implicit-def: $sgpr14_sgpr15
	s_branch .LBB149_36
.LBB149_35:                             ;   in Loop: Header=BB149_36 Depth=2
	s_or_b64 exec, exec, s[20:21]
	s_and_b64 s[16:17], exec, s[18:19]
	s_or_b64 s[10:11], s[16:17], s[10:11]
	s_andn2_b64 s[12:13], s[12:13], exec
	s_and_b64 s[16:17], s[14:15], exec
	s_or_b64 s[12:13], s[12:13], s[16:17]
	s_andn2_b64 exec, exec, s[10:11]
	s_cbranch_execz .LBB149_42
.LBB149_36:                             ;   Parent Loop BB149_33 Depth=1
                                        ; =>  This Inner Loop Header: Depth=2
	v_mov_b64_e32 v[16:17], v[12:13]
	v_cmp_ne_u64_e32 vcc, s[48:49], v[18:19]
	s_mov_b64 s[16:17], 0
                                        ; implicit-def: $vgpr12_vgpr13
	s_and_saveexec_b64 s[18:19], vcc
	s_xor_b64 s[18:19], exec, s[18:19]
; %bb.37:                               ;   in Loop: Header=BB149_36 Depth=2
	v_add_u32_e32 v12, 1, v16
	s_mov_b64 s[16:17], exec
	v_and_b32_e32 v12, 0x7ff, v12
                                        ; implicit-def: $vgpr20
; %bb.38:                               ;   in Loop: Header=BB149_36 Depth=2
	s_andn2_saveexec_b64 s[18:19], s[18:19]
	s_cbranch_execz .LBB149_40
; %bb.39:                               ;   in Loop: Header=BB149_36 Depth=2
	v_mov_b64_e32 v[12:13], s[48:49]
	ds_cmpst_rtn_b64 v[12:13], v20, v[12:13], v[14:15]
	s_andn2_b64 s[16:17], s[16:17], exec
	s_waitcnt lgkmcnt(0)
	v_cmp_ne_u64_e32 vcc, s[48:49], v[12:13]
	s_and_b64 s[20:21], vcc, exec
	s_or_b64 s[16:17], s[16:17], s[20:21]
	v_mov_b64_e32 v[12:13], v[16:17]
.LBB149_40:                             ;   in Loop: Header=BB149_36 Depth=2
	s_or_b64 exec, exec, s[18:19]
	s_mov_b64 s[18:19], -1
	s_or_b64 s[14:15], s[14:15], exec
                                        ; implicit-def: $vgpr20
                                        ; implicit-def: $vgpr18_vgpr19
	s_and_saveexec_b64 s[20:21], s[16:17]
	s_cbranch_execz .LBB149_35
; %bb.41:                               ;   in Loop: Header=BB149_36 Depth=2
	v_lshl_add_u32 v20, v12, 3, 0
	ds_read_b64 v[18:19], v20
	s_andn2_b64 s[14:15], s[14:15], exec
	s_waitcnt lgkmcnt(0)
	v_cmp_eq_u64_e32 vcc, v[18:19], v[14:15]
	s_orn2_b64 s[18:19], vcc, exec
	s_branch .LBB149_35
.LBB149_42:                             ;   in Loop: Header=BB149_33 Depth=1
	s_or_b64 exec, exec, s[10:11]
	s_and_saveexec_b64 s[10:11], s[12:13]
	s_xor_b64 s[10:11], exec, s[10:11]
	s_cbranch_execz .LBB149_31
; %bb.43:                               ;   in Loop: Header=BB149_33 Depth=1
	v_mov_b32_e32 v12, v16
	s_branch .LBB149_31
.LBB149_44:
	s_or_b64 exec, exec, s[2:3]
.LBB149_45:
	v_mbcnt_lo_u32_b32 v2, -1, 0
	v_mbcnt_hi_u32_b32 v2, -1, v2
	v_sub_u32_e32 v2, 63, v2
	v_lshrrev_b64 v[4:5], v2, -1
	v_lshrrev_b32_e32 v2, 3, v0
	v_and_b32_e32 v2, 0x78, v2
	s_movk_i32 s0, 0x3ff
	s_movk_i32 s4, 0x7f
	;; [unrolled: 1-line block ×15, first 2 shown]
	v_mov_b32_e32 v3, 0
	s_waitcnt vmcnt(0)
	v_add_u32_e32 v12, 0, v2
	v_cmp_eq_u32_e64 s[0:1], s0, v0
	v_cmp_lt_u32_e64 s[2:3], 63, v0
	v_cmp_lt_u32_e64 s[4:5], s4, v0
	;; [unrolled: 1-line block ×15, first 2 shown]
	s_mov_b64 s[36:37], 0
	v_mov_b64_e32 v[6:7], 0
	s_waitcnt lgkmcnt(0)
	s_barrier
	s_branch .LBB149_47
.LBB149_46:                             ;   in Loop: Header=BB149_47 Depth=1
	s_or_b64 exec, exec, s[38:39]
	s_waitcnt lgkmcnt(0)
	s_barrier
	ds_read_b64 v[8:9], v3 offset:49272
	v_add_co_u32_e32 v34, vcc, 0x400, v34
	s_xor_b64 s[38:39], vcc, -1
	s_and_b64 s[38:39], exec, s[38:39]
	v_add_u32_e32 v1, 0x4000, v1
	s_waitcnt lgkmcnt(0)
	v_lshl_add_u64 v[6:7], v[8:9], 0, v[6:7]
	s_or_b64 s[36:37], s[38:39], s[36:37]
	v_add_u32_e32 v35, 0x2000, v35
	s_andn2_b64 exec, exec, s[36:37]
	s_cbranch_execz .LBB149_81
.LBB149_47:                             ; =>This Inner Loop Header: Depth=1
	ds_read2_b64 v[14:17], v1 offset1:1
	ds_read_b64 v[8:9], v35
	s_waitcnt lgkmcnt(1)
	scratch_store_dwordx4 off, v[14:17], off
	s_waitcnt lgkmcnt(0)
	v_cmp_gt_i64_e32 vcc, s[48:49], v[8:9]
	s_bcnt1_i32_b64 s33, vcc
	v_mov_b32_e32 v2, s33
	v_and_b32_e32 v11, vcc_lo, v4
	v_and_b32_e32 v10, vcc_hi, v5
	v_bcnt_u32_b32 v11, v11, 0
	v_bcnt_u32_b32 v10, v10, v11
	s_barrier
	ds_write_b64 v12, v[2:3] offset:49152
	s_waitcnt lgkmcnt(0)
	s_barrier
	s_and_saveexec_b64 s[38:39], s[2:3]
	s_cbranch_execnz .LBB149_64
; %bb.48:                               ;   in Loop: Header=BB149_47 Depth=1
	s_or_b64 exec, exec, s[38:39]
	s_and_saveexec_b64 s[38:39], s[4:5]
	s_cbranch_execnz .LBB149_65
.LBB149_49:                             ;   in Loop: Header=BB149_47 Depth=1
	s_or_b64 exec, exec, s[38:39]
	s_and_saveexec_b64 s[38:39], s[6:7]
	s_cbranch_execnz .LBB149_66
.LBB149_50:                             ;   in Loop: Header=BB149_47 Depth=1
	s_or_b64 exec, exec, s[38:39]
	s_and_saveexec_b64 s[38:39], s[8:9]
	s_cbranch_execnz .LBB149_67
.LBB149_51:                             ;   in Loop: Header=BB149_47 Depth=1
	s_or_b64 exec, exec, s[38:39]
	s_and_saveexec_b64 s[38:39], s[10:11]
	s_cbranch_execnz .LBB149_68
.LBB149_52:                             ;   in Loop: Header=BB149_47 Depth=1
	s_or_b64 exec, exec, s[38:39]
	s_and_saveexec_b64 s[38:39], s[12:13]
	s_cbranch_execnz .LBB149_69
.LBB149_53:                             ;   in Loop: Header=BB149_47 Depth=1
	s_or_b64 exec, exec, s[38:39]
	s_and_saveexec_b64 s[38:39], s[14:15]
	s_cbranch_execnz .LBB149_70
.LBB149_54:                             ;   in Loop: Header=BB149_47 Depth=1
	s_or_b64 exec, exec, s[38:39]
	s_and_saveexec_b64 s[38:39], s[16:17]
	s_cbranch_execnz .LBB149_71
.LBB149_55:                             ;   in Loop: Header=BB149_47 Depth=1
	s_or_b64 exec, exec, s[38:39]
	s_and_saveexec_b64 s[38:39], s[18:19]
	s_cbranch_execnz .LBB149_72
.LBB149_56:                             ;   in Loop: Header=BB149_47 Depth=1
	s_or_b64 exec, exec, s[38:39]
	s_and_saveexec_b64 s[38:39], s[20:21]
	s_cbranch_execnz .LBB149_73
.LBB149_57:                             ;   in Loop: Header=BB149_47 Depth=1
	s_or_b64 exec, exec, s[38:39]
	s_and_saveexec_b64 s[38:39], s[22:23]
	s_cbranch_execnz .LBB149_74
.LBB149_58:                             ;   in Loop: Header=BB149_47 Depth=1
	s_or_b64 exec, exec, s[38:39]
	s_and_saveexec_b64 s[38:39], s[24:25]
	s_cbranch_execnz .LBB149_75
.LBB149_59:                             ;   in Loop: Header=BB149_47 Depth=1
	s_or_b64 exec, exec, s[38:39]
	s_and_saveexec_b64 s[38:39], s[26:27]
	s_cbranch_execnz .LBB149_76
.LBB149_60:                             ;   in Loop: Header=BB149_47 Depth=1
	s_or_b64 exec, exec, s[38:39]
	s_and_saveexec_b64 s[38:39], s[28:29]
	s_cbranch_execnz .LBB149_77
.LBB149_61:                             ;   in Loop: Header=BB149_47 Depth=1
	s_or_b64 exec, exec, s[38:39]
	s_and_saveexec_b64 s[38:39], s[30:31]
	s_cbranch_execnz .LBB149_78
.LBB149_62:                             ;   in Loop: Header=BB149_47 Depth=1
	s_or_b64 exec, exec, s[38:39]
	v_ashrrev_i32_e32 v11, 31, v10
	s_and_saveexec_b64 s[38:39], vcc
	s_cbranch_execnz .LBB149_79
.LBB149_63:                             ;   in Loop: Header=BB149_47 Depth=1
	s_or_b64 exec, exec, s[38:39]
	s_and_saveexec_b64 s[38:39], s[0:1]
	s_cbranch_execz .LBB149_46
	s_branch .LBB149_80
.LBB149_64:                             ;   in Loop: Header=BB149_47 Depth=1
	ds_read_b32 v2, v3 offset:49152
	s_waitcnt lgkmcnt(0)
	v_add_u32_e32 v10, v2, v10
	s_or_b64 exec, exec, s[38:39]
	s_and_saveexec_b64 s[38:39], s[4:5]
	s_cbranch_execz .LBB149_49
.LBB149_65:                             ;   in Loop: Header=BB149_47 Depth=1
	ds_read_b32 v2, v3 offset:49160
	s_waitcnt lgkmcnt(0)
	v_add_u32_e32 v10, v10, v2
	s_or_b64 exec, exec, s[38:39]
	s_and_saveexec_b64 s[38:39], s[6:7]
	s_cbranch_execz .LBB149_50
.LBB149_66:                             ;   in Loop: Header=BB149_47 Depth=1
	ds_read_b32 v2, v3 offset:49168
	s_waitcnt lgkmcnt(0)
	v_add_u32_e32 v10, v10, v2
	s_or_b64 exec, exec, s[38:39]
	s_and_saveexec_b64 s[38:39], s[8:9]
	s_cbranch_execz .LBB149_51
.LBB149_67:                             ;   in Loop: Header=BB149_47 Depth=1
	ds_read_b32 v2, v3 offset:49176
	s_waitcnt lgkmcnt(0)
	v_add_u32_e32 v10, v10, v2
	s_or_b64 exec, exec, s[38:39]
	s_and_saveexec_b64 s[38:39], s[10:11]
	s_cbranch_execz .LBB149_52
.LBB149_68:                             ;   in Loop: Header=BB149_47 Depth=1
	ds_read_b32 v2, v3 offset:49184
	s_waitcnt lgkmcnt(0)
	v_add_u32_e32 v10, v10, v2
	s_or_b64 exec, exec, s[38:39]
	s_and_saveexec_b64 s[38:39], s[12:13]
	s_cbranch_execz .LBB149_53
.LBB149_69:                             ;   in Loop: Header=BB149_47 Depth=1
	ds_read_b32 v2, v3 offset:49192
	s_waitcnt lgkmcnt(0)
	v_add_u32_e32 v10, v10, v2
	s_or_b64 exec, exec, s[38:39]
	s_and_saveexec_b64 s[38:39], s[14:15]
	s_cbranch_execz .LBB149_54
.LBB149_70:                             ;   in Loop: Header=BB149_47 Depth=1
	ds_read_b32 v2, v3 offset:49200
	s_waitcnt lgkmcnt(0)
	v_add_u32_e32 v10, v10, v2
	s_or_b64 exec, exec, s[38:39]
	s_and_saveexec_b64 s[38:39], s[16:17]
	s_cbranch_execz .LBB149_55
.LBB149_71:                             ;   in Loop: Header=BB149_47 Depth=1
	ds_read_b32 v2, v3 offset:49208
	s_waitcnt lgkmcnt(0)
	v_add_u32_e32 v10, v10, v2
	s_or_b64 exec, exec, s[38:39]
	s_and_saveexec_b64 s[38:39], s[18:19]
	s_cbranch_execz .LBB149_56
.LBB149_72:                             ;   in Loop: Header=BB149_47 Depth=1
	ds_read_b32 v2, v3 offset:49216
	s_waitcnt lgkmcnt(0)
	v_add_u32_e32 v10, v10, v2
	s_or_b64 exec, exec, s[38:39]
	s_and_saveexec_b64 s[38:39], s[20:21]
	s_cbranch_execz .LBB149_57
.LBB149_73:                             ;   in Loop: Header=BB149_47 Depth=1
	ds_read_b32 v2, v3 offset:49224
	s_waitcnt lgkmcnt(0)
	v_add_u32_e32 v10, v10, v2
	s_or_b64 exec, exec, s[38:39]
	s_and_saveexec_b64 s[38:39], s[22:23]
	s_cbranch_execz .LBB149_58
.LBB149_74:                             ;   in Loop: Header=BB149_47 Depth=1
	ds_read_b32 v2, v3 offset:49232
	s_waitcnt lgkmcnt(0)
	v_add_u32_e32 v10, v10, v2
	s_or_b64 exec, exec, s[38:39]
	s_and_saveexec_b64 s[38:39], s[24:25]
	s_cbranch_execz .LBB149_59
.LBB149_75:                             ;   in Loop: Header=BB149_47 Depth=1
	ds_read_b32 v2, v3 offset:49240
	s_waitcnt lgkmcnt(0)
	v_add_u32_e32 v10, v10, v2
	s_or_b64 exec, exec, s[38:39]
	s_and_saveexec_b64 s[38:39], s[26:27]
	s_cbranch_execz .LBB149_60
.LBB149_76:                             ;   in Loop: Header=BB149_47 Depth=1
	ds_read_b32 v2, v3 offset:49248
	s_waitcnt lgkmcnt(0)
	v_add_u32_e32 v10, v10, v2
	s_or_b64 exec, exec, s[38:39]
	s_and_saveexec_b64 s[38:39], s[28:29]
	s_cbranch_execz .LBB149_61
.LBB149_77:                             ;   in Loop: Header=BB149_47 Depth=1
	ds_read_b32 v2, v3 offset:49256
	s_waitcnt lgkmcnt(0)
	v_add_u32_e32 v10, v10, v2
	s_or_b64 exec, exec, s[38:39]
	s_and_saveexec_b64 s[38:39], s[30:31]
	s_cbranch_execz .LBB149_62
.LBB149_78:                             ;   in Loop: Header=BB149_47 Depth=1
	ds_read_b32 v2, v3 offset:49264
	s_waitcnt lgkmcnt(0)
	v_add_u32_e32 v10, v10, v2
	s_or_b64 exec, exec, s[38:39]
	v_ashrrev_i32_e32 v11, 31, v10
	s_and_saveexec_b64 s[38:39], vcc
	s_cbranch_execz .LBB149_63
.LBB149_79:                             ;   in Loop: Header=BB149_47 Depth=1
	scratch_load_dwordx4 v[14:17], off, off
	v_add3_u32 v2, v6, -1, v10
	v_add_u32_e32 v13, v6, v10
	v_lshl_add_u32 v2, v2, 3, 0
	v_lshl_add_u32 v13, v13, 4, 0
	v_add_u32_e32 v13, 0x3ff0, v13
	ds_write_b64 v2, v[8:9]
	s_waitcnt vmcnt(0)
	ds_write2_b64 v13, v[14:15], v[16:17] offset1:1
	s_or_b64 exec, exec, s[38:39]
	s_and_saveexec_b64 s[38:39], s[0:1]
	s_cbranch_execz .LBB149_46
.LBB149_80:                             ;   in Loop: Header=BB149_47 Depth=1
	ds_write_b64 v3, v[10:11] offset:49272
	s_branch .LBB149_46
.LBB149_81:
	s_or_b64 exec, exec, s[36:37]
	s_lshl_b64 s[0:1], s[50:51], 3
	s_add_u32 s4, s42, s0
	s_addc_u32 s5, s43, s1
	s_load_dwordx4 s[0:3], s[4:5], 0x0
	v_mov_b32_e32 v1, 0
	s_waitcnt lgkmcnt(0)
	s_sub_u32 s4, s2, s0
	s_subb_u32 s5, s3, s1
	v_cmp_gt_i64_e32 vcc, s[4:5], v[0:1]
	s_and_saveexec_b64 s[6:7], vcc
	s_cbranch_execz .LBB149_91
; %bb.82:
	s_sub_u32 s8, s0, s46
	s_subb_u32 s9, s1, 0
	s_and_b32 s6, s4, 7
	s_sub_u32 s0, s0, s2
	s_mov_b32 s7, 0
	s_subb_u32 s1, s1, s3
	s_and_b32 s10, s4, -8
	s_cmp_lg_u64 s[6:7], 0
	v_cmp_lt_u64_e64 s[0:1], s[0:1], -7
	s_cselect_b64 s[2:3], -1, 0
	s_mov_b32 s11, s5
	v_cndmask_b32_e64 v2, 0, 1, s[0:1]
	v_cmp_ne_u32_e64 s[0:1], 1, v2
	v_cndmask_b32_e64 v2, 0, 1, s[2:3]
	s_mov_b64 s[12:13], 0
	v_cmp_ne_u32_e64 s[2:3], 1, v2
	s_movk_i32 s18, 0x4000
	s_mov_b64 s[14:15], 0x400
	s_branch .LBB149_84
.LBB149_83:                             ;   in Loop: Header=BB149_84 Depth=1
	s_waitcnt lgkmcnt(0)
	v_lshlrev_b32_e32 v2, 3, v0
	v_add3_u32 v2, v6, v2, s18
	ds_read2_b64 v[6:9], v2 offset1:1
	v_lshl_add_u64 v[0:1], v[0:1], 0, s[14:15]
	v_cmp_le_i64_e32 vcc, s[4:5], v[0:1]
	v_lshl_add_u64 v[2:3], v[4:5], 4, s[34:35]
	s_or_b64 s[12:13], vcc, s[12:13]
	s_waitcnt lgkmcnt(0)
	global_store_dwordx4 v[2:3], v[6:9], off
	s_andn2_b64 exec, exec, s[12:13]
	s_cbranch_execz .LBB149_91
.LBB149_84:                             ; =>This Loop Header: Depth=1
                                        ;     Child Loop BB149_86 Depth 2
                                        ;     Child Loop BB149_90 Depth 2
	v_lshl_add_u32 v6, v0, 3, 0
	ds_read_b64 v[2:3], v6
	s_and_b64 vcc, exec, s[0:1]
	v_mov_b64_e32 v[4:5], s[8:9]
	s_mov_b64 s[16:17], 0
	s_cbranch_vccnz .LBB149_88
; %bb.85:                               ;   in Loop: Header=BB149_84 Depth=1
	s_mov_b32 s19, 0
	v_mov_b64_e32 v[4:5], s[8:9]
.LBB149_86:                             ;   Parent Loop BB149_84 Depth=1
                                        ; =>  This Inner Loop Header: Depth=2
	v_mov_b32_e32 v7, s19
	ds_read2_b64 v[8:11], v7 offset1:1
	ds_read2_b64 v[12:15], v7 offset0:2 offset1:3
	ds_read2_b64 v[16:19], v7 offset0:4 offset1:5
	;; [unrolled: 1-line block ×3, first 2 shown]
	v_mov_b32_e32 v25, s7
	s_waitcnt lgkmcnt(3)
	v_cmp_gt_i64_e32 vcc, v[2:3], v[8:9]
	v_mov_b32_e32 v27, s7
	v_mov_b32_e32 v29, s7
	v_cndmask_b32_e64 v24, 0, 1, vcc
	v_cmp_gt_i64_e32 vcc, v[2:3], v[10:11]
	v_lshl_add_u64 v[4:5], v[4:5], 0, v[24:25]
	v_mov_b32_e32 v31, s7
	v_cndmask_b32_e64 v26, 0, 1, vcc
	s_waitcnt lgkmcnt(2)
	v_cmp_gt_i64_e32 vcc, v[2:3], v[12:13]
	v_lshl_add_u64 v[4:5], v[4:5], 0, v[26:27]
	v_mov_b32_e32 v33, s7
	v_cndmask_b32_e64 v28, 0, 1, vcc
	v_cmp_gt_i64_e32 vcc, v[2:3], v[14:15]
	v_lshl_add_u64 v[4:5], v[4:5], 0, v[28:29]
	v_mov_b32_e32 v35, s7
	v_cndmask_b32_e64 v30, 0, 1, vcc
	s_waitcnt lgkmcnt(1)
	v_cmp_gt_i64_e32 vcc, v[2:3], v[16:17]
	v_lshl_add_u64 v[4:5], v[4:5], 0, v[30:31]
	v_mov_b32_e32 v37, s7
	v_cndmask_b32_e64 v32, 0, 1, vcc
	v_cmp_gt_i64_e32 vcc, v[2:3], v[18:19]
	v_lshl_add_u64 v[4:5], v[4:5], 0, v[32:33]
	s_add_u32 s16, s16, 8
	v_cndmask_b32_e64 v34, 0, 1, vcc
	s_waitcnt lgkmcnt(0)
	v_cmp_gt_i64_e32 vcc, v[2:3], v[20:21]
	v_lshl_add_u64 v[4:5], v[4:5], 0, v[34:35]
	v_mov_b32_e32 v39, s7
	v_cndmask_b32_e64 v36, 0, 1, vcc
	v_cmp_gt_i64_e32 vcc, v[2:3], v[22:23]
	s_addc_u32 s17, s17, 0
	s_add_i32 s19, s19, 64
	v_cndmask_b32_e64 v38, 0, 1, vcc
	v_lshl_add_u64 v[4:5], v[4:5], 0, v[36:37]
	s_cmp_eq_u64 s[10:11], s[16:17]
	v_lshl_add_u64 v[4:5], v[4:5], 0, v[38:39]
	s_cbranch_scc0 .LBB149_86
; %bb.87:                               ;   in Loop: Header=BB149_84 Depth=1
	s_mov_b64 s[16:17], s[10:11]
.LBB149_88:                             ;   in Loop: Header=BB149_84 Depth=1
	s_and_b64 vcc, exec, s[2:3]
	s_cbranch_vccnz .LBB149_83
; %bb.89:                               ;   in Loop: Header=BB149_84 Depth=1
	s_lshl_b32 s16, s16, 3
	s_add_i32 s19, s16, 0
	s_mov_b64 s[16:17], s[6:7]
.LBB149_90:                             ;   Parent Loop BB149_84 Depth=1
                                        ; =>  This Inner Loop Header: Depth=2
	v_mov_b32_e32 v7, s19
	ds_read_b64 v[10:11], v7
	s_add_i32 s19, s19, 8
	s_add_u32 s16, s16, -1
	v_mov_b32_e32 v9, s7
	s_addc_u32 s17, s17, -1
	s_waitcnt lgkmcnt(0)
	v_cmp_gt_i64_e32 vcc, v[2:3], v[10:11]
	s_cmp_lg_u64 s[16:17], 0
	s_nop 0
	v_cndmask_b32_e64 v8, 0, 1, vcc
	v_lshl_add_u64 v[4:5], v[4:5], 0, v[8:9]
	s_cbranch_scc1 .LBB149_90
	s_branch .LBB149_83
.LBB149_91:
	s_endpgm
	.section	.rodata,"a",@progbits
	.p2align	6, 0x0
	.amdhsa_kernel _ZN9rocsparseL41csrgemm_numeric_fill_block_per_row_kernelILj1024ELj32ELj2048ELj137ELj64Ell21rocsparse_complex_numIdEEEvT5_PKS3_S5_NS_24const_host_device_scalarIT6_EEPKT4_S5_PKS7_SB_S5_SD_S8_SB_S5_SD_SB_S5_PS7_21rocsparse_index_base_SF_SF_SF_bbb
		.amdhsa_group_segment_fixed_size 0
		.amdhsa_private_segment_fixed_size 40
		.amdhsa_kernarg_size 172
		.amdhsa_user_sgpr_count 2
		.amdhsa_user_sgpr_dispatch_ptr 0
		.amdhsa_user_sgpr_queue_ptr 0
		.amdhsa_user_sgpr_kernarg_segment_ptr 1
		.amdhsa_user_sgpr_dispatch_id 0
		.amdhsa_user_sgpr_kernarg_preload_length 0
		.amdhsa_user_sgpr_kernarg_preload_offset 0
		.amdhsa_user_sgpr_private_segment_size 0
		.amdhsa_uses_dynamic_stack 0
		.amdhsa_enable_private_segment 1
		.amdhsa_system_sgpr_workgroup_id_x 1
		.amdhsa_system_sgpr_workgroup_id_y 0
		.amdhsa_system_sgpr_workgroup_id_z 0
		.amdhsa_system_sgpr_workgroup_info 0
		.amdhsa_system_vgpr_workitem_id 0
		.amdhsa_next_free_vgpr 40
		.amdhsa_next_free_sgpr 56
		.amdhsa_accum_offset 40
		.amdhsa_reserve_vcc 1
		.amdhsa_float_round_mode_32 0
		.amdhsa_float_round_mode_16_64 0
		.amdhsa_float_denorm_mode_32 3
		.amdhsa_float_denorm_mode_16_64 3
		.amdhsa_dx10_clamp 1
		.amdhsa_ieee_mode 1
		.amdhsa_fp16_overflow 0
		.amdhsa_tg_split 0
		.amdhsa_exception_fp_ieee_invalid_op 0
		.amdhsa_exception_fp_denorm_src 0
		.amdhsa_exception_fp_ieee_div_zero 0
		.amdhsa_exception_fp_ieee_overflow 0
		.amdhsa_exception_fp_ieee_underflow 0
		.amdhsa_exception_fp_ieee_inexact 0
		.amdhsa_exception_int_div_zero 0
	.end_amdhsa_kernel
	.section	.text._ZN9rocsparseL41csrgemm_numeric_fill_block_per_row_kernelILj1024ELj32ELj2048ELj137ELj64Ell21rocsparse_complex_numIdEEEvT5_PKS3_S5_NS_24const_host_device_scalarIT6_EEPKT4_S5_PKS7_SB_S5_SD_S8_SB_S5_SD_SB_S5_PS7_21rocsparse_index_base_SF_SF_SF_bbb,"axG",@progbits,_ZN9rocsparseL41csrgemm_numeric_fill_block_per_row_kernelILj1024ELj32ELj2048ELj137ELj64Ell21rocsparse_complex_numIdEEEvT5_PKS3_S5_NS_24const_host_device_scalarIT6_EEPKT4_S5_PKS7_SB_S5_SD_S8_SB_S5_SD_SB_S5_PS7_21rocsparse_index_base_SF_SF_SF_bbb,comdat
.Lfunc_end149:
	.size	_ZN9rocsparseL41csrgemm_numeric_fill_block_per_row_kernelILj1024ELj32ELj2048ELj137ELj64Ell21rocsparse_complex_numIdEEEvT5_PKS3_S5_NS_24const_host_device_scalarIT6_EEPKT4_S5_PKS7_SB_S5_SD_S8_SB_S5_SD_SB_S5_PS7_21rocsparse_index_base_SF_SF_SF_bbb, .Lfunc_end149-_ZN9rocsparseL41csrgemm_numeric_fill_block_per_row_kernelILj1024ELj32ELj2048ELj137ELj64Ell21rocsparse_complex_numIdEEEvT5_PKS3_S5_NS_24const_host_device_scalarIT6_EEPKT4_S5_PKS7_SB_S5_SD_S8_SB_S5_SD_SB_S5_PS7_21rocsparse_index_base_SF_SF_SF_bbb
                                        ; -- End function
	.set _ZN9rocsparseL41csrgemm_numeric_fill_block_per_row_kernelILj1024ELj32ELj2048ELj137ELj64Ell21rocsparse_complex_numIdEEEvT5_PKS3_S5_NS_24const_host_device_scalarIT6_EEPKT4_S5_PKS7_SB_S5_SD_S8_SB_S5_SD_SB_S5_PS7_21rocsparse_index_base_SF_SF_SF_bbb.num_vgpr, 40
	.set _ZN9rocsparseL41csrgemm_numeric_fill_block_per_row_kernelILj1024ELj32ELj2048ELj137ELj64Ell21rocsparse_complex_numIdEEEvT5_PKS3_S5_NS_24const_host_device_scalarIT6_EEPKT4_S5_PKS7_SB_S5_SD_S8_SB_S5_SD_SB_S5_PS7_21rocsparse_index_base_SF_SF_SF_bbb.num_agpr, 0
	.set _ZN9rocsparseL41csrgemm_numeric_fill_block_per_row_kernelILj1024ELj32ELj2048ELj137ELj64Ell21rocsparse_complex_numIdEEEvT5_PKS3_S5_NS_24const_host_device_scalarIT6_EEPKT4_S5_PKS7_SB_S5_SD_S8_SB_S5_SD_SB_S5_PS7_21rocsparse_index_base_SF_SF_SF_bbb.numbered_sgpr, 56
	.set _ZN9rocsparseL41csrgemm_numeric_fill_block_per_row_kernelILj1024ELj32ELj2048ELj137ELj64Ell21rocsparse_complex_numIdEEEvT5_PKS3_S5_NS_24const_host_device_scalarIT6_EEPKT4_S5_PKS7_SB_S5_SD_S8_SB_S5_SD_SB_S5_PS7_21rocsparse_index_base_SF_SF_SF_bbb.num_named_barrier, 0
	.set _ZN9rocsparseL41csrgemm_numeric_fill_block_per_row_kernelILj1024ELj32ELj2048ELj137ELj64Ell21rocsparse_complex_numIdEEEvT5_PKS3_S5_NS_24const_host_device_scalarIT6_EEPKT4_S5_PKS7_SB_S5_SD_S8_SB_S5_SD_SB_S5_PS7_21rocsparse_index_base_SF_SF_SF_bbb.private_seg_size, 40
	.set _ZN9rocsparseL41csrgemm_numeric_fill_block_per_row_kernelILj1024ELj32ELj2048ELj137ELj64Ell21rocsparse_complex_numIdEEEvT5_PKS3_S5_NS_24const_host_device_scalarIT6_EEPKT4_S5_PKS7_SB_S5_SD_S8_SB_S5_SD_SB_S5_PS7_21rocsparse_index_base_SF_SF_SF_bbb.uses_vcc, 1
	.set _ZN9rocsparseL41csrgemm_numeric_fill_block_per_row_kernelILj1024ELj32ELj2048ELj137ELj64Ell21rocsparse_complex_numIdEEEvT5_PKS3_S5_NS_24const_host_device_scalarIT6_EEPKT4_S5_PKS7_SB_S5_SD_S8_SB_S5_SD_SB_S5_PS7_21rocsparse_index_base_SF_SF_SF_bbb.uses_flat_scratch, 0
	.set _ZN9rocsparseL41csrgemm_numeric_fill_block_per_row_kernelILj1024ELj32ELj2048ELj137ELj64Ell21rocsparse_complex_numIdEEEvT5_PKS3_S5_NS_24const_host_device_scalarIT6_EEPKT4_S5_PKS7_SB_S5_SD_S8_SB_S5_SD_SB_S5_PS7_21rocsparse_index_base_SF_SF_SF_bbb.has_dyn_sized_stack, 0
	.set _ZN9rocsparseL41csrgemm_numeric_fill_block_per_row_kernelILj1024ELj32ELj2048ELj137ELj64Ell21rocsparse_complex_numIdEEEvT5_PKS3_S5_NS_24const_host_device_scalarIT6_EEPKT4_S5_PKS7_SB_S5_SD_S8_SB_S5_SD_SB_S5_PS7_21rocsparse_index_base_SF_SF_SF_bbb.has_recursion, 0
	.set _ZN9rocsparseL41csrgemm_numeric_fill_block_per_row_kernelILj1024ELj32ELj2048ELj137ELj64Ell21rocsparse_complex_numIdEEEvT5_PKS3_S5_NS_24const_host_device_scalarIT6_EEPKT4_S5_PKS7_SB_S5_SD_S8_SB_S5_SD_SB_S5_PS7_21rocsparse_index_base_SF_SF_SF_bbb.has_indirect_call, 0
	.section	.AMDGPU.csdata,"",@progbits
; Kernel info:
; codeLenInByte = 3412
; TotalNumSgprs: 62
; NumVgprs: 40
; NumAgprs: 0
; TotalNumVgprs: 40
; ScratchSize: 40
; MemoryBound: 0
; FloatMode: 240
; IeeeMode: 1
; LDSByteSize: 0 bytes/workgroup (compile time only)
; SGPRBlocks: 7
; VGPRBlocks: 4
; NumSGPRsForWavesPerEU: 62
; NumVGPRsForWavesPerEU: 40
; AccumOffset: 40
; Occupancy: 8
; WaveLimiterHint : 1
; COMPUTE_PGM_RSRC2:SCRATCH_EN: 1
; COMPUTE_PGM_RSRC2:USER_SGPR: 2
; COMPUTE_PGM_RSRC2:TRAP_HANDLER: 0
; COMPUTE_PGM_RSRC2:TGID_X_EN: 1
; COMPUTE_PGM_RSRC2:TGID_Y_EN: 0
; COMPUTE_PGM_RSRC2:TGID_Z_EN: 0
; COMPUTE_PGM_RSRC2:TIDIG_COMP_CNT: 0
; COMPUTE_PGM_RSRC3_GFX90A:ACCUM_OFFSET: 9
; COMPUTE_PGM_RSRC3_GFX90A:TG_SPLIT: 0
	.section	.text._ZN9rocsparseL41csrgemm_numeric_fill_block_per_row_kernelILj1024ELj64ELj4096ELj137ELj32Ell21rocsparse_complex_numIdEEEvT5_PKS3_S5_NS_24const_host_device_scalarIT6_EEPKT4_S5_PKS7_SB_S5_SD_S8_SB_S5_SD_SB_S5_PS7_21rocsparse_index_base_SF_SF_SF_bbb,"axG",@progbits,_ZN9rocsparseL41csrgemm_numeric_fill_block_per_row_kernelILj1024ELj64ELj4096ELj137ELj32Ell21rocsparse_complex_numIdEEEvT5_PKS3_S5_NS_24const_host_device_scalarIT6_EEPKT4_S5_PKS7_SB_S5_SD_S8_SB_S5_SD_SB_S5_PS7_21rocsparse_index_base_SF_SF_SF_bbb,comdat
	.globl	_ZN9rocsparseL41csrgemm_numeric_fill_block_per_row_kernelILj1024ELj64ELj4096ELj137ELj32Ell21rocsparse_complex_numIdEEEvT5_PKS3_S5_NS_24const_host_device_scalarIT6_EEPKT4_S5_PKS7_SB_S5_SD_S8_SB_S5_SD_SB_S5_PS7_21rocsparse_index_base_SF_SF_SF_bbb ; -- Begin function _ZN9rocsparseL41csrgemm_numeric_fill_block_per_row_kernelILj1024ELj64ELj4096ELj137ELj32Ell21rocsparse_complex_numIdEEEvT5_PKS3_S5_NS_24const_host_device_scalarIT6_EEPKT4_S5_PKS7_SB_S5_SD_S8_SB_S5_SD_SB_S5_PS7_21rocsparse_index_base_SF_SF_SF_bbb
	.p2align	8
	.type	_ZN9rocsparseL41csrgemm_numeric_fill_block_per_row_kernelILj1024ELj64ELj4096ELj137ELj32Ell21rocsparse_complex_numIdEEEvT5_PKS3_S5_NS_24const_host_device_scalarIT6_EEPKT4_S5_PKS7_SB_S5_SD_S8_SB_S5_SD_SB_S5_PS7_21rocsparse_index_base_SF_SF_SF_bbb,@function
_ZN9rocsparseL41csrgemm_numeric_fill_block_per_row_kernelILj1024ELj64ELj4096ELj137ELj32Ell21rocsparse_complex_numIdEEEvT5_PKS3_S5_NS_24const_host_device_scalarIT6_EEPKT4_S5_PKS7_SB_S5_SD_S8_SB_S5_SD_SB_S5_PS7_21rocsparse_index_base_SF_SF_SF_bbb: ; @_ZN9rocsparseL41csrgemm_numeric_fill_block_per_row_kernelILj1024ELj64ELj4096ELj137ELj32Ell21rocsparse_complex_numIdEEEvT5_PKS3_S5_NS_24const_host_device_scalarIT6_EEPKT4_S5_PKS7_SB_S5_SD_S8_SB_S5_SD_SB_S5_PS7_21rocsparse_index_base_SF_SF_SF_bbb
; %bb.0:
	s_load_dword s3, s[0:1], 0xa8
	s_load_dwordx4 s[40:43], s[0:1], 0x98
	s_load_dwordx4 s[8:11], s[0:1], 0x18
	s_load_dwordx4 s[24:27], s[0:1], 0x58
	v_mov_b64_e32 v[6:7], 0
	s_waitcnt lgkmcnt(0)
	s_bitcmp1_b32 s3, 0
	s_cselect_b64 s[28:29], -1, 0
	s_bitcmp1_b32 s3, 16
	s_cselect_b64 s[30:31], -1, 0
	s_xor_b64 s[4:5], s[30:31], -1
	v_mov_b64_e32 v[2:3], s[8:9]
	v_cndmask_b32_e64 v1, 0, 1, s[4:5]
	scratch_store_dwordx2 off, v[2:3], off offset:16
	v_mov_b64_e32 v[2:3], s[24:25]
	s_bitcmp0_b32 s3, 0
	v_cmp_ne_u32_e64 s[4:5], 1, v1
	v_mov_b64_e32 v[10:11], 0
	v_mov_b64_e32 v[12:13], 0
	scratch_store_dwordx2 off, v[2:3], off offset:24
	s_cbranch_scc1 .LBB150_3
; %bb.1:
	s_mov_b64 s[6:7], src_private_base
	s_and_b64 s[12:13], s[30:31], exec
	s_cselect_b32 s6, s7, s9
	s_cselect_b32 s7, 16, s8
	v_mov_b32_e32 v2, s7
	v_mov_b32_e32 v3, s6
	flat_load_dwordx2 v[10:11], v[2:3]
	s_and_b64 vcc, exec, s[4:5]
	v_mov_b64_e32 v[12:13], s[10:11]
	s_cbranch_vccnz .LBB150_3
; %bb.2:
	v_mov_b64_e32 v[2:3], s[8:9]
	flat_load_dwordx2 v[12:13], v[2:3] offset:8
.LBB150_3:
	s_load_dwordx2 s[6:7], s[0:1], 0x90
	s_load_dwordx8 s[44:51], s[0:1], 0x68
	s_load_dwordx4 s[16:19], s[0:1], 0x48
	s_load_dwordx4 s[20:23], s[0:1], 0x8
	s_load_dwordx8 s[8:15], s[0:1], 0x28
                                        ; implicit-def: $vgpr40 : SGPR spill to VGPR lane
	s_bitcmp1_b32 s3, 8
	v_mov_b64_e32 v[8:9], 0
	s_waitcnt lgkmcnt(0)
	v_writelane_b32 v40, s6, 0
	s_nop 1
	v_writelane_b32 v40, s7, 1
	s_cselect_b64 s[6:7], -1, 0
	s_bfe_u32 s3, s3, 0x10008
	s_cmp_eq_u32 s3, 0
	s_cbranch_scc1 .LBB150_6
; %bb.4:
	s_mov_b64 s[34:35], src_private_base
	s_and_b64 s[30:31], s[30:31], exec
	s_cselect_b32 s3, s35, s25
	s_cselect_b32 s30, 24, s24
	v_mov_b32_e32 v2, s30
	v_mov_b32_e32 v3, s3
	flat_load_dwordx2 v[8:9], v[2:3]
	s_and_b64 vcc, exec, s[4:5]
	v_mov_b64_e32 v[6:7], s[26:27]
	s_cbranch_vccnz .LBB150_6
; %bb.5:
	v_mov_b64_e32 v[2:3], s[24:25]
	flat_load_dwordx2 v[6:7], v[2:3] offset:8
.LBB150_6:
	s_load_dwordx2 s[74:75], s[0:1], 0x0
	s_mov_b32 s4, 0
	v_lshl_add_u32 v1, v0, 4, 0
	v_add_u32_e32 v1, 0x8000, v1
	v_or_b32_e32 v34, 0xfffffc00, v0
	v_lshl_add_u32 v35, v0, 3, 0
	s_mov_b32 s5, s4
	s_mov_b32 s24, s4
	;; [unrolled: 1-line block ×3, first 2 shown]
	s_mov_b64 s[0:1], 0
	s_waitcnt lgkmcnt(0)
	v_mov_b64_e32 v[18:19], s[74:75]
	v_mov_b64_e32 v[2:3], s[4:5]
	;; [unrolled: 1-line block ×3, first 2 shown]
	s_movk_i32 s3, 0xbff
	v_mov_b32_e32 v14, v35
	v_mov_b32_e32 v15, v34
	;; [unrolled: 1-line block ×3, first 2 shown]
.LBB150_7:                              ; =>This Inner Loop Header: Depth=1
	v_add_u32_e32 v15, 0x400, v15
	v_cmp_lt_u32_e32 vcc, s3, v15
	ds_write_b64 v14, v[18:19]
	ds_write2_b64 v16, v[2:3], v[4:5] offset1:1
	v_add_u32_e32 v16, 0x4000, v16
	s_or_b64 s[0:1], vcc, s[0:1]
	v_add_u32_e32 v14, 0x2000, v14
	s_andn2_b64 exec, exec, s[0:1]
	s_cbranch_execnz .LBB150_7
; %bb.8:
	s_or_b64 exec, exec, s[0:1]
	s_waitcnt lgkmcnt(0)
	s_barrier
	s_load_dwordx2 s[0:1], s[20:21], 0x0
	s_mov_b32 s3, 0
	s_waitcnt lgkmcnt(0)
	s_lshl_b64 s[0:1], s[0:1], 3
	s_add_u32 s4, s22, s0
	s_addc_u32 s5, s23, s1
	s_lshl_b64 s[0:1], s[2:3], 3
	s_add_u32 s0, s4, s0
	s_addc_u32 s1, s5, s1
	s_load_dwordx2 s[52:53], s[0:1], 0x0
	s_and_b64 vcc, exec, s[28:29]
	s_cbranch_vccz .LBB150_28
; %bb.9:
	s_waitcnt lgkmcnt(0)
	s_lshl_b64 s[0:1], s[52:53], 3
	s_add_u32 s0, s8, s0
	s_addc_u32 s1, s9, s1
	s_load_dwordx4 s[20:23], s[0:1], 0x0
	v_lshrrev_b32_e32 v2, 6, v0
	v_subrev_co_u32_e32 v2, vcc, s40, v2
	s_waitcnt lgkmcnt(0)
	s_sub_u32 s0, s22, s40
	v_subb_co_u32_e64 v3, s[2:3], 0, 0, vcc
	s_subb_u32 s1, s23, 0
	v_lshl_add_u64 v[14:15], s[20:21], 0, v[2:3]
	v_cmp_gt_i64_e32 vcc, s[0:1], v[14:15]
	s_and_saveexec_b64 s[2:3], vcc
	s_cbranch_execz .LBB150_27
; %bb.10:
	v_and_b32_e32 v2, 63, v0
	v_subrev_co_u32_e32 v16, vcc, s41, v2
	s_mov_b32 s33, s41
	s_nop 0
	v_subb_co_u32_e64 v17, s[4:5], 0, 0, vcc
	s_mov_b64 s[4:5], 0
	s_movk_i32 s38, 0x89
	s_branch .LBB150_12
.LBB150_11:                             ;   in Loop: Header=BB150_12 Depth=1
	s_or_b64 exec, exec, s[8:9]
	v_lshl_add_u64 v[14:15], v[14:15], 0, 16
	v_cmp_le_i64_e32 vcc, s[0:1], v[14:15]
	s_or_b64 s[4:5], vcc, s[4:5]
	s_andn2_b64 exec, exec, s[4:5]
	s_cbranch_execz .LBB150_27
.LBB150_12:                             ; =>This Loop Header: Depth=1
                                        ;     Child Loop BB150_16 Depth 2
                                        ;       Child Loop BB150_19 Depth 3
	v_lshl_add_u64 v[2:3], v[14:15], 3, s[10:11]
	global_load_dwordx2 v[2:3], v[2:3], off
	s_waitcnt vmcnt(0)
	v_subrev_co_u32_e32 v2, vcc, s40, v2
	s_nop 1
	v_subbrev_co_u32_e32 v3, vcc, 0, v3, vcc
	v_lshl_add_u64 v[2:3], v[2:3], 3, s[14:15]
	global_load_dwordx4 v[2:5], v[2:3], off
	s_waitcnt vmcnt(0)
	v_subrev_co_u32_e32 v18, vcc, s33, v4
	s_nop 1
	v_subbrev_co_u32_e32 v19, vcc, 0, v5, vcc
	v_lshl_add_u64 v[20:21], v[2:3], 0, v[16:17]
	v_cmp_lt_i64_e32 vcc, v[20:21], v[18:19]
	s_and_saveexec_b64 s[8:9], vcc
	s_cbranch_execz .LBB150_11
; %bb.13:                               ;   in Loop: Header=BB150_12 Depth=1
	v_lshl_add_u64 v[2:3], v[14:15], 4, s[12:13]
	global_load_dwordx4 v[2:5], v[2:3], off
	s_mov_b64 s[20:21], 0
	s_waitcnt vmcnt(0)
	v_mul_f64 v[22:23], v[4:5], -v[12:13]
	v_mul_f64 v[24:25], v[10:11], v[4:5]
	v_fmac_f64_e32 v[22:23], v[10:11], v[2:3]
	v_fmac_f64_e32 v[24:25], v[12:13], v[2:3]
	s_branch .LBB150_16
.LBB150_14:                             ;   in Loop: Header=BB150_16 Depth=2
	s_or_b64 exec, exec, s[24:25]
.LBB150_15:                             ;   in Loop: Header=BB150_16 Depth=2
	s_or_b64 exec, exec, s[22:23]
	s_waitcnt vmcnt(0)
	v_mul_f64 v[28:29], v[4:5], -v[24:25]
	v_mul_f64 v[4:5], v[22:23], v[4:5]
	v_fmac_f64_e32 v[28:29], v[22:23], v[2:3]
	v_fmac_f64_e32 v[4:5], v[24:25], v[2:3]
	v_lshl_add_u32 v2, v26, 4, 0
	ds_add_f64 v2, v[28:29] offset:32768
	ds_add_f64 v2, v[4:5] offset:32776
	v_lshl_add_u64 v[20:21], v[20:21], 0, 64
	v_cmp_ge_i64_e32 vcc, v[20:21], v[18:19]
	s_or_b64 s[20:21], vcc, s[20:21]
	s_andn2_b64 exec, exec, s[20:21]
	s_cbranch_execz .LBB150_11
.LBB150_16:                             ;   Parent Loop BB150_12 Depth=1
                                        ; =>  This Loop Header: Depth=2
                                        ;       Child Loop BB150_19 Depth 3
	v_lshl_add_u64 v[2:3], v[20:21], 3, s[16:17]
	global_load_dwordx2 v[26:27], v[2:3], off
	v_lshl_add_u64 v[2:3], v[20:21], 4, s[18:19]
	global_load_dwordx4 v[2:5], v[2:3], off
	s_waitcnt vmcnt(1)
	v_subrev_co_u32_e32 v28, vcc, s33, v26
	v_mul_lo_u32 v26, v28, s38
	v_and_b32_e32 v26, 0xfff, v26
	v_lshl_add_u32 v36, v26, 3, 0
	ds_read_b64 v[32:33], v36
	v_subbrev_co_u32_e32 v29, vcc, 0, v27, vcc
	s_waitcnt lgkmcnt(0)
	v_cmp_ne_u64_e32 vcc, v[32:33], v[28:29]
	s_and_saveexec_b64 s[22:23], vcc
	s_cbranch_execz .LBB150_15
; %bb.17:                               ;   in Loop: Header=BB150_16 Depth=2
	s_mov_b64 s[24:25], 0
                                        ; implicit-def: $sgpr26_sgpr27
                                        ; implicit-def: $sgpr28_sgpr29
	s_branch .LBB150_19
.LBB150_18:                             ;   in Loop: Header=BB150_19 Depth=3
	s_or_b64 exec, exec, s[36:37]
	s_and_b64 s[30:31], exec, s[34:35]
	s_or_b64 s[24:25], s[30:31], s[24:25]
	s_andn2_b64 s[26:27], s[26:27], exec
	s_and_b64 s[30:31], s[28:29], exec
	s_or_b64 s[26:27], s[26:27], s[30:31]
	s_andn2_b64 exec, exec, s[24:25]
	s_cbranch_execz .LBB150_25
.LBB150_19:                             ;   Parent Loop BB150_12 Depth=1
                                        ;     Parent Loop BB150_16 Depth=2
                                        ; =>    This Inner Loop Header: Depth=3
	v_mov_b64_e32 v[30:31], v[26:27]
	v_cmp_ne_u64_e32 vcc, s[74:75], v[32:33]
	s_mov_b64 s[30:31], 0
                                        ; implicit-def: $vgpr26_vgpr27
	s_and_saveexec_b64 s[34:35], vcc
	s_xor_b64 s[34:35], exec, s[34:35]
; %bb.20:                               ;   in Loop: Header=BB150_19 Depth=3
	v_add_u32_e32 v26, 1, v30
	s_mov_b64 s[30:31], exec
	v_and_b32_e32 v26, 0xfff, v26
                                        ; implicit-def: $vgpr36
; %bb.21:                               ;   in Loop: Header=BB150_19 Depth=3
	s_andn2_saveexec_b64 s[34:35], s[34:35]
	s_cbranch_execz .LBB150_23
; %bb.22:                               ;   in Loop: Header=BB150_19 Depth=3
	v_mov_b64_e32 v[26:27], s[74:75]
	ds_cmpst_rtn_b64 v[26:27], v36, v[26:27], v[28:29]
	s_andn2_b64 s[30:31], s[30:31], exec
	s_waitcnt lgkmcnt(0)
	v_cmp_ne_u64_e32 vcc, s[74:75], v[26:27]
	s_and_b64 s[36:37], vcc, exec
	s_or_b64 s[30:31], s[30:31], s[36:37]
	v_mov_b64_e32 v[26:27], v[30:31]
.LBB150_23:                             ;   in Loop: Header=BB150_19 Depth=3
	s_or_b64 exec, exec, s[34:35]
	s_mov_b64 s[34:35], -1
	s_or_b64 s[28:29], s[28:29], exec
                                        ; implicit-def: $vgpr36
                                        ; implicit-def: $vgpr32_vgpr33
	s_and_saveexec_b64 s[36:37], s[30:31]
	s_cbranch_execz .LBB150_18
; %bb.24:                               ;   in Loop: Header=BB150_19 Depth=3
	v_lshl_add_u32 v36, v26, 3, 0
	ds_read_b64 v[32:33], v36
	s_andn2_b64 s[28:29], s[28:29], exec
	s_waitcnt lgkmcnt(0)
	v_cmp_eq_u64_e32 vcc, v[32:33], v[28:29]
	s_orn2_b64 s[34:35], vcc, exec
	s_branch .LBB150_18
.LBB150_25:                             ;   in Loop: Header=BB150_16 Depth=2
	s_or_b64 exec, exec, s[24:25]
	s_and_saveexec_b64 s[24:25], s[26:27]
	s_xor_b64 s[24:25], exec, s[24:25]
	s_cbranch_execz .LBB150_14
; %bb.26:                               ;   in Loop: Header=BB150_16 Depth=2
	v_mov_b32_e32 v26, v30
	s_branch .LBB150_14
.LBB150_27:
	s_or_b64 exec, exec, s[2:3]
.LBB150_28:
	s_andn2_b64 vcc, exec, s[6:7]
	s_cbranch_vccnz .LBB150_45
; %bb.29:
	s_waitcnt lgkmcnt(0)
	s_lshl_b64 s[0:1], s[52:53], 3
	s_add_u32 s0, s44, s0
	s_addc_u32 s1, s45, s1
	s_load_dwordx4 s[4:7], s[0:1], 0x0
	v_subrev_co_u32_e32 v2, vcc, s43, v0
	s_waitcnt lgkmcnt(0)
	s_sub_u32 s0, s6, s43
	v_subb_co_u32_e64 v3, s[2:3], 0, 0, vcc
	s_subb_u32 s1, s7, 0
	s_waitcnt vmcnt(0)
	v_lshl_add_u64 v[10:11], s[4:5], 0, v[2:3]
	v_cmp_gt_i64_e32 vcc, s[0:1], v[10:11]
	s_and_saveexec_b64 s[2:3], vcc
	s_cbranch_execz .LBB150_44
; %bb.30:
	s_mov_b32 s22, s43
	s_mov_b64 s[4:5], 0
	s_movk_i32 s23, 0x89
	s_mov_b64 s[6:7], 0x400
	s_branch .LBB150_33
.LBB150_31:                             ;   in Loop: Header=BB150_33 Depth=1
	s_or_b64 exec, exec, s[10:11]
.LBB150_32:                             ;   in Loop: Header=BB150_33 Depth=1
	s_or_b64 exec, exec, s[8:9]
	s_waitcnt vmcnt(0)
	v_mul_f64 v[14:15], v[4:5], -v[6:7]
	v_mul_f64 v[4:5], v[8:9], v[4:5]
	v_fmac_f64_e32 v[14:15], v[8:9], v[2:3]
	v_fmac_f64_e32 v[4:5], v[6:7], v[2:3]
	v_lshl_add_u32 v2, v12, 4, 0
	ds_add_f64 v2, v[14:15] offset:32768
	ds_add_f64 v2, v[4:5] offset:32776
	v_lshl_add_u64 v[10:11], v[10:11], 0, s[6:7]
	v_cmp_le_i64_e32 vcc, s[0:1], v[10:11]
	s_or_b64 s[4:5], vcc, s[4:5]
	s_andn2_b64 exec, exec, s[4:5]
	s_cbranch_execz .LBB150_44
.LBB150_33:                             ; =>This Loop Header: Depth=1
                                        ;     Child Loop BB150_36 Depth 2
	v_lshl_add_u64 v[2:3], v[10:11], 3, s[46:47]
	global_load_dwordx2 v[12:13], v[2:3], off
	v_lshl_add_u64 v[2:3], v[10:11], 4, s[48:49]
	global_load_dwordx4 v[2:5], v[2:3], off
	s_waitcnt vmcnt(1)
	v_subrev_co_u32_e32 v14, vcc, s22, v12
	v_mul_lo_u32 v12, v14, s23
	v_and_b32_e32 v12, 0xfff, v12
	v_lshl_add_u32 v20, v12, 3, 0
	ds_read_b64 v[18:19], v20
	v_subbrev_co_u32_e32 v15, vcc, 0, v13, vcc
	s_waitcnt lgkmcnt(0)
	v_cmp_ne_u64_e32 vcc, v[18:19], v[14:15]
	s_and_saveexec_b64 s[8:9], vcc
	s_cbranch_execz .LBB150_32
; %bb.34:                               ;   in Loop: Header=BB150_33 Depth=1
	s_mov_b64 s[10:11], 0
                                        ; implicit-def: $sgpr12_sgpr13
                                        ; implicit-def: $sgpr14_sgpr15
	s_branch .LBB150_36
.LBB150_35:                             ;   in Loop: Header=BB150_36 Depth=2
	s_or_b64 exec, exec, s[20:21]
	s_and_b64 s[16:17], exec, s[18:19]
	s_or_b64 s[10:11], s[16:17], s[10:11]
	s_andn2_b64 s[12:13], s[12:13], exec
	s_and_b64 s[16:17], s[14:15], exec
	s_or_b64 s[12:13], s[12:13], s[16:17]
	s_andn2_b64 exec, exec, s[10:11]
	s_cbranch_execz .LBB150_42
.LBB150_36:                             ;   Parent Loop BB150_33 Depth=1
                                        ; =>  This Inner Loop Header: Depth=2
	v_mov_b64_e32 v[16:17], v[12:13]
	v_cmp_ne_u64_e32 vcc, s[74:75], v[18:19]
	s_mov_b64 s[16:17], 0
                                        ; implicit-def: $vgpr12_vgpr13
	s_and_saveexec_b64 s[18:19], vcc
	s_xor_b64 s[18:19], exec, s[18:19]
; %bb.37:                               ;   in Loop: Header=BB150_36 Depth=2
	v_add_u32_e32 v12, 1, v16
	s_mov_b64 s[16:17], exec
	v_and_b32_e32 v12, 0xfff, v12
                                        ; implicit-def: $vgpr20
; %bb.38:                               ;   in Loop: Header=BB150_36 Depth=2
	s_andn2_saveexec_b64 s[18:19], s[18:19]
	s_cbranch_execz .LBB150_40
; %bb.39:                               ;   in Loop: Header=BB150_36 Depth=2
	v_mov_b64_e32 v[12:13], s[74:75]
	ds_cmpst_rtn_b64 v[12:13], v20, v[12:13], v[14:15]
	s_andn2_b64 s[16:17], s[16:17], exec
	s_waitcnt lgkmcnt(0)
	v_cmp_ne_u64_e32 vcc, s[74:75], v[12:13]
	s_and_b64 s[20:21], vcc, exec
	s_or_b64 s[16:17], s[16:17], s[20:21]
	v_mov_b64_e32 v[12:13], v[16:17]
.LBB150_40:                             ;   in Loop: Header=BB150_36 Depth=2
	s_or_b64 exec, exec, s[18:19]
	s_mov_b64 s[18:19], -1
	s_or_b64 s[14:15], s[14:15], exec
                                        ; implicit-def: $vgpr20
                                        ; implicit-def: $vgpr18_vgpr19
	s_and_saveexec_b64 s[20:21], s[16:17]
	s_cbranch_execz .LBB150_35
; %bb.41:                               ;   in Loop: Header=BB150_36 Depth=2
	v_lshl_add_u32 v20, v12, 3, 0
	ds_read_b64 v[18:19], v20
	s_andn2_b64 s[14:15], s[14:15], exec
	s_waitcnt lgkmcnt(0)
	v_cmp_eq_u64_e32 vcc, v[18:19], v[14:15]
	s_orn2_b64 s[18:19], vcc, exec
	s_branch .LBB150_35
.LBB150_42:                             ;   in Loop: Header=BB150_33 Depth=1
	s_or_b64 exec, exec, s[10:11]
	s_and_saveexec_b64 s[10:11], s[12:13]
	s_xor_b64 s[10:11], exec, s[10:11]
	s_cbranch_execz .LBB150_31
; %bb.43:                               ;   in Loop: Header=BB150_33 Depth=1
	v_mov_b32_e32 v12, v16
	s_branch .LBB150_31
.LBB150_44:
	s_or_b64 exec, exec, s[2:3]
.LBB150_45:
	s_waitcnt lgkmcnt(0)
	v_writelane_b32 v40, s52, 2
	s_movk_i32 s33, 0x25f
	v_cmp_lt_u32_e64 s[34:35], s33, v0
	v_writelane_b32 v40, s53, 3
	v_writelane_b32 v40, s44, 4
	s_movk_i32 s33, 0x27f
	v_cmp_lt_u32_e64 s[36:37], s33, v0
	v_writelane_b32 v40, s45, 5
	v_writelane_b32 v40, s46, 6
	;; [unrolled: 1-line block ×8, first 2 shown]
	s_movk_i32 s33, 0x29f
	v_cmp_lt_u32_e64 s[38:39], s33, v0
	v_writelane_b32 v40, s41, 13
	v_writelane_b32 v40, s42, 14
	s_movk_i32 s33, 0x2bf
	v_writelane_b32 v40, s43, 15
	v_cmp_lt_u32_e64 s[40:41], s33, v0
	s_movk_i32 s33, 0x2df
	v_cmp_lt_u32_e64 s[42:43], s33, v0
	s_movk_i32 s33, 0x2ff
	;; [unrolled: 2-line block ×6, first 2 shown]
	v_mbcnt_lo_u32_b32 v2, -1, 0
	v_cmp_lt_u32_e64 s[52:53], s33, v0
	s_movk_i32 s33, 0x39f
	v_mbcnt_hi_u32_b32 v2, -1, v2
	v_cmp_lt_u32_e64 s[54:55], s33, v0
	s_movk_i32 s33, 0x3bf
	v_sub_u32_e32 v2, 63, v2
	s_add_i32 s0, 0, 0x18000
	v_cmp_lt_u32_e64 s[56:57], s33, v0
	s_movk_i32 s33, 0x3df
	v_lshrrev_b64 v[4:5], v2, -1
	v_lshrrev_b32_e32 v2, 2, v0
	v_writelane_b32 v40, s0, 16
	v_cmp_lt_u32_e64 s[58:59], s33, v0
	s_add_i32 s33, 0, 0x18008
	v_and_b32_e32 v2, 0xf8, v2
	v_writelane_b32 v40, s33, 17
	s_add_i32 s33, 0, 0x18010
	s_waitcnt vmcnt(0)
	v_add_u32_e32 v12, s0, v2
	s_movk_i32 s0, 0x3ff
	v_writelane_b32 v40, s33, 18
	s_add_i32 s33, 0, 0x18018
	v_cmp_eq_u32_e32 vcc, s0, v0
	s_movk_i32 s0, 0x5f
	s_movk_i32 s2, 0x7f
	;; [unrolled: 1-line block ×16, first 2 shown]
	v_writelane_b32 v40, s33, 19
	s_add_i32 s33, 0, 0x18028
	v_mov_b32_e32 v3, 0
	v_cmp_lt_u32_e64 s[0:1], s0, v0
	v_cmp_lt_u32_e64 s[2:3], s2, v0
	;; [unrolled: 1-line block ×16, first 2 shown]
	v_mov_b64_e32 v[6:7], 0
	s_add_i32 s81, 0, 0x18020
	v_writelane_b32 v40, s33, 20
	s_add_i32 s84, 0, 0x18030
	s_add_i32 s85, 0, 0x18038
	;; [unrolled: 1-line block ×26, first 2 shown]
	v_cmp_lt_u32_e64 s[60:61], 31, v0
	v_cmp_lt_u32_e64 s[62:63], 63, v0
	s_mov_b64 s[68:69], 0
	s_barrier
	s_branch .LBB150_47
.LBB150_46:                             ;   in Loop: Header=BB150_47 Depth=1
	s_or_b64 exec, exec, s[64:65]
	v_mov_b32_e32 v2, s80
	s_waitcnt lgkmcnt(0)
	s_barrier
	ds_read_b64 v[8:9], v2
	v_add_u32_e32 v34, 0x400, v34
	s_movk_i32 s64, 0xbff
	v_cmp_lt_u32_e64 s[64:65], s64, v34
	v_add_u32_e32 v1, 0x4000, v1
	s_waitcnt lgkmcnt(0)
	v_lshl_add_u64 v[6:7], v[8:9], 0, v[6:7]
	s_or_b64 s[68:69], s[64:65], s[68:69]
	v_add_u32_e32 v35, 0x2000, v35
	s_andn2_b64 exec, exec, s[68:69]
	s_cbranch_execz .LBB150_113
.LBB150_47:                             ; =>This Inner Loop Header: Depth=1
	ds_read2_b64 v[14:17], v1 offset1:1
	ds_read_b64 v[8:9], v35
	s_waitcnt lgkmcnt(1)
	scratch_store_dwordx4 off, v[14:17], off
	s_waitcnt lgkmcnt(0)
	v_cmp_gt_i64_e64 s[64:65], s[74:75], v[8:9]
	s_bcnt1_i32_b64 s78, s[64:65]
	v_mov_b32_e32 v2, s78
	v_and_b32_e32 v11, s64, v4
	v_and_b32_e32 v10, s65, v5
	v_bcnt_u32_b32 v11, v11, 0
	v_bcnt_u32_b32 v10, v10, v11
	s_barrier
	ds_write_b64 v12, v[2:3]
	s_waitcnt lgkmcnt(0)
	s_barrier
	s_and_saveexec_b64 s[78:79], s[60:61]
	s_cbranch_execnz .LBB150_80
; %bb.48:                               ;   in Loop: Header=BB150_47 Depth=1
	s_or_b64 exec, exec, s[78:79]
	s_and_saveexec_b64 s[78:79], s[62:63]
	s_cbranch_execnz .LBB150_81
.LBB150_49:                             ;   in Loop: Header=BB150_47 Depth=1
	s_or_b64 exec, exec, s[78:79]
	s_and_saveexec_b64 s[78:79], s[0:1]
	s_cbranch_execnz .LBB150_82
.LBB150_50:                             ;   in Loop: Header=BB150_47 Depth=1
	s_or_b64 exec, exec, s[78:79]
	s_and_saveexec_b64 s[78:79], s[2:3]
	s_cbranch_execnz .LBB150_83
.LBB150_51:                             ;   in Loop: Header=BB150_47 Depth=1
	s_or_b64 exec, exec, s[78:79]
	s_and_saveexec_b64 s[78:79], s[4:5]
	s_cbranch_execnz .LBB150_84
.LBB150_52:                             ;   in Loop: Header=BB150_47 Depth=1
	s_or_b64 exec, exec, s[78:79]
	s_and_saveexec_b64 s[78:79], s[6:7]
	s_cbranch_execnz .LBB150_85
.LBB150_53:                             ;   in Loop: Header=BB150_47 Depth=1
	s_or_b64 exec, exec, s[78:79]
	s_and_saveexec_b64 s[78:79], s[8:9]
	s_cbranch_execnz .LBB150_86
.LBB150_54:                             ;   in Loop: Header=BB150_47 Depth=1
	s_or_b64 exec, exec, s[78:79]
	s_and_saveexec_b64 s[78:79], s[10:11]
	s_cbranch_execnz .LBB150_87
.LBB150_55:                             ;   in Loop: Header=BB150_47 Depth=1
	s_or_b64 exec, exec, s[78:79]
	s_and_saveexec_b64 s[78:79], s[12:13]
	s_cbranch_execnz .LBB150_88
.LBB150_56:                             ;   in Loop: Header=BB150_47 Depth=1
	s_or_b64 exec, exec, s[78:79]
	s_and_saveexec_b64 s[78:79], s[14:15]
	s_cbranch_execnz .LBB150_89
.LBB150_57:                             ;   in Loop: Header=BB150_47 Depth=1
	s_or_b64 exec, exec, s[78:79]
	s_and_saveexec_b64 s[78:79], s[16:17]
	s_cbranch_execnz .LBB150_90
.LBB150_58:                             ;   in Loop: Header=BB150_47 Depth=1
	s_or_b64 exec, exec, s[78:79]
	s_and_saveexec_b64 s[78:79], s[18:19]
	s_cbranch_execnz .LBB150_91
.LBB150_59:                             ;   in Loop: Header=BB150_47 Depth=1
	s_or_b64 exec, exec, s[78:79]
	s_and_saveexec_b64 s[78:79], s[20:21]
	s_cbranch_execnz .LBB150_92
.LBB150_60:                             ;   in Loop: Header=BB150_47 Depth=1
	s_or_b64 exec, exec, s[78:79]
	s_and_saveexec_b64 s[78:79], s[22:23]
	s_cbranch_execnz .LBB150_93
.LBB150_61:                             ;   in Loop: Header=BB150_47 Depth=1
	s_or_b64 exec, exec, s[78:79]
	s_and_saveexec_b64 s[78:79], s[24:25]
	s_cbranch_execnz .LBB150_94
.LBB150_62:                             ;   in Loop: Header=BB150_47 Depth=1
	s_or_b64 exec, exec, s[78:79]
	s_and_saveexec_b64 s[78:79], s[26:27]
	s_cbranch_execnz .LBB150_95
.LBB150_63:                             ;   in Loop: Header=BB150_47 Depth=1
	s_or_b64 exec, exec, s[78:79]
	s_and_saveexec_b64 s[78:79], s[28:29]
	s_cbranch_execnz .LBB150_96
.LBB150_64:                             ;   in Loop: Header=BB150_47 Depth=1
	s_or_b64 exec, exec, s[78:79]
	s_and_saveexec_b64 s[78:79], s[30:31]
	s_cbranch_execnz .LBB150_97
.LBB150_65:                             ;   in Loop: Header=BB150_47 Depth=1
	s_or_b64 exec, exec, s[78:79]
	s_and_saveexec_b64 s[78:79], s[34:35]
	s_cbranch_execnz .LBB150_98
.LBB150_66:                             ;   in Loop: Header=BB150_47 Depth=1
	s_or_b64 exec, exec, s[78:79]
	s_and_saveexec_b64 s[78:79], s[36:37]
	s_cbranch_execnz .LBB150_99
.LBB150_67:                             ;   in Loop: Header=BB150_47 Depth=1
	s_or_b64 exec, exec, s[78:79]
	s_and_saveexec_b64 s[78:79], s[38:39]
	s_cbranch_execnz .LBB150_100
.LBB150_68:                             ;   in Loop: Header=BB150_47 Depth=1
	s_or_b64 exec, exec, s[78:79]
	s_and_saveexec_b64 s[78:79], s[40:41]
	s_cbranch_execnz .LBB150_101
.LBB150_69:                             ;   in Loop: Header=BB150_47 Depth=1
	s_or_b64 exec, exec, s[78:79]
	s_and_saveexec_b64 s[78:79], s[42:43]
	s_cbranch_execnz .LBB150_102
.LBB150_70:                             ;   in Loop: Header=BB150_47 Depth=1
	s_or_b64 exec, exec, s[78:79]
	s_and_saveexec_b64 s[78:79], s[44:45]
	s_cbranch_execnz .LBB150_103
.LBB150_71:                             ;   in Loop: Header=BB150_47 Depth=1
	s_or_b64 exec, exec, s[78:79]
	s_and_saveexec_b64 s[78:79], s[46:47]
	s_cbranch_execnz .LBB150_104
.LBB150_72:                             ;   in Loop: Header=BB150_47 Depth=1
	s_or_b64 exec, exec, s[78:79]
	s_and_saveexec_b64 s[78:79], s[48:49]
	s_cbranch_execnz .LBB150_105
.LBB150_73:                             ;   in Loop: Header=BB150_47 Depth=1
	s_or_b64 exec, exec, s[78:79]
	s_and_saveexec_b64 s[78:79], s[50:51]
	s_cbranch_execnz .LBB150_106
.LBB150_74:                             ;   in Loop: Header=BB150_47 Depth=1
	s_or_b64 exec, exec, s[78:79]
	s_and_saveexec_b64 s[78:79], s[52:53]
	s_cbranch_execnz .LBB150_107
.LBB150_75:                             ;   in Loop: Header=BB150_47 Depth=1
	s_or_b64 exec, exec, s[78:79]
	s_and_saveexec_b64 s[78:79], s[54:55]
	s_cbranch_execnz .LBB150_108
.LBB150_76:                             ;   in Loop: Header=BB150_47 Depth=1
	s_or_b64 exec, exec, s[78:79]
	s_and_saveexec_b64 s[78:79], s[56:57]
	s_cbranch_execnz .LBB150_109
.LBB150_77:                             ;   in Loop: Header=BB150_47 Depth=1
	s_or_b64 exec, exec, s[78:79]
	s_and_saveexec_b64 s[78:79], s[58:59]
	s_cbranch_execnz .LBB150_110
.LBB150_78:                             ;   in Loop: Header=BB150_47 Depth=1
	s_or_b64 exec, exec, s[78:79]
	v_ashrrev_i32_e32 v11, 31, v10
	s_and_saveexec_b64 s[78:79], s[64:65]
	s_cbranch_execnz .LBB150_111
.LBB150_79:                             ;   in Loop: Header=BB150_47 Depth=1
	s_or_b64 exec, exec, s[78:79]
	s_and_saveexec_b64 s[64:65], vcc
	s_cbranch_execz .LBB150_46
	s_branch .LBB150_112
.LBB150_80:                             ;   in Loop: Header=BB150_47 Depth=1
	v_readlane_b32 s82, v40, 16
	s_nop 1
	v_mov_b32_e32 v2, s82
	ds_read_b32 v2, v2
	s_waitcnt lgkmcnt(0)
	v_add_u32_e32 v10, v2, v10
	s_or_b64 exec, exec, s[78:79]
	s_and_saveexec_b64 s[78:79], s[62:63]
	s_cbranch_execz .LBB150_49
.LBB150_81:                             ;   in Loop: Header=BB150_47 Depth=1
	v_readlane_b32 s82, v40, 17
	s_nop 1
	v_mov_b32_e32 v2, s82
	ds_read_b32 v2, v2
	s_waitcnt lgkmcnt(0)
	v_add_u32_e32 v10, v10, v2
	s_or_b64 exec, exec, s[78:79]
	s_and_saveexec_b64 s[78:79], s[0:1]
	s_cbranch_execz .LBB150_50
.LBB150_82:                             ;   in Loop: Header=BB150_47 Depth=1
	v_readlane_b32 s82, v40, 18
	s_nop 1
	v_mov_b32_e32 v2, s82
	ds_read_b32 v2, v2
	s_waitcnt lgkmcnt(0)
	v_add_u32_e32 v10, v10, v2
	s_or_b64 exec, exec, s[78:79]
	s_and_saveexec_b64 s[78:79], s[2:3]
	s_cbranch_execz .LBB150_51
.LBB150_83:                             ;   in Loop: Header=BB150_47 Depth=1
	v_readlane_b32 s82, v40, 19
	s_nop 1
	v_mov_b32_e32 v2, s82
	ds_read_b32 v2, v2
	s_waitcnt lgkmcnt(0)
	v_add_u32_e32 v10, v10, v2
	s_or_b64 exec, exec, s[78:79]
	s_and_saveexec_b64 s[78:79], s[4:5]
	s_cbranch_execz .LBB150_52
.LBB150_84:                             ;   in Loop: Header=BB150_47 Depth=1
	v_mov_b32_e32 v2, s81
	ds_read_b32 v2, v2
	s_waitcnt lgkmcnt(0)
	v_add_u32_e32 v10, v10, v2
	s_or_b64 exec, exec, s[78:79]
	s_and_saveexec_b64 s[78:79], s[6:7]
	s_cbranch_execz .LBB150_53
.LBB150_85:                             ;   in Loop: Header=BB150_47 Depth=1
	v_readlane_b32 s82, v40, 20
	s_nop 1
	v_mov_b32_e32 v2, s82
	ds_read_b32 v2, v2
	s_waitcnt lgkmcnt(0)
	v_add_u32_e32 v10, v10, v2
	s_or_b64 exec, exec, s[78:79]
	s_and_saveexec_b64 s[78:79], s[8:9]
	s_cbranch_execz .LBB150_54
.LBB150_86:                             ;   in Loop: Header=BB150_47 Depth=1
	v_mov_b32_e32 v2, s84
	ds_read_b32 v2, v2
	s_waitcnt lgkmcnt(0)
	v_add_u32_e32 v10, v10, v2
	s_or_b64 exec, exec, s[78:79]
	s_and_saveexec_b64 s[78:79], s[10:11]
	s_cbranch_execz .LBB150_55
.LBB150_87:                             ;   in Loop: Header=BB150_47 Depth=1
	v_mov_b32_e32 v2, s85
	ds_read_b32 v2, v2
	s_waitcnt lgkmcnt(0)
	v_add_u32_e32 v10, v10, v2
	s_or_b64 exec, exec, s[78:79]
	s_and_saveexec_b64 s[78:79], s[12:13]
	s_cbranch_execz .LBB150_56
.LBB150_88:                             ;   in Loop: Header=BB150_47 Depth=1
	v_mov_b32_e32 v2, s86
	ds_read_b32 v2, v2
	s_waitcnt lgkmcnt(0)
	v_add_u32_e32 v10, v10, v2
	s_or_b64 exec, exec, s[78:79]
	s_and_saveexec_b64 s[78:79], s[14:15]
	s_cbranch_execz .LBB150_57
.LBB150_89:                             ;   in Loop: Header=BB150_47 Depth=1
	v_mov_b32_e32 v2, s87
	ds_read_b32 v2, v2
	s_waitcnt lgkmcnt(0)
	v_add_u32_e32 v10, v10, v2
	s_or_b64 exec, exec, s[78:79]
	s_and_saveexec_b64 s[78:79], s[16:17]
	s_cbranch_execz .LBB150_58
.LBB150_90:                             ;   in Loop: Header=BB150_47 Depth=1
	v_mov_b32_e32 v2, s88
	ds_read_b32 v2, v2
	s_waitcnt lgkmcnt(0)
	v_add_u32_e32 v10, v10, v2
	s_or_b64 exec, exec, s[78:79]
	s_and_saveexec_b64 s[78:79], s[18:19]
	s_cbranch_execz .LBB150_59
.LBB150_91:                             ;   in Loop: Header=BB150_47 Depth=1
	v_mov_b32_e32 v2, s89
	ds_read_b32 v2, v2
	s_waitcnt lgkmcnt(0)
	v_add_u32_e32 v10, v10, v2
	s_or_b64 exec, exec, s[78:79]
	s_and_saveexec_b64 s[78:79], s[20:21]
	s_cbranch_execz .LBB150_60
.LBB150_92:                             ;   in Loop: Header=BB150_47 Depth=1
	v_mov_b32_e32 v2, s90
	ds_read_b32 v2, v2
	s_waitcnt lgkmcnt(0)
	v_add_u32_e32 v10, v10, v2
	s_or_b64 exec, exec, s[78:79]
	s_and_saveexec_b64 s[78:79], s[22:23]
	s_cbranch_execz .LBB150_61
.LBB150_93:                             ;   in Loop: Header=BB150_47 Depth=1
	v_mov_b32_e32 v2, s91
	ds_read_b32 v2, v2
	s_waitcnt lgkmcnt(0)
	v_add_u32_e32 v10, v10, v2
	s_or_b64 exec, exec, s[78:79]
	s_and_saveexec_b64 s[78:79], s[24:25]
	s_cbranch_execz .LBB150_62
.LBB150_94:                             ;   in Loop: Header=BB150_47 Depth=1
	v_mov_b32_e32 v2, s92
	ds_read_b32 v2, v2
	s_waitcnt lgkmcnt(0)
	v_add_u32_e32 v10, v10, v2
	s_or_b64 exec, exec, s[78:79]
	s_and_saveexec_b64 s[78:79], s[26:27]
	s_cbranch_execz .LBB150_63
.LBB150_95:                             ;   in Loop: Header=BB150_47 Depth=1
	v_mov_b32_e32 v2, s93
	ds_read_b32 v2, v2
	s_waitcnt lgkmcnt(0)
	v_add_u32_e32 v10, v10, v2
	s_or_b64 exec, exec, s[78:79]
	s_and_saveexec_b64 s[78:79], s[28:29]
	s_cbranch_execz .LBB150_64
.LBB150_96:                             ;   in Loop: Header=BB150_47 Depth=1
	v_mov_b32_e32 v2, s94
	ds_read_b32 v2, v2
	s_waitcnt lgkmcnt(0)
	v_add_u32_e32 v10, v10, v2
	s_or_b64 exec, exec, s[78:79]
	s_and_saveexec_b64 s[78:79], s[30:31]
	s_cbranch_execz .LBB150_65
.LBB150_97:                             ;   in Loop: Header=BB150_47 Depth=1
	v_mov_b32_e32 v2, s95
	ds_read_b32 v2, v2
	s_waitcnt lgkmcnt(0)
	v_add_u32_e32 v10, v10, v2
	s_or_b64 exec, exec, s[78:79]
	s_and_saveexec_b64 s[78:79], s[34:35]
	s_cbranch_execz .LBB150_66
.LBB150_98:                             ;   in Loop: Header=BB150_47 Depth=1
	v_mov_b32_e32 v2, s96
	ds_read_b32 v2, v2
	s_waitcnt lgkmcnt(0)
	v_add_u32_e32 v10, v10, v2
	s_or_b64 exec, exec, s[78:79]
	s_and_saveexec_b64 s[78:79], s[36:37]
	s_cbranch_execz .LBB150_67
.LBB150_99:                             ;   in Loop: Header=BB150_47 Depth=1
	v_mov_b32_e32 v2, s97
	ds_read_b32 v2, v2
	s_waitcnt lgkmcnt(0)
	v_add_u32_e32 v10, v10, v2
	s_or_b64 exec, exec, s[78:79]
	s_and_saveexec_b64 s[78:79], s[38:39]
	s_cbranch_execz .LBB150_68
.LBB150_100:                            ;   in Loop: Header=BB150_47 Depth=1
	v_mov_b32_e32 v2, s98
	ds_read_b32 v2, v2
	s_waitcnt lgkmcnt(0)
	v_add_u32_e32 v10, v10, v2
	s_or_b64 exec, exec, s[78:79]
	s_and_saveexec_b64 s[78:79], s[40:41]
	s_cbranch_execz .LBB150_69
.LBB150_101:                            ;   in Loop: Header=BB150_47 Depth=1
	v_mov_b32_e32 v2, s99
	ds_read_b32 v2, v2
	s_waitcnt lgkmcnt(0)
	v_add_u32_e32 v10, v10, v2
	s_or_b64 exec, exec, s[78:79]
	s_and_saveexec_b64 s[78:79], s[42:43]
	s_cbranch_execz .LBB150_70
.LBB150_102:                            ;   in Loop: Header=BB150_47 Depth=1
	v_mov_b32_e32 v2, s76
	ds_read_b32 v2, v2
	s_waitcnt lgkmcnt(0)
	v_add_u32_e32 v10, v10, v2
	s_or_b64 exec, exec, s[78:79]
	s_and_saveexec_b64 s[78:79], s[44:45]
	s_cbranch_execz .LBB150_71
.LBB150_103:                            ;   in Loop: Header=BB150_47 Depth=1
	v_mov_b32_e32 v2, s77
	ds_read_b32 v2, v2
	s_waitcnt lgkmcnt(0)
	v_add_u32_e32 v10, v10, v2
	s_or_b64 exec, exec, s[78:79]
	s_and_saveexec_b64 s[78:79], s[46:47]
	s_cbranch_execz .LBB150_72
.LBB150_104:                            ;   in Loop: Header=BB150_47 Depth=1
	v_mov_b32_e32 v2, s70
	ds_read_b32 v2, v2
	s_waitcnt lgkmcnt(0)
	v_add_u32_e32 v10, v10, v2
	s_or_b64 exec, exec, s[78:79]
	s_and_saveexec_b64 s[78:79], s[48:49]
	s_cbranch_execz .LBB150_73
.LBB150_105:                            ;   in Loop: Header=BB150_47 Depth=1
	v_mov_b32_e32 v2, s72
	ds_read_b32 v2, v2
	s_waitcnt lgkmcnt(0)
	v_add_u32_e32 v10, v10, v2
	s_or_b64 exec, exec, s[78:79]
	s_and_saveexec_b64 s[78:79], s[50:51]
	s_cbranch_execz .LBB150_74
.LBB150_106:                            ;   in Loop: Header=BB150_47 Depth=1
	v_mov_b32_e32 v2, s73
	ds_read_b32 v2, v2
	s_waitcnt lgkmcnt(0)
	v_add_u32_e32 v10, v10, v2
	s_or_b64 exec, exec, s[78:79]
	s_and_saveexec_b64 s[78:79], s[52:53]
	s_cbranch_execz .LBB150_75
.LBB150_107:                            ;   in Loop: Header=BB150_47 Depth=1
	v_mov_b32_e32 v2, s66
	ds_read_b32 v2, v2
	s_waitcnt lgkmcnt(0)
	v_add_u32_e32 v10, v10, v2
	s_or_b64 exec, exec, s[78:79]
	s_and_saveexec_b64 s[78:79], s[54:55]
	s_cbranch_execz .LBB150_76
.LBB150_108:                            ;   in Loop: Header=BB150_47 Depth=1
	v_mov_b32_e32 v2, s67
	ds_read_b32 v2, v2
	s_waitcnt lgkmcnt(0)
	v_add_u32_e32 v10, v10, v2
	s_or_b64 exec, exec, s[78:79]
	s_and_saveexec_b64 s[78:79], s[56:57]
	s_cbranch_execz .LBB150_77
.LBB150_109:                            ;   in Loop: Header=BB150_47 Depth=1
	v_mov_b32_e32 v2, s33
	ds_read_b32 v2, v2
	s_waitcnt lgkmcnt(0)
	v_add_u32_e32 v10, v10, v2
	s_or_b64 exec, exec, s[78:79]
	s_and_saveexec_b64 s[78:79], s[58:59]
	s_cbranch_execz .LBB150_78
.LBB150_110:                            ;   in Loop: Header=BB150_47 Depth=1
	v_mov_b32_e32 v2, s71
	ds_read_b32 v2, v2
	s_waitcnt lgkmcnt(0)
	v_add_u32_e32 v10, v10, v2
	s_or_b64 exec, exec, s[78:79]
	v_ashrrev_i32_e32 v11, 31, v10
	s_and_saveexec_b64 s[78:79], s[64:65]
	s_cbranch_execz .LBB150_79
.LBB150_111:                            ;   in Loop: Header=BB150_47 Depth=1
	scratch_load_dwordx4 v[14:17], off, off
	v_add3_u32 v2, v6, -1, v10
	v_add_u32_e32 v13, v6, v10
	v_lshl_add_u32 v2, v2, 3, 0
	v_lshl_add_u32 v13, v13, 4, 0
	v_add_u32_e32 v13, 0x7ff0, v13
	ds_write_b64 v2, v[8:9]
	s_waitcnt vmcnt(0)
	ds_write2_b64 v13, v[14:15], v[16:17] offset1:1
	s_or_b64 exec, exec, s[78:79]
	s_and_saveexec_b64 s[64:65], vcc
	s_cbranch_execz .LBB150_46
.LBB150_112:                            ;   in Loop: Header=BB150_47 Depth=1
	v_mov_b32_e32 v2, s80
	ds_write_b64 v2, v[10:11]
	s_branch .LBB150_46
.LBB150_113:
	s_or_b64 exec, exec, s[68:69]
	v_readlane_b32 s0, v40, 2
	v_readlane_b32 s4, v40, 4
	;; [unrolled: 1-line block ×7, first 2 shown]
	s_lshl_b64 s[0:1], s[0:1], 3
	s_mov_b64 s[6:7], s[10:11]
	v_readlane_b32 s5, v40, 5
	s_add_u32 s4, s6, s0
	s_addc_u32 s5, s7, s1
	s_load_dwordx4 s[0:3], s[4:5], 0x0
	v_mov_b32_e32 v1, 0
	v_readlane_b32 s8, v40, 8
	v_readlane_b32 s9, v40, 9
	s_waitcnt lgkmcnt(0)
	s_sub_u32 s4, s2, s0
	s_subb_u32 s5, s3, s1
	v_cmp_gt_i64_e32 vcc, s[4:5], v[0:1]
	s_and_saveexec_b64 s[6:7], vcc
	s_cbranch_execz .LBB150_123
; %bb.114:
	v_readlane_b32 s8, v40, 12
	v_readlane_b32 s10, v40, 14
	;; [unrolled: 1-line block ×3, first 2 shown]
	s_sub_u32 s8, s0, s10
	s_subb_u32 s9, s1, 0
	s_and_b32 s6, s4, 7
	s_sub_u32 s0, s0, s2
	s_mov_b32 s7, 0
	s_subb_u32 s1, s1, s3
	s_and_b32 s10, s4, -8
	s_cmp_lg_u64 s[6:7], 0
	v_cmp_lt_u64_e64 s[0:1], s[0:1], -7
	s_cselect_b64 s[2:3], -1, 0
	v_readlane_b32 s11, v40, 15
	v_cndmask_b32_e64 v2, 0, 1, s[0:1]
	v_cmp_ne_u32_e64 s[0:1], 1, v2
	v_cndmask_b32_e64 v2, 0, 1, s[2:3]
	s_mov_b32 s11, s5
	s_mov_b64 s[12:13], 0
	v_cmp_ne_u32_e64 s[2:3], 1, v2
	s_mov_b32 s18, 0x8000
	s_mov_b64 s[14:15], 0x400
	s_branch .LBB150_116
.LBB150_115:                            ;   in Loop: Header=BB150_116 Depth=1
	s_waitcnt lgkmcnt(0)
	v_lshlrev_b32_e32 v4, 3, v0
	v_add3_u32 v4, v6, v4, s18
	ds_read2_b64 v[4:7], v4 offset1:1
	v_readlane_b32 s16, v40, 0
	v_lshl_add_u64 v[0:1], v[0:1], 0, s[14:15]
	v_readlane_b32 s17, v40, 1
	v_cmp_le_i64_e32 vcc, s[4:5], v[0:1]
	s_or_b64 s[12:13], vcc, s[12:13]
	v_lshl_add_u64 v[2:3], v[2:3], 4, s[16:17]
	s_waitcnt lgkmcnt(0)
	global_store_dwordx4 v[2:3], v[4:7], off
	s_andn2_b64 exec, exec, s[12:13]
	s_cbranch_execz .LBB150_123
.LBB150_116:                            ; =>This Loop Header: Depth=1
                                        ;     Child Loop BB150_118 Depth 2
                                        ;     Child Loop BB150_122 Depth 2
	v_lshl_add_u32 v6, v0, 3, 0
	ds_read_b64 v[4:5], v6
	s_and_b64 vcc, exec, s[0:1]
	v_mov_b64_e32 v[2:3], s[8:9]
	s_mov_b64 s[16:17], 0
	s_cbranch_vccnz .LBB150_120
; %bb.117:                              ;   in Loop: Header=BB150_116 Depth=1
	s_mov_b32 s19, 0
	v_mov_b64_e32 v[2:3], s[8:9]
.LBB150_118:                            ;   Parent Loop BB150_116 Depth=1
                                        ; =>  This Inner Loop Header: Depth=2
	v_mov_b32_e32 v7, s19
	ds_read2_b64 v[8:11], v7 offset1:1
	ds_read2_b64 v[12:15], v7 offset0:2 offset1:3
	ds_read2_b64 v[16:19], v7 offset0:4 offset1:5
	ds_read2_b64 v[20:23], v7 offset0:6 offset1:7
	v_mov_b32_e32 v25, s7
	s_waitcnt lgkmcnt(3)
	v_cmp_gt_i64_e32 vcc, v[4:5], v[8:9]
	v_mov_b32_e32 v27, s7
	v_mov_b32_e32 v29, s7
	v_cndmask_b32_e64 v24, 0, 1, vcc
	v_cmp_gt_i64_e32 vcc, v[4:5], v[10:11]
	v_lshl_add_u64 v[2:3], v[2:3], 0, v[24:25]
	v_mov_b32_e32 v31, s7
	v_cndmask_b32_e64 v26, 0, 1, vcc
	s_waitcnt lgkmcnt(2)
	v_cmp_gt_i64_e32 vcc, v[4:5], v[12:13]
	v_lshl_add_u64 v[2:3], v[2:3], 0, v[26:27]
	v_mov_b32_e32 v33, s7
	v_cndmask_b32_e64 v28, 0, 1, vcc
	v_cmp_gt_i64_e32 vcc, v[4:5], v[14:15]
	v_lshl_add_u64 v[2:3], v[2:3], 0, v[28:29]
	v_mov_b32_e32 v35, s7
	v_cndmask_b32_e64 v30, 0, 1, vcc
	s_waitcnt lgkmcnt(1)
	v_cmp_gt_i64_e32 vcc, v[4:5], v[16:17]
	v_lshl_add_u64 v[2:3], v[2:3], 0, v[30:31]
	v_mov_b32_e32 v37, s7
	v_cndmask_b32_e64 v32, 0, 1, vcc
	v_cmp_gt_i64_e32 vcc, v[4:5], v[18:19]
	v_lshl_add_u64 v[2:3], v[2:3], 0, v[32:33]
	s_add_u32 s16, s16, 8
	v_cndmask_b32_e64 v34, 0, 1, vcc
	s_waitcnt lgkmcnt(0)
	v_cmp_gt_i64_e32 vcc, v[4:5], v[20:21]
	v_lshl_add_u64 v[2:3], v[2:3], 0, v[34:35]
	v_mov_b32_e32 v39, s7
	v_cndmask_b32_e64 v36, 0, 1, vcc
	v_cmp_gt_i64_e32 vcc, v[4:5], v[22:23]
	s_addc_u32 s17, s17, 0
	s_add_i32 s19, s19, 64
	v_cndmask_b32_e64 v38, 0, 1, vcc
	v_lshl_add_u64 v[2:3], v[2:3], 0, v[36:37]
	s_cmp_eq_u64 s[10:11], s[16:17]
	v_lshl_add_u64 v[2:3], v[2:3], 0, v[38:39]
	s_cbranch_scc0 .LBB150_118
; %bb.119:                              ;   in Loop: Header=BB150_116 Depth=1
	s_mov_b64 s[16:17], s[10:11]
.LBB150_120:                            ;   in Loop: Header=BB150_116 Depth=1
	s_and_b64 vcc, exec, s[2:3]
	s_cbranch_vccnz .LBB150_115
; %bb.121:                              ;   in Loop: Header=BB150_116 Depth=1
	s_lshl_b32 s16, s16, 3
	s_add_i32 s19, s16, 0
	s_mov_b64 s[16:17], s[6:7]
.LBB150_122:                            ;   Parent Loop BB150_116 Depth=1
                                        ; =>  This Inner Loop Header: Depth=2
	v_mov_b32_e32 v7, s19
	ds_read_b64 v[10:11], v7
	s_add_i32 s19, s19, 8
	s_add_u32 s16, s16, -1
	v_mov_b32_e32 v9, s7
	s_addc_u32 s17, s17, -1
	s_waitcnt lgkmcnt(0)
	v_cmp_gt_i64_e32 vcc, v[4:5], v[10:11]
	s_cmp_lg_u64 s[16:17], 0
	s_nop 0
	v_cndmask_b32_e64 v8, 0, 1, vcc
	v_lshl_add_u64 v[2:3], v[2:3], 0, v[8:9]
	s_cbranch_scc1 .LBB150_122
	s_branch .LBB150_115
.LBB150_123:
	s_endpgm
	.section	.rodata,"a",@progbits
	.p2align	6, 0x0
	.amdhsa_kernel _ZN9rocsparseL41csrgemm_numeric_fill_block_per_row_kernelILj1024ELj64ELj4096ELj137ELj32Ell21rocsparse_complex_numIdEEEvT5_PKS3_S5_NS_24const_host_device_scalarIT6_EEPKT4_S5_PKS7_SB_S5_SD_S8_SB_S5_SD_SB_S5_PS7_21rocsparse_index_base_SF_SF_SF_bbb
		.amdhsa_group_segment_fixed_size 0
		.amdhsa_private_segment_fixed_size 40
		.amdhsa_kernarg_size 172
		.amdhsa_user_sgpr_count 2
		.amdhsa_user_sgpr_dispatch_ptr 0
		.amdhsa_user_sgpr_queue_ptr 0
		.amdhsa_user_sgpr_kernarg_segment_ptr 1
		.amdhsa_user_sgpr_dispatch_id 0
		.amdhsa_user_sgpr_kernarg_preload_length 0
		.amdhsa_user_sgpr_kernarg_preload_offset 0
		.amdhsa_user_sgpr_private_segment_size 0
		.amdhsa_uses_dynamic_stack 0
		.amdhsa_enable_private_segment 1
		.amdhsa_system_sgpr_workgroup_id_x 1
		.amdhsa_system_sgpr_workgroup_id_y 0
		.amdhsa_system_sgpr_workgroup_id_z 0
		.amdhsa_system_sgpr_workgroup_info 0
		.amdhsa_system_vgpr_workitem_id 0
		.amdhsa_next_free_vgpr 41
		.amdhsa_next_free_sgpr 100
		.amdhsa_accum_offset 44
		.amdhsa_reserve_vcc 1
		.amdhsa_float_round_mode_32 0
		.amdhsa_float_round_mode_16_64 0
		.amdhsa_float_denorm_mode_32 3
		.amdhsa_float_denorm_mode_16_64 3
		.amdhsa_dx10_clamp 1
		.amdhsa_ieee_mode 1
		.amdhsa_fp16_overflow 0
		.amdhsa_tg_split 0
		.amdhsa_exception_fp_ieee_invalid_op 0
		.amdhsa_exception_fp_denorm_src 0
		.amdhsa_exception_fp_ieee_div_zero 0
		.amdhsa_exception_fp_ieee_overflow 0
		.amdhsa_exception_fp_ieee_underflow 0
		.amdhsa_exception_fp_ieee_inexact 0
		.amdhsa_exception_int_div_zero 0
	.end_amdhsa_kernel
	.section	.text._ZN9rocsparseL41csrgemm_numeric_fill_block_per_row_kernelILj1024ELj64ELj4096ELj137ELj32Ell21rocsparse_complex_numIdEEEvT5_PKS3_S5_NS_24const_host_device_scalarIT6_EEPKT4_S5_PKS7_SB_S5_SD_S8_SB_S5_SD_SB_S5_PS7_21rocsparse_index_base_SF_SF_SF_bbb,"axG",@progbits,_ZN9rocsparseL41csrgemm_numeric_fill_block_per_row_kernelILj1024ELj64ELj4096ELj137ELj32Ell21rocsparse_complex_numIdEEEvT5_PKS3_S5_NS_24const_host_device_scalarIT6_EEPKT4_S5_PKS7_SB_S5_SD_S8_SB_S5_SD_SB_S5_PS7_21rocsparse_index_base_SF_SF_SF_bbb,comdat
.Lfunc_end150:
	.size	_ZN9rocsparseL41csrgemm_numeric_fill_block_per_row_kernelILj1024ELj64ELj4096ELj137ELj32Ell21rocsparse_complex_numIdEEEvT5_PKS3_S5_NS_24const_host_device_scalarIT6_EEPKT4_S5_PKS7_SB_S5_SD_S8_SB_S5_SD_SB_S5_PS7_21rocsparse_index_base_SF_SF_SF_bbb, .Lfunc_end150-_ZN9rocsparseL41csrgemm_numeric_fill_block_per_row_kernelILj1024ELj64ELj4096ELj137ELj32Ell21rocsparse_complex_numIdEEEvT5_PKS3_S5_NS_24const_host_device_scalarIT6_EEPKT4_S5_PKS7_SB_S5_SD_S8_SB_S5_SD_SB_S5_PS7_21rocsparse_index_base_SF_SF_SF_bbb
                                        ; -- End function
	.set _ZN9rocsparseL41csrgemm_numeric_fill_block_per_row_kernelILj1024ELj64ELj4096ELj137ELj32Ell21rocsparse_complex_numIdEEEvT5_PKS3_S5_NS_24const_host_device_scalarIT6_EEPKT4_S5_PKS7_SB_S5_SD_S8_SB_S5_SD_SB_S5_PS7_21rocsparse_index_base_SF_SF_SF_bbb.num_vgpr, 41
	.set _ZN9rocsparseL41csrgemm_numeric_fill_block_per_row_kernelILj1024ELj64ELj4096ELj137ELj32Ell21rocsparse_complex_numIdEEEvT5_PKS3_S5_NS_24const_host_device_scalarIT6_EEPKT4_S5_PKS7_SB_S5_SD_S8_SB_S5_SD_SB_S5_PS7_21rocsparse_index_base_SF_SF_SF_bbb.num_agpr, 0
	.set _ZN9rocsparseL41csrgemm_numeric_fill_block_per_row_kernelILj1024ELj64ELj4096ELj137ELj32Ell21rocsparse_complex_numIdEEEvT5_PKS3_S5_NS_24const_host_device_scalarIT6_EEPKT4_S5_PKS7_SB_S5_SD_S8_SB_S5_SD_SB_S5_PS7_21rocsparse_index_base_SF_SF_SF_bbb.numbered_sgpr, 100
	.set _ZN9rocsparseL41csrgemm_numeric_fill_block_per_row_kernelILj1024ELj64ELj4096ELj137ELj32Ell21rocsparse_complex_numIdEEEvT5_PKS3_S5_NS_24const_host_device_scalarIT6_EEPKT4_S5_PKS7_SB_S5_SD_S8_SB_S5_SD_SB_S5_PS7_21rocsparse_index_base_SF_SF_SF_bbb.num_named_barrier, 0
	.set _ZN9rocsparseL41csrgemm_numeric_fill_block_per_row_kernelILj1024ELj64ELj4096ELj137ELj32Ell21rocsparse_complex_numIdEEEvT5_PKS3_S5_NS_24const_host_device_scalarIT6_EEPKT4_S5_PKS7_SB_S5_SD_S8_SB_S5_SD_SB_S5_PS7_21rocsparse_index_base_SF_SF_SF_bbb.private_seg_size, 40
	.set _ZN9rocsparseL41csrgemm_numeric_fill_block_per_row_kernelILj1024ELj64ELj4096ELj137ELj32Ell21rocsparse_complex_numIdEEEvT5_PKS3_S5_NS_24const_host_device_scalarIT6_EEPKT4_S5_PKS7_SB_S5_SD_S8_SB_S5_SD_SB_S5_PS7_21rocsparse_index_base_SF_SF_SF_bbb.uses_vcc, 1
	.set _ZN9rocsparseL41csrgemm_numeric_fill_block_per_row_kernelILj1024ELj64ELj4096ELj137ELj32Ell21rocsparse_complex_numIdEEEvT5_PKS3_S5_NS_24const_host_device_scalarIT6_EEPKT4_S5_PKS7_SB_S5_SD_S8_SB_S5_SD_SB_S5_PS7_21rocsparse_index_base_SF_SF_SF_bbb.uses_flat_scratch, 0
	.set _ZN9rocsparseL41csrgemm_numeric_fill_block_per_row_kernelILj1024ELj64ELj4096ELj137ELj32Ell21rocsparse_complex_numIdEEEvT5_PKS3_S5_NS_24const_host_device_scalarIT6_EEPKT4_S5_PKS7_SB_S5_SD_S8_SB_S5_SD_SB_S5_PS7_21rocsparse_index_base_SF_SF_SF_bbb.has_dyn_sized_stack, 0
	.set _ZN9rocsparseL41csrgemm_numeric_fill_block_per_row_kernelILj1024ELj64ELj4096ELj137ELj32Ell21rocsparse_complex_numIdEEEvT5_PKS3_S5_NS_24const_host_device_scalarIT6_EEPKT4_S5_PKS7_SB_S5_SD_S8_SB_S5_SD_SB_S5_PS7_21rocsparse_index_base_SF_SF_SF_bbb.has_recursion, 0
	.set _ZN9rocsparseL41csrgemm_numeric_fill_block_per_row_kernelILj1024ELj64ELj4096ELj137ELj32Ell21rocsparse_complex_numIdEEEvT5_PKS3_S5_NS_24const_host_device_scalarIT6_EEPKT4_S5_PKS7_SB_S5_SD_S8_SB_S5_SD_SB_S5_PS7_21rocsparse_index_base_SF_SF_SF_bbb.has_indirect_call, 0
	.section	.AMDGPU.csdata,"",@progbits
; Kernel info:
; codeLenInByte = 5004
; TotalNumSgprs: 106
; NumVgprs: 41
; NumAgprs: 0
; TotalNumVgprs: 41
; ScratchSize: 40
; MemoryBound: 0
; FloatMode: 240
; IeeeMode: 1
; LDSByteSize: 0 bytes/workgroup (compile time only)
; SGPRBlocks: 13
; VGPRBlocks: 5
; NumSGPRsForWavesPerEU: 106
; NumVGPRsForWavesPerEU: 41
; AccumOffset: 44
; Occupancy: 7
; WaveLimiterHint : 1
; COMPUTE_PGM_RSRC2:SCRATCH_EN: 1
; COMPUTE_PGM_RSRC2:USER_SGPR: 2
; COMPUTE_PGM_RSRC2:TRAP_HANDLER: 0
; COMPUTE_PGM_RSRC2:TGID_X_EN: 1
; COMPUTE_PGM_RSRC2:TGID_Y_EN: 0
; COMPUTE_PGM_RSRC2:TGID_Z_EN: 0
; COMPUTE_PGM_RSRC2:TIDIG_COMP_CNT: 0
; COMPUTE_PGM_RSRC3_GFX90A:ACCUM_OFFSET: 10
; COMPUTE_PGM_RSRC3_GFX90A:TG_SPLIT: 0
	.section	.text._ZN9rocsparseL41csrgemm_numeric_fill_block_per_row_kernelILj1024ELj64ELj4096ELj137ELj64Ell21rocsparse_complex_numIdEEEvT5_PKS3_S5_NS_24const_host_device_scalarIT6_EEPKT4_S5_PKS7_SB_S5_SD_S8_SB_S5_SD_SB_S5_PS7_21rocsparse_index_base_SF_SF_SF_bbb,"axG",@progbits,_ZN9rocsparseL41csrgemm_numeric_fill_block_per_row_kernelILj1024ELj64ELj4096ELj137ELj64Ell21rocsparse_complex_numIdEEEvT5_PKS3_S5_NS_24const_host_device_scalarIT6_EEPKT4_S5_PKS7_SB_S5_SD_S8_SB_S5_SD_SB_S5_PS7_21rocsparse_index_base_SF_SF_SF_bbb,comdat
	.globl	_ZN9rocsparseL41csrgemm_numeric_fill_block_per_row_kernelILj1024ELj64ELj4096ELj137ELj64Ell21rocsparse_complex_numIdEEEvT5_PKS3_S5_NS_24const_host_device_scalarIT6_EEPKT4_S5_PKS7_SB_S5_SD_S8_SB_S5_SD_SB_S5_PS7_21rocsparse_index_base_SF_SF_SF_bbb ; -- Begin function _ZN9rocsparseL41csrgemm_numeric_fill_block_per_row_kernelILj1024ELj64ELj4096ELj137ELj64Ell21rocsparse_complex_numIdEEEvT5_PKS3_S5_NS_24const_host_device_scalarIT6_EEPKT4_S5_PKS7_SB_S5_SD_S8_SB_S5_SD_SB_S5_PS7_21rocsparse_index_base_SF_SF_SF_bbb
	.p2align	8
	.type	_ZN9rocsparseL41csrgemm_numeric_fill_block_per_row_kernelILj1024ELj64ELj4096ELj137ELj64Ell21rocsparse_complex_numIdEEEvT5_PKS3_S5_NS_24const_host_device_scalarIT6_EEPKT4_S5_PKS7_SB_S5_SD_S8_SB_S5_SD_SB_S5_PS7_21rocsparse_index_base_SF_SF_SF_bbb,@function
_ZN9rocsparseL41csrgemm_numeric_fill_block_per_row_kernelILj1024ELj64ELj4096ELj137ELj64Ell21rocsparse_complex_numIdEEEvT5_PKS3_S5_NS_24const_host_device_scalarIT6_EEPKT4_S5_PKS7_SB_S5_SD_S8_SB_S5_SD_SB_S5_PS7_21rocsparse_index_base_SF_SF_SF_bbb: ; @_ZN9rocsparseL41csrgemm_numeric_fill_block_per_row_kernelILj1024ELj64ELj4096ELj137ELj64Ell21rocsparse_complex_numIdEEEvT5_PKS3_S5_NS_24const_host_device_scalarIT6_EEPKT4_S5_PKS7_SB_S5_SD_S8_SB_S5_SD_SB_S5_PS7_21rocsparse_index_base_SF_SF_SF_bbb
; %bb.0:
	s_load_dword s3, s[0:1], 0xa8
	s_load_dwordx4 s[44:47], s[0:1], 0x98
	s_load_dwordx4 s[8:11], s[0:1], 0x18
	s_load_dwordx4 s[24:27], s[0:1], 0x58
	v_mov_b64_e32 v[6:7], 0
	s_waitcnt lgkmcnt(0)
	s_bitcmp1_b32 s3, 0
	s_cselect_b64 s[28:29], -1, 0
	s_bitcmp1_b32 s3, 16
	s_cselect_b64 s[30:31], -1, 0
	s_xor_b64 s[4:5], s[30:31], -1
	v_mov_b64_e32 v[2:3], s[8:9]
	v_cndmask_b32_e64 v1, 0, 1, s[4:5]
	scratch_store_dwordx2 off, v[2:3], off offset:16
	v_mov_b64_e32 v[2:3], s[24:25]
	s_bitcmp0_b32 s3, 0
	v_cmp_ne_u32_e64 s[4:5], 1, v1
	v_mov_b64_e32 v[10:11], 0
	v_mov_b64_e32 v[12:13], 0
	scratch_store_dwordx2 off, v[2:3], off offset:24
	s_cbranch_scc1 .LBB151_3
; %bb.1:
	s_mov_b64 s[6:7], src_private_base
	s_and_b64 s[12:13], s[30:31], exec
	s_cselect_b32 s6, s7, s9
	s_cselect_b32 s7, 16, s8
	v_mov_b32_e32 v2, s7
	v_mov_b32_e32 v3, s6
	flat_load_dwordx2 v[10:11], v[2:3]
	s_and_b64 vcc, exec, s[4:5]
	v_mov_b64_e32 v[12:13], s[10:11]
	s_cbranch_vccnz .LBB151_3
; %bb.2:
	v_mov_b64_e32 v[2:3], s[8:9]
	flat_load_dwordx2 v[12:13], v[2:3] offset:8
.LBB151_3:
	s_load_dwordx2 s[34:35], s[0:1], 0x90
	s_load_dwordx8 s[36:43], s[0:1], 0x68
	s_load_dwordx4 s[16:19], s[0:1], 0x48
	s_load_dwordx4 s[20:23], s[0:1], 0x8
	s_load_dwordx8 s[8:15], s[0:1], 0x28
	s_bitcmp1_b32 s3, 8
	s_cselect_b64 s[6:7], -1, 0
	s_bfe_u32 s3, s3, 0x10008
	s_cmp_eq_u32 s3, 0
	v_mov_b64_e32 v[8:9], 0
	s_cbranch_scc1 .LBB151_6
; %bb.4:
	s_mov_b64 s[48:49], src_private_base
	s_and_b64 s[30:31], s[30:31], exec
	s_cselect_b32 s3, s49, s25
	s_cselect_b32 s30, 24, s24
	v_mov_b32_e32 v2, s30
	v_mov_b32_e32 v3, s3
	flat_load_dwordx2 v[8:9], v[2:3]
	s_and_b64 vcc, exec, s[4:5]
	v_mov_b64_e32 v[6:7], s[26:27]
	s_cbranch_vccnz .LBB151_6
; %bb.5:
	v_mov_b64_e32 v[2:3], s[24:25]
	flat_load_dwordx2 v[6:7], v[2:3] offset:8
.LBB151_6:
	s_load_dwordx2 s[48:49], s[0:1], 0x0
	s_mov_b32 s4, 0
	v_lshl_add_u32 v1, v0, 4, 0
	v_add_u32_e32 v1, 0x8000, v1
	v_or_b32_e32 v34, 0xfffffc00, v0
	v_lshl_add_u32 v35, v0, 3, 0
	s_mov_b32 s5, s4
	s_mov_b32 s24, s4
	;; [unrolled: 1-line block ×3, first 2 shown]
	s_mov_b64 s[0:1], 0
	s_waitcnt lgkmcnt(0)
	v_mov_b64_e32 v[18:19], s[48:49]
	v_mov_b64_e32 v[2:3], s[4:5]
	;; [unrolled: 1-line block ×3, first 2 shown]
	s_movk_i32 s3, 0xbff
	v_mov_b32_e32 v14, v35
	v_mov_b32_e32 v15, v34
	;; [unrolled: 1-line block ×3, first 2 shown]
.LBB151_7:                              ; =>This Inner Loop Header: Depth=1
	v_add_u32_e32 v15, 0x400, v15
	v_cmp_lt_u32_e32 vcc, s3, v15
	ds_write_b64 v14, v[18:19]
	ds_write2_b64 v16, v[2:3], v[4:5] offset1:1
	v_add_u32_e32 v16, 0x4000, v16
	s_or_b64 s[0:1], vcc, s[0:1]
	v_add_u32_e32 v14, 0x2000, v14
	s_andn2_b64 exec, exec, s[0:1]
	s_cbranch_execnz .LBB151_7
; %bb.8:
	s_or_b64 exec, exec, s[0:1]
	s_waitcnt lgkmcnt(0)
	s_barrier
	s_load_dwordx2 s[0:1], s[20:21], 0x0
	s_mov_b32 s3, 0
	v_lshrrev_b32_e32 v36, 6, v0
	s_waitcnt lgkmcnt(0)
	s_lshl_b64 s[0:1], s[0:1], 3
	s_add_u32 s4, s22, s0
	s_addc_u32 s5, s23, s1
	s_lshl_b64 s[0:1], s[2:3], 3
	s_add_u32 s0, s4, s0
	s_addc_u32 s1, s5, s1
	s_load_dwordx2 s[50:51], s[0:1], 0x0
	s_and_b64 vcc, exec, s[28:29]
	s_cbranch_vccz .LBB151_28
; %bb.9:
	s_waitcnt lgkmcnt(0)
	s_lshl_b64 s[0:1], s[50:51], 3
	s_add_u32 s0, s8, s0
	s_addc_u32 s1, s9, s1
	s_load_dwordx4 s[20:23], s[0:1], 0x0
	v_subrev_co_u32_e32 v2, vcc, s44, v36
	s_nop 1
	v_subb_co_u32_e64 v3, s[0:1], 0, 0, vcc
	s_waitcnt lgkmcnt(0)
	s_sub_u32 s0, s22, s44
	s_subb_u32 s1, s23, 0
	v_lshl_add_u64 v[14:15], s[20:21], 0, v[2:3]
	v_cmp_gt_i64_e32 vcc, s[0:1], v[14:15]
	s_and_saveexec_b64 s[2:3], vcc
	s_cbranch_execz .LBB151_27
; %bb.10:
	v_and_b32_e32 v2, 63, v0
	v_subrev_co_u32_e32 v16, vcc, s45, v2
	s_mov_b32 s33, s45
	s_nop 0
	v_subb_co_u32_e64 v17, s[4:5], 0, 0, vcc
	s_mov_b64 s[4:5], 0
	s_movk_i32 s45, 0x89
	s_branch .LBB151_12
.LBB151_11:                             ;   in Loop: Header=BB151_12 Depth=1
	s_or_b64 exec, exec, s[8:9]
	v_lshl_add_u64 v[14:15], v[14:15], 0, 16
	v_cmp_le_i64_e32 vcc, s[0:1], v[14:15]
	s_or_b64 s[4:5], vcc, s[4:5]
	s_andn2_b64 exec, exec, s[4:5]
	s_cbranch_execz .LBB151_27
.LBB151_12:                             ; =>This Loop Header: Depth=1
                                        ;     Child Loop BB151_16 Depth 2
                                        ;       Child Loop BB151_19 Depth 3
	v_lshl_add_u64 v[2:3], v[14:15], 3, s[10:11]
	global_load_dwordx2 v[2:3], v[2:3], off
	s_waitcnt vmcnt(0)
	v_subrev_co_u32_e32 v2, vcc, s44, v2
	s_nop 1
	v_subbrev_co_u32_e32 v3, vcc, 0, v3, vcc
	v_lshl_add_u64 v[2:3], v[2:3], 3, s[14:15]
	global_load_dwordx4 v[2:5], v[2:3], off
	s_waitcnt vmcnt(0)
	v_subrev_co_u32_e32 v18, vcc, s33, v4
	s_nop 1
	v_subbrev_co_u32_e32 v19, vcc, 0, v5, vcc
	v_lshl_add_u64 v[20:21], v[2:3], 0, v[16:17]
	v_cmp_lt_i64_e32 vcc, v[20:21], v[18:19]
	s_and_saveexec_b64 s[8:9], vcc
	s_cbranch_execz .LBB151_11
; %bb.13:                               ;   in Loop: Header=BB151_12 Depth=1
	v_lshl_add_u64 v[2:3], v[14:15], 4, s[12:13]
	global_load_dwordx4 v[2:5], v[2:3], off
	s_mov_b64 s[20:21], 0
	s_waitcnt vmcnt(0)
	v_mul_f64 v[22:23], v[4:5], -v[12:13]
	v_mul_f64 v[24:25], v[10:11], v[4:5]
	v_fmac_f64_e32 v[22:23], v[10:11], v[2:3]
	v_fmac_f64_e32 v[24:25], v[12:13], v[2:3]
	s_branch .LBB151_16
.LBB151_14:                             ;   in Loop: Header=BB151_16 Depth=2
	s_or_b64 exec, exec, s[24:25]
.LBB151_15:                             ;   in Loop: Header=BB151_16 Depth=2
	s_or_b64 exec, exec, s[22:23]
	s_waitcnt vmcnt(0)
	v_mul_f64 v[28:29], v[4:5], -v[24:25]
	v_mul_f64 v[4:5], v[22:23], v[4:5]
	v_fmac_f64_e32 v[28:29], v[22:23], v[2:3]
	v_fmac_f64_e32 v[4:5], v[24:25], v[2:3]
	v_lshl_add_u32 v2, v26, 4, 0
	ds_add_f64 v2, v[28:29] offset:32768
	ds_add_f64 v2, v[4:5] offset:32776
	v_lshl_add_u64 v[20:21], v[20:21], 0, 64
	v_cmp_ge_i64_e32 vcc, v[20:21], v[18:19]
	s_or_b64 s[20:21], vcc, s[20:21]
	s_andn2_b64 exec, exec, s[20:21]
	s_cbranch_execz .LBB151_11
.LBB151_16:                             ;   Parent Loop BB151_12 Depth=1
                                        ; =>  This Loop Header: Depth=2
                                        ;       Child Loop BB151_19 Depth 3
	v_lshl_add_u64 v[2:3], v[20:21], 3, s[16:17]
	global_load_dwordx2 v[26:27], v[2:3], off
	v_lshl_add_u64 v[2:3], v[20:21], 4, s[18:19]
	global_load_dwordx4 v[2:5], v[2:3], off
	s_waitcnt vmcnt(1)
	v_subrev_co_u32_e32 v28, vcc, s33, v26
	v_mul_lo_u32 v26, v28, s45
	v_and_b32_e32 v26, 0xfff, v26
	v_lshl_add_u32 v37, v26, 3, 0
	ds_read_b64 v[32:33], v37
	v_subbrev_co_u32_e32 v29, vcc, 0, v27, vcc
	s_waitcnt lgkmcnt(0)
	v_cmp_ne_u64_e32 vcc, v[32:33], v[28:29]
	s_and_saveexec_b64 s[22:23], vcc
	s_cbranch_execz .LBB151_15
; %bb.17:                               ;   in Loop: Header=BB151_16 Depth=2
	s_mov_b64 s[24:25], 0
                                        ; implicit-def: $sgpr26_sgpr27
                                        ; implicit-def: $sgpr28_sgpr29
	s_branch .LBB151_19
.LBB151_18:                             ;   in Loop: Header=BB151_19 Depth=3
	s_or_b64 exec, exec, s[54:55]
	s_and_b64 s[30:31], exec, s[52:53]
	s_or_b64 s[24:25], s[30:31], s[24:25]
	s_andn2_b64 s[26:27], s[26:27], exec
	s_and_b64 s[30:31], s[28:29], exec
	s_or_b64 s[26:27], s[26:27], s[30:31]
	s_andn2_b64 exec, exec, s[24:25]
	s_cbranch_execz .LBB151_25
.LBB151_19:                             ;   Parent Loop BB151_12 Depth=1
                                        ;     Parent Loop BB151_16 Depth=2
                                        ; =>    This Inner Loop Header: Depth=3
	v_mov_b64_e32 v[30:31], v[26:27]
	v_cmp_ne_u64_e32 vcc, s[48:49], v[32:33]
	s_mov_b64 s[30:31], 0
                                        ; implicit-def: $vgpr26_vgpr27
	s_and_saveexec_b64 s[52:53], vcc
	s_xor_b64 s[52:53], exec, s[52:53]
; %bb.20:                               ;   in Loop: Header=BB151_19 Depth=3
	v_add_u32_e32 v26, 1, v30
	s_mov_b64 s[30:31], exec
	v_and_b32_e32 v26, 0xfff, v26
                                        ; implicit-def: $vgpr37
; %bb.21:                               ;   in Loop: Header=BB151_19 Depth=3
	s_andn2_saveexec_b64 s[52:53], s[52:53]
	s_cbranch_execz .LBB151_23
; %bb.22:                               ;   in Loop: Header=BB151_19 Depth=3
	v_mov_b64_e32 v[26:27], s[48:49]
	ds_cmpst_rtn_b64 v[26:27], v37, v[26:27], v[28:29]
	s_andn2_b64 s[30:31], s[30:31], exec
	s_waitcnt lgkmcnt(0)
	v_cmp_ne_u64_e32 vcc, s[48:49], v[26:27]
	s_and_b64 s[54:55], vcc, exec
	s_or_b64 s[30:31], s[30:31], s[54:55]
	v_mov_b64_e32 v[26:27], v[30:31]
.LBB151_23:                             ;   in Loop: Header=BB151_19 Depth=3
	s_or_b64 exec, exec, s[52:53]
	s_mov_b64 s[52:53], -1
	s_or_b64 s[28:29], s[28:29], exec
                                        ; implicit-def: $vgpr37
                                        ; implicit-def: $vgpr32_vgpr33
	s_and_saveexec_b64 s[54:55], s[30:31]
	s_cbranch_execz .LBB151_18
; %bb.24:                               ;   in Loop: Header=BB151_19 Depth=3
	v_lshl_add_u32 v37, v26, 3, 0
	ds_read_b64 v[32:33], v37
	s_andn2_b64 s[28:29], s[28:29], exec
	s_waitcnt lgkmcnt(0)
	v_cmp_eq_u64_e32 vcc, v[32:33], v[28:29]
	s_orn2_b64 s[52:53], vcc, exec
	s_branch .LBB151_18
.LBB151_25:                             ;   in Loop: Header=BB151_16 Depth=2
	s_or_b64 exec, exec, s[24:25]
	s_and_saveexec_b64 s[24:25], s[26:27]
	s_xor_b64 s[24:25], exec, s[24:25]
	s_cbranch_execz .LBB151_14
; %bb.26:                               ;   in Loop: Header=BB151_16 Depth=2
	v_mov_b32_e32 v26, v30
	s_branch .LBB151_14
.LBB151_27:
	s_or_b64 exec, exec, s[2:3]
.LBB151_28:
	s_andn2_b64 vcc, exec, s[6:7]
	s_cbranch_vccnz .LBB151_45
; %bb.29:
	s_waitcnt lgkmcnt(0)
	s_lshl_b64 s[0:1], s[50:51], 3
	s_add_u32 s0, s36, s0
	s_addc_u32 s1, s37, s1
	s_load_dwordx4 s[4:7], s[0:1], 0x0
	v_subrev_co_u32_e32 v2, vcc, s47, v0
	s_waitcnt lgkmcnt(0)
	s_sub_u32 s0, s6, s47
	v_subb_co_u32_e64 v3, s[2:3], 0, 0, vcc
	s_subb_u32 s1, s7, 0
	s_waitcnt vmcnt(0)
	v_lshl_add_u64 v[10:11], s[4:5], 0, v[2:3]
	v_cmp_gt_i64_e32 vcc, s[0:1], v[10:11]
	s_and_saveexec_b64 s[2:3], vcc
	s_cbranch_execz .LBB151_44
; %bb.30:
	s_mov_b32 s22, s47
	s_mov_b64 s[4:5], 0
	s_movk_i32 s23, 0x89
	s_mov_b64 s[6:7], 0x400
	s_branch .LBB151_33
.LBB151_31:                             ;   in Loop: Header=BB151_33 Depth=1
	s_or_b64 exec, exec, s[10:11]
.LBB151_32:                             ;   in Loop: Header=BB151_33 Depth=1
	s_or_b64 exec, exec, s[8:9]
	s_waitcnt vmcnt(0)
	v_mul_f64 v[14:15], v[4:5], -v[6:7]
	v_mul_f64 v[4:5], v[8:9], v[4:5]
	v_fmac_f64_e32 v[14:15], v[8:9], v[2:3]
	v_fmac_f64_e32 v[4:5], v[6:7], v[2:3]
	v_lshl_add_u32 v2, v12, 4, 0
	ds_add_f64 v2, v[14:15] offset:32768
	ds_add_f64 v2, v[4:5] offset:32776
	v_lshl_add_u64 v[10:11], v[10:11], 0, s[6:7]
	v_cmp_le_i64_e32 vcc, s[0:1], v[10:11]
	s_or_b64 s[4:5], vcc, s[4:5]
	s_andn2_b64 exec, exec, s[4:5]
	s_cbranch_execz .LBB151_44
.LBB151_33:                             ; =>This Loop Header: Depth=1
                                        ;     Child Loop BB151_36 Depth 2
	v_lshl_add_u64 v[2:3], v[10:11], 3, s[38:39]
	global_load_dwordx2 v[12:13], v[2:3], off
	v_lshl_add_u64 v[2:3], v[10:11], 4, s[40:41]
	global_load_dwordx4 v[2:5], v[2:3], off
	s_waitcnt vmcnt(1)
	v_subrev_co_u32_e32 v14, vcc, s22, v12
	v_mul_lo_u32 v12, v14, s23
	v_and_b32_e32 v12, 0xfff, v12
	v_lshl_add_u32 v20, v12, 3, 0
	ds_read_b64 v[18:19], v20
	v_subbrev_co_u32_e32 v15, vcc, 0, v13, vcc
	s_waitcnt lgkmcnt(0)
	v_cmp_ne_u64_e32 vcc, v[18:19], v[14:15]
	s_and_saveexec_b64 s[8:9], vcc
	s_cbranch_execz .LBB151_32
; %bb.34:                               ;   in Loop: Header=BB151_33 Depth=1
	s_mov_b64 s[10:11], 0
                                        ; implicit-def: $sgpr12_sgpr13
                                        ; implicit-def: $sgpr14_sgpr15
	s_branch .LBB151_36
.LBB151_35:                             ;   in Loop: Header=BB151_36 Depth=2
	s_or_b64 exec, exec, s[20:21]
	s_and_b64 s[16:17], exec, s[18:19]
	s_or_b64 s[10:11], s[16:17], s[10:11]
	s_andn2_b64 s[12:13], s[12:13], exec
	s_and_b64 s[16:17], s[14:15], exec
	s_or_b64 s[12:13], s[12:13], s[16:17]
	s_andn2_b64 exec, exec, s[10:11]
	s_cbranch_execz .LBB151_42
.LBB151_36:                             ;   Parent Loop BB151_33 Depth=1
                                        ; =>  This Inner Loop Header: Depth=2
	v_mov_b64_e32 v[16:17], v[12:13]
	v_cmp_ne_u64_e32 vcc, s[48:49], v[18:19]
	s_mov_b64 s[16:17], 0
                                        ; implicit-def: $vgpr12_vgpr13
	s_and_saveexec_b64 s[18:19], vcc
	s_xor_b64 s[18:19], exec, s[18:19]
; %bb.37:                               ;   in Loop: Header=BB151_36 Depth=2
	v_add_u32_e32 v12, 1, v16
	s_mov_b64 s[16:17], exec
	v_and_b32_e32 v12, 0xfff, v12
                                        ; implicit-def: $vgpr20
; %bb.38:                               ;   in Loop: Header=BB151_36 Depth=2
	s_andn2_saveexec_b64 s[18:19], s[18:19]
	s_cbranch_execz .LBB151_40
; %bb.39:                               ;   in Loop: Header=BB151_36 Depth=2
	v_mov_b64_e32 v[12:13], s[48:49]
	ds_cmpst_rtn_b64 v[12:13], v20, v[12:13], v[14:15]
	s_andn2_b64 s[16:17], s[16:17], exec
	s_waitcnt lgkmcnt(0)
	v_cmp_ne_u64_e32 vcc, s[48:49], v[12:13]
	s_and_b64 s[20:21], vcc, exec
	s_or_b64 s[16:17], s[16:17], s[20:21]
	v_mov_b64_e32 v[12:13], v[16:17]
.LBB151_40:                             ;   in Loop: Header=BB151_36 Depth=2
	s_or_b64 exec, exec, s[18:19]
	s_mov_b64 s[18:19], -1
	s_or_b64 s[14:15], s[14:15], exec
                                        ; implicit-def: $vgpr20
                                        ; implicit-def: $vgpr18_vgpr19
	s_and_saveexec_b64 s[20:21], s[16:17]
	s_cbranch_execz .LBB151_35
; %bb.41:                               ;   in Loop: Header=BB151_36 Depth=2
	v_lshl_add_u32 v20, v12, 3, 0
	ds_read_b64 v[18:19], v20
	s_andn2_b64 s[14:15], s[14:15], exec
	s_waitcnt lgkmcnt(0)
	v_cmp_eq_u64_e32 vcc, v[18:19], v[14:15]
	s_orn2_b64 s[18:19], vcc, exec
	s_branch .LBB151_35
.LBB151_42:                             ;   in Loop: Header=BB151_33 Depth=1
	s_or_b64 exec, exec, s[10:11]
	s_and_saveexec_b64 s[10:11], s[12:13]
	s_xor_b64 s[10:11], exec, s[10:11]
	s_cbranch_execz .LBB151_31
; %bb.43:                               ;   in Loop: Header=BB151_33 Depth=1
	v_mov_b32_e32 v12, v16
	s_branch .LBB151_31
.LBB151_44:
	s_or_b64 exec, exec, s[2:3]
.LBB151_45:
	v_mbcnt_lo_u32_b32 v2, -1, 0
	v_mbcnt_hi_u32_b32 v2, -1, v2
	v_sub_u32_e32 v2, 63, v2
	s_add_i32 s33, 0, 0x18000
	s_movk_i32 s0, 0x3ff
	s_movk_i32 s2, 0x7f
	;; [unrolled: 1-line block ×15, first 2 shown]
	s_add_i32 s61, 0, 0x18078
	v_mov_b32_e32 v3, 0
	v_lshrrev_b64 v[4:5], v2, -1
	s_waitcnt vmcnt(0)
	v_lshl_add_u32 v12, v36, 3, s33
	v_cmp_eq_u32_e32 vcc, s0, v0
	v_cmp_lt_u32_e64 s[0:1], 63, v0
	v_cmp_lt_u32_e64 s[2:3], s2, v0
	;; [unrolled: 1-line block ×15, first 2 shown]
	s_mov_b64 s[36:37], 0
	v_mov_b64_e32 v[6:7], 0
	s_add_i32 s40, 0, 0x18008
	s_add_i32 s41, 0, 0x18010
	;; [unrolled: 1-line block ×14, first 2 shown]
	v_mov_b32_e32 v13, s61
	s_movk_i32 s62, 0xbff
	s_waitcnt lgkmcnt(0)
	s_barrier
	s_branch .LBB151_47
.LBB151_46:                             ;   in Loop: Header=BB151_47 Depth=1
	s_or_b64 exec, exec, s[30:31]
	s_waitcnt lgkmcnt(0)
	s_barrier
	ds_read_b64 v[8:9], v13
	v_add_u32_e32 v34, 0x400, v34
	v_cmp_lt_u32_e64 s[30:31], s62, v34
	v_add_u32_e32 v1, 0x4000, v1
	s_or_b64 s[36:37], s[30:31], s[36:37]
	s_waitcnt lgkmcnt(0)
	v_lshl_add_u64 v[6:7], v[8:9], 0, v[6:7]
	v_add_u32_e32 v35, 0x2000, v35
	s_andn2_b64 exec, exec, s[36:37]
	s_cbranch_execz .LBB151_81
.LBB151_47:                             ; =>This Inner Loop Header: Depth=1
	ds_read2_b64 v[14:17], v1 offset1:1
	ds_read_b64 v[8:9], v35
	s_waitcnt lgkmcnt(1)
	scratch_store_dwordx4 off, v[14:17], off
	s_waitcnt lgkmcnt(0)
	v_cmp_gt_i64_e64 s[30:31], s[48:49], v[8:9]
	s_bcnt1_i32_b64 s38, s[30:31]
	v_mov_b32_e32 v2, s38
	v_and_b32_e32 v11, s30, v4
	v_and_b32_e32 v10, s31, v5
	v_bcnt_u32_b32 v11, v11, 0
	v_bcnt_u32_b32 v10, v10, v11
	s_barrier
	ds_write_b64 v12, v[2:3]
	s_waitcnt lgkmcnt(0)
	s_barrier
	s_and_saveexec_b64 s[38:39], s[0:1]
	s_cbranch_execnz .LBB151_64
; %bb.48:                               ;   in Loop: Header=BB151_47 Depth=1
	s_or_b64 exec, exec, s[38:39]
	s_and_saveexec_b64 s[38:39], s[2:3]
	s_cbranch_execnz .LBB151_65
.LBB151_49:                             ;   in Loop: Header=BB151_47 Depth=1
	s_or_b64 exec, exec, s[38:39]
	s_and_saveexec_b64 s[38:39], s[4:5]
	s_cbranch_execnz .LBB151_66
.LBB151_50:                             ;   in Loop: Header=BB151_47 Depth=1
	s_or_b64 exec, exec, s[38:39]
	s_and_saveexec_b64 s[38:39], s[6:7]
	s_cbranch_execnz .LBB151_67
.LBB151_51:                             ;   in Loop: Header=BB151_47 Depth=1
	s_or_b64 exec, exec, s[38:39]
	s_and_saveexec_b64 s[38:39], s[8:9]
	s_cbranch_execnz .LBB151_68
.LBB151_52:                             ;   in Loop: Header=BB151_47 Depth=1
	s_or_b64 exec, exec, s[38:39]
	s_and_saveexec_b64 s[38:39], s[10:11]
	s_cbranch_execnz .LBB151_69
.LBB151_53:                             ;   in Loop: Header=BB151_47 Depth=1
	s_or_b64 exec, exec, s[38:39]
	s_and_saveexec_b64 s[38:39], s[12:13]
	s_cbranch_execnz .LBB151_70
.LBB151_54:                             ;   in Loop: Header=BB151_47 Depth=1
	s_or_b64 exec, exec, s[38:39]
	s_and_saveexec_b64 s[38:39], s[14:15]
	s_cbranch_execnz .LBB151_71
.LBB151_55:                             ;   in Loop: Header=BB151_47 Depth=1
	s_or_b64 exec, exec, s[38:39]
	s_and_saveexec_b64 s[38:39], s[16:17]
	s_cbranch_execnz .LBB151_72
.LBB151_56:                             ;   in Loop: Header=BB151_47 Depth=1
	s_or_b64 exec, exec, s[38:39]
	s_and_saveexec_b64 s[38:39], s[18:19]
	s_cbranch_execnz .LBB151_73
.LBB151_57:                             ;   in Loop: Header=BB151_47 Depth=1
	s_or_b64 exec, exec, s[38:39]
	s_and_saveexec_b64 s[38:39], s[20:21]
	s_cbranch_execnz .LBB151_74
.LBB151_58:                             ;   in Loop: Header=BB151_47 Depth=1
	s_or_b64 exec, exec, s[38:39]
	s_and_saveexec_b64 s[38:39], s[22:23]
	s_cbranch_execnz .LBB151_75
.LBB151_59:                             ;   in Loop: Header=BB151_47 Depth=1
	s_or_b64 exec, exec, s[38:39]
	s_and_saveexec_b64 s[38:39], s[24:25]
	s_cbranch_execnz .LBB151_76
.LBB151_60:                             ;   in Loop: Header=BB151_47 Depth=1
	s_or_b64 exec, exec, s[38:39]
	s_and_saveexec_b64 s[38:39], s[26:27]
	s_cbranch_execnz .LBB151_77
.LBB151_61:                             ;   in Loop: Header=BB151_47 Depth=1
	s_or_b64 exec, exec, s[38:39]
	s_and_saveexec_b64 s[38:39], s[28:29]
	s_cbranch_execnz .LBB151_78
.LBB151_62:                             ;   in Loop: Header=BB151_47 Depth=1
	s_or_b64 exec, exec, s[38:39]
	v_ashrrev_i32_e32 v11, 31, v10
	s_and_saveexec_b64 s[38:39], s[30:31]
	s_cbranch_execnz .LBB151_79
.LBB151_63:                             ;   in Loop: Header=BB151_47 Depth=1
	s_or_b64 exec, exec, s[38:39]
	s_and_saveexec_b64 s[30:31], vcc
	s_cbranch_execz .LBB151_46
	s_branch .LBB151_80
.LBB151_64:                             ;   in Loop: Header=BB151_47 Depth=1
	v_mov_b32_e32 v2, s33
	ds_read_b32 v2, v2
	s_waitcnt lgkmcnt(0)
	v_add_u32_e32 v10, v2, v10
	s_or_b64 exec, exec, s[38:39]
	s_and_saveexec_b64 s[38:39], s[2:3]
	s_cbranch_execz .LBB151_49
.LBB151_65:                             ;   in Loop: Header=BB151_47 Depth=1
	v_mov_b32_e32 v2, s40
	ds_read_b32 v2, v2
	s_waitcnt lgkmcnt(0)
	v_add_u32_e32 v10, v10, v2
	s_or_b64 exec, exec, s[38:39]
	s_and_saveexec_b64 s[38:39], s[4:5]
	s_cbranch_execz .LBB151_50
.LBB151_66:                             ;   in Loop: Header=BB151_47 Depth=1
	v_mov_b32_e32 v2, s41
	ds_read_b32 v2, v2
	s_waitcnt lgkmcnt(0)
	v_add_u32_e32 v10, v10, v2
	s_or_b64 exec, exec, s[38:39]
	s_and_saveexec_b64 s[38:39], s[6:7]
	s_cbranch_execz .LBB151_51
.LBB151_67:                             ;   in Loop: Header=BB151_47 Depth=1
	v_mov_b32_e32 v2, s44
	ds_read_b32 v2, v2
	s_waitcnt lgkmcnt(0)
	v_add_u32_e32 v10, v10, v2
	s_or_b64 exec, exec, s[38:39]
	s_and_saveexec_b64 s[38:39], s[8:9]
	s_cbranch_execz .LBB151_52
.LBB151_68:                             ;   in Loop: Header=BB151_47 Depth=1
	v_mov_b32_e32 v2, s45
	ds_read_b32 v2, v2
	s_waitcnt lgkmcnt(0)
	v_add_u32_e32 v10, v10, v2
	s_or_b64 exec, exec, s[38:39]
	s_and_saveexec_b64 s[38:39], s[10:11]
	s_cbranch_execz .LBB151_53
.LBB151_69:                             ;   in Loop: Header=BB151_47 Depth=1
	v_mov_b32_e32 v2, s47
	ds_read_b32 v2, v2
	s_waitcnt lgkmcnt(0)
	v_add_u32_e32 v10, v10, v2
	s_or_b64 exec, exec, s[38:39]
	s_and_saveexec_b64 s[38:39], s[12:13]
	s_cbranch_execz .LBB151_54
.LBB151_70:                             ;   in Loop: Header=BB151_47 Depth=1
	v_mov_b32_e32 v2, s52
	ds_read_b32 v2, v2
	s_waitcnt lgkmcnt(0)
	v_add_u32_e32 v10, v10, v2
	s_or_b64 exec, exec, s[38:39]
	s_and_saveexec_b64 s[38:39], s[14:15]
	s_cbranch_execz .LBB151_55
.LBB151_71:                             ;   in Loop: Header=BB151_47 Depth=1
	v_mov_b32_e32 v2, s53
	ds_read_b32 v2, v2
	s_waitcnt lgkmcnt(0)
	v_add_u32_e32 v10, v10, v2
	s_or_b64 exec, exec, s[38:39]
	s_and_saveexec_b64 s[38:39], s[16:17]
	s_cbranch_execz .LBB151_56
.LBB151_72:                             ;   in Loop: Header=BB151_47 Depth=1
	v_mov_b32_e32 v2, s54
	ds_read_b32 v2, v2
	s_waitcnt lgkmcnt(0)
	v_add_u32_e32 v10, v10, v2
	s_or_b64 exec, exec, s[38:39]
	s_and_saveexec_b64 s[38:39], s[18:19]
	s_cbranch_execz .LBB151_57
.LBB151_73:                             ;   in Loop: Header=BB151_47 Depth=1
	v_mov_b32_e32 v2, s55
	ds_read_b32 v2, v2
	s_waitcnt lgkmcnt(0)
	v_add_u32_e32 v10, v10, v2
	s_or_b64 exec, exec, s[38:39]
	s_and_saveexec_b64 s[38:39], s[20:21]
	s_cbranch_execz .LBB151_58
.LBB151_74:                             ;   in Loop: Header=BB151_47 Depth=1
	v_mov_b32_e32 v2, s56
	ds_read_b32 v2, v2
	s_waitcnt lgkmcnt(0)
	v_add_u32_e32 v10, v10, v2
	s_or_b64 exec, exec, s[38:39]
	s_and_saveexec_b64 s[38:39], s[22:23]
	s_cbranch_execz .LBB151_59
.LBB151_75:                             ;   in Loop: Header=BB151_47 Depth=1
	v_mov_b32_e32 v2, s57
	ds_read_b32 v2, v2
	s_waitcnt lgkmcnt(0)
	v_add_u32_e32 v10, v10, v2
	s_or_b64 exec, exec, s[38:39]
	s_and_saveexec_b64 s[38:39], s[24:25]
	s_cbranch_execz .LBB151_60
.LBB151_76:                             ;   in Loop: Header=BB151_47 Depth=1
	v_mov_b32_e32 v2, s58
	ds_read_b32 v2, v2
	s_waitcnt lgkmcnt(0)
	v_add_u32_e32 v10, v10, v2
	s_or_b64 exec, exec, s[38:39]
	s_and_saveexec_b64 s[38:39], s[26:27]
	s_cbranch_execz .LBB151_61
.LBB151_77:                             ;   in Loop: Header=BB151_47 Depth=1
	v_mov_b32_e32 v2, s59
	ds_read_b32 v2, v2
	s_waitcnt lgkmcnt(0)
	v_add_u32_e32 v10, v10, v2
	s_or_b64 exec, exec, s[38:39]
	s_and_saveexec_b64 s[38:39], s[28:29]
	s_cbranch_execz .LBB151_62
.LBB151_78:                             ;   in Loop: Header=BB151_47 Depth=1
	v_mov_b32_e32 v2, s60
	ds_read_b32 v2, v2
	s_waitcnt lgkmcnt(0)
	v_add_u32_e32 v10, v10, v2
	s_or_b64 exec, exec, s[38:39]
	v_ashrrev_i32_e32 v11, 31, v10
	s_and_saveexec_b64 s[38:39], s[30:31]
	s_cbranch_execz .LBB151_63
.LBB151_79:                             ;   in Loop: Header=BB151_47 Depth=1
	scratch_load_dwordx4 v[14:17], off, off
	v_add3_u32 v2, v6, -1, v10
	v_add_u32_e32 v18, v6, v10
	v_lshl_add_u32 v2, v2, 3, 0
	v_lshl_add_u32 v18, v18, 4, 0
	v_add_u32_e32 v18, 0x7ff0, v18
	ds_write_b64 v2, v[8:9]
	s_waitcnt vmcnt(0)
	ds_write2_b64 v18, v[14:15], v[16:17] offset1:1
	s_or_b64 exec, exec, s[38:39]
	s_and_saveexec_b64 s[30:31], vcc
	s_cbranch_execz .LBB151_46
.LBB151_80:                             ;   in Loop: Header=BB151_47 Depth=1
	v_mov_b32_e32 v2, s61
	ds_write_b64 v2, v[10:11]
	s_branch .LBB151_46
.LBB151_81:
	s_or_b64 exec, exec, s[36:37]
	s_lshl_b64 s[0:1], s[50:51], 3
	s_add_u32 s4, s42, s0
	s_addc_u32 s5, s43, s1
	s_load_dwordx4 s[0:3], s[4:5], 0x0
	v_mov_b32_e32 v1, 0
	s_waitcnt lgkmcnt(0)
	s_sub_u32 s4, s2, s0
	s_subb_u32 s5, s3, s1
	v_cmp_gt_i64_e32 vcc, s[4:5], v[0:1]
	s_and_saveexec_b64 s[6:7], vcc
	s_cbranch_execz .LBB151_91
; %bb.82:
	s_sub_u32 s8, s0, s46
	s_subb_u32 s9, s1, 0
	s_and_b32 s6, s4, 7
	s_sub_u32 s0, s0, s2
	s_mov_b32 s7, 0
	s_subb_u32 s1, s1, s3
	s_and_b32 s10, s4, -8
	s_cmp_lg_u64 s[6:7], 0
	v_cmp_lt_u64_e64 s[0:1], s[0:1], -7
	s_cselect_b64 s[2:3], -1, 0
	s_mov_b32 s11, s5
	v_cndmask_b32_e64 v2, 0, 1, s[0:1]
	v_cmp_ne_u32_e64 s[0:1], 1, v2
	v_cndmask_b32_e64 v2, 0, 1, s[2:3]
	s_mov_b64 s[12:13], 0
	v_cmp_ne_u32_e64 s[2:3], 1, v2
	s_mov_b32 s18, 0x8000
	s_mov_b64 s[14:15], 0x400
	s_branch .LBB151_84
.LBB151_83:                             ;   in Loop: Header=BB151_84 Depth=1
	s_waitcnt lgkmcnt(0)
	v_lshlrev_b32_e32 v2, 3, v0
	v_add3_u32 v2, v6, v2, s18
	ds_read2_b64 v[6:9], v2 offset1:1
	v_lshl_add_u64 v[0:1], v[0:1], 0, s[14:15]
	v_cmp_le_i64_e32 vcc, s[4:5], v[0:1]
	v_lshl_add_u64 v[2:3], v[4:5], 4, s[34:35]
	s_or_b64 s[12:13], vcc, s[12:13]
	s_waitcnt lgkmcnt(0)
	global_store_dwordx4 v[2:3], v[6:9], off
	s_andn2_b64 exec, exec, s[12:13]
	s_cbranch_execz .LBB151_91
.LBB151_84:                             ; =>This Loop Header: Depth=1
                                        ;     Child Loop BB151_86 Depth 2
                                        ;     Child Loop BB151_90 Depth 2
	v_lshl_add_u32 v6, v0, 3, 0
	ds_read_b64 v[2:3], v6
	s_and_b64 vcc, exec, s[0:1]
	v_mov_b64_e32 v[4:5], s[8:9]
	s_mov_b64 s[16:17], 0
	s_cbranch_vccnz .LBB151_88
; %bb.85:                               ;   in Loop: Header=BB151_84 Depth=1
	s_mov_b32 s19, 0
	v_mov_b64_e32 v[4:5], s[8:9]
.LBB151_86:                             ;   Parent Loop BB151_84 Depth=1
                                        ; =>  This Inner Loop Header: Depth=2
	v_mov_b32_e32 v7, s19
	ds_read2_b64 v[8:11], v7 offset1:1
	ds_read2_b64 v[12:15], v7 offset0:2 offset1:3
	ds_read2_b64 v[16:19], v7 offset0:4 offset1:5
	;; [unrolled: 1-line block ×3, first 2 shown]
	v_mov_b32_e32 v25, s7
	s_waitcnt lgkmcnt(3)
	v_cmp_gt_i64_e32 vcc, v[2:3], v[8:9]
	v_mov_b32_e32 v27, s7
	v_mov_b32_e32 v29, s7
	v_cndmask_b32_e64 v24, 0, 1, vcc
	v_cmp_gt_i64_e32 vcc, v[2:3], v[10:11]
	v_lshl_add_u64 v[4:5], v[4:5], 0, v[24:25]
	v_mov_b32_e32 v31, s7
	v_cndmask_b32_e64 v26, 0, 1, vcc
	s_waitcnt lgkmcnt(2)
	v_cmp_gt_i64_e32 vcc, v[2:3], v[12:13]
	v_lshl_add_u64 v[4:5], v[4:5], 0, v[26:27]
	v_mov_b32_e32 v33, s7
	v_cndmask_b32_e64 v28, 0, 1, vcc
	v_cmp_gt_i64_e32 vcc, v[2:3], v[14:15]
	v_lshl_add_u64 v[4:5], v[4:5], 0, v[28:29]
	v_mov_b32_e32 v35, s7
	v_cndmask_b32_e64 v30, 0, 1, vcc
	s_waitcnt lgkmcnt(1)
	v_cmp_gt_i64_e32 vcc, v[2:3], v[16:17]
	v_lshl_add_u64 v[4:5], v[4:5], 0, v[30:31]
	v_mov_b32_e32 v37, s7
	v_cndmask_b32_e64 v32, 0, 1, vcc
	v_cmp_gt_i64_e32 vcc, v[2:3], v[18:19]
	v_lshl_add_u64 v[4:5], v[4:5], 0, v[32:33]
	s_add_u32 s16, s16, 8
	v_cndmask_b32_e64 v34, 0, 1, vcc
	s_waitcnt lgkmcnt(0)
	v_cmp_gt_i64_e32 vcc, v[2:3], v[20:21]
	v_lshl_add_u64 v[4:5], v[4:5], 0, v[34:35]
	v_mov_b32_e32 v39, s7
	v_cndmask_b32_e64 v36, 0, 1, vcc
	v_cmp_gt_i64_e32 vcc, v[2:3], v[22:23]
	s_addc_u32 s17, s17, 0
	s_add_i32 s19, s19, 64
	v_cndmask_b32_e64 v38, 0, 1, vcc
	v_lshl_add_u64 v[4:5], v[4:5], 0, v[36:37]
	s_cmp_eq_u64 s[10:11], s[16:17]
	v_lshl_add_u64 v[4:5], v[4:5], 0, v[38:39]
	s_cbranch_scc0 .LBB151_86
; %bb.87:                               ;   in Loop: Header=BB151_84 Depth=1
	s_mov_b64 s[16:17], s[10:11]
.LBB151_88:                             ;   in Loop: Header=BB151_84 Depth=1
	s_and_b64 vcc, exec, s[2:3]
	s_cbranch_vccnz .LBB151_83
; %bb.89:                               ;   in Loop: Header=BB151_84 Depth=1
	s_lshl_b32 s16, s16, 3
	s_add_i32 s19, s16, 0
	s_mov_b64 s[16:17], s[6:7]
.LBB151_90:                             ;   Parent Loop BB151_84 Depth=1
                                        ; =>  This Inner Loop Header: Depth=2
	v_mov_b32_e32 v7, s19
	ds_read_b64 v[10:11], v7
	s_add_i32 s19, s19, 8
	s_add_u32 s16, s16, -1
	v_mov_b32_e32 v9, s7
	s_addc_u32 s17, s17, -1
	s_waitcnt lgkmcnt(0)
	v_cmp_gt_i64_e32 vcc, v[2:3], v[10:11]
	s_cmp_lg_u64 s[16:17], 0
	s_nop 0
	v_cndmask_b32_e64 v8, 0, 1, vcc
	v_lshl_add_u64 v[4:5], v[4:5], 0, v[8:9]
	s_cbranch_scc1 .LBB151_90
	s_branch .LBB151_83
.LBB151_91:
	s_endpgm
	.section	.rodata,"a",@progbits
	.p2align	6, 0x0
	.amdhsa_kernel _ZN9rocsparseL41csrgemm_numeric_fill_block_per_row_kernelILj1024ELj64ELj4096ELj137ELj64Ell21rocsparse_complex_numIdEEEvT5_PKS3_S5_NS_24const_host_device_scalarIT6_EEPKT4_S5_PKS7_SB_S5_SD_S8_SB_S5_SD_SB_S5_PS7_21rocsparse_index_base_SF_SF_SF_bbb
		.amdhsa_group_segment_fixed_size 0
		.amdhsa_private_segment_fixed_size 40
		.amdhsa_kernarg_size 172
		.amdhsa_user_sgpr_count 2
		.amdhsa_user_sgpr_dispatch_ptr 0
		.amdhsa_user_sgpr_queue_ptr 0
		.amdhsa_user_sgpr_kernarg_segment_ptr 1
		.amdhsa_user_sgpr_dispatch_id 0
		.amdhsa_user_sgpr_kernarg_preload_length 0
		.amdhsa_user_sgpr_kernarg_preload_offset 0
		.amdhsa_user_sgpr_private_segment_size 0
		.amdhsa_uses_dynamic_stack 0
		.amdhsa_enable_private_segment 1
		.amdhsa_system_sgpr_workgroup_id_x 1
		.amdhsa_system_sgpr_workgroup_id_y 0
		.amdhsa_system_sgpr_workgroup_id_z 0
		.amdhsa_system_sgpr_workgroup_info 0
		.amdhsa_system_vgpr_workitem_id 0
		.amdhsa_next_free_vgpr 40
		.amdhsa_next_free_sgpr 63
		.amdhsa_accum_offset 40
		.amdhsa_reserve_vcc 1
		.amdhsa_float_round_mode_32 0
		.amdhsa_float_round_mode_16_64 0
		.amdhsa_float_denorm_mode_32 3
		.amdhsa_float_denorm_mode_16_64 3
		.amdhsa_dx10_clamp 1
		.amdhsa_ieee_mode 1
		.amdhsa_fp16_overflow 0
		.amdhsa_tg_split 0
		.amdhsa_exception_fp_ieee_invalid_op 0
		.amdhsa_exception_fp_denorm_src 0
		.amdhsa_exception_fp_ieee_div_zero 0
		.amdhsa_exception_fp_ieee_overflow 0
		.amdhsa_exception_fp_ieee_underflow 0
		.amdhsa_exception_fp_ieee_inexact 0
		.amdhsa_exception_int_div_zero 0
	.end_amdhsa_kernel
	.section	.text._ZN9rocsparseL41csrgemm_numeric_fill_block_per_row_kernelILj1024ELj64ELj4096ELj137ELj64Ell21rocsparse_complex_numIdEEEvT5_PKS3_S5_NS_24const_host_device_scalarIT6_EEPKT4_S5_PKS7_SB_S5_SD_S8_SB_S5_SD_SB_S5_PS7_21rocsparse_index_base_SF_SF_SF_bbb,"axG",@progbits,_ZN9rocsparseL41csrgemm_numeric_fill_block_per_row_kernelILj1024ELj64ELj4096ELj137ELj64Ell21rocsparse_complex_numIdEEEvT5_PKS3_S5_NS_24const_host_device_scalarIT6_EEPKT4_S5_PKS7_SB_S5_SD_S8_SB_S5_SD_SB_S5_PS7_21rocsparse_index_base_SF_SF_SF_bbb,comdat
.Lfunc_end151:
	.size	_ZN9rocsparseL41csrgemm_numeric_fill_block_per_row_kernelILj1024ELj64ELj4096ELj137ELj64Ell21rocsparse_complex_numIdEEEvT5_PKS3_S5_NS_24const_host_device_scalarIT6_EEPKT4_S5_PKS7_SB_S5_SD_S8_SB_S5_SD_SB_S5_PS7_21rocsparse_index_base_SF_SF_SF_bbb, .Lfunc_end151-_ZN9rocsparseL41csrgemm_numeric_fill_block_per_row_kernelILj1024ELj64ELj4096ELj137ELj64Ell21rocsparse_complex_numIdEEEvT5_PKS3_S5_NS_24const_host_device_scalarIT6_EEPKT4_S5_PKS7_SB_S5_SD_S8_SB_S5_SD_SB_S5_PS7_21rocsparse_index_base_SF_SF_SF_bbb
                                        ; -- End function
	.set _ZN9rocsparseL41csrgemm_numeric_fill_block_per_row_kernelILj1024ELj64ELj4096ELj137ELj64Ell21rocsparse_complex_numIdEEEvT5_PKS3_S5_NS_24const_host_device_scalarIT6_EEPKT4_S5_PKS7_SB_S5_SD_S8_SB_S5_SD_SB_S5_PS7_21rocsparse_index_base_SF_SF_SF_bbb.num_vgpr, 40
	.set _ZN9rocsparseL41csrgemm_numeric_fill_block_per_row_kernelILj1024ELj64ELj4096ELj137ELj64Ell21rocsparse_complex_numIdEEEvT5_PKS3_S5_NS_24const_host_device_scalarIT6_EEPKT4_S5_PKS7_SB_S5_SD_S8_SB_S5_SD_SB_S5_PS7_21rocsparse_index_base_SF_SF_SF_bbb.num_agpr, 0
	.set _ZN9rocsparseL41csrgemm_numeric_fill_block_per_row_kernelILj1024ELj64ELj4096ELj137ELj64Ell21rocsparse_complex_numIdEEEvT5_PKS3_S5_NS_24const_host_device_scalarIT6_EEPKT4_S5_PKS7_SB_S5_SD_S8_SB_S5_SD_SB_S5_PS7_21rocsparse_index_base_SF_SF_SF_bbb.numbered_sgpr, 63
	.set _ZN9rocsparseL41csrgemm_numeric_fill_block_per_row_kernelILj1024ELj64ELj4096ELj137ELj64Ell21rocsparse_complex_numIdEEEvT5_PKS3_S5_NS_24const_host_device_scalarIT6_EEPKT4_S5_PKS7_SB_S5_SD_S8_SB_S5_SD_SB_S5_PS7_21rocsparse_index_base_SF_SF_SF_bbb.num_named_barrier, 0
	.set _ZN9rocsparseL41csrgemm_numeric_fill_block_per_row_kernelILj1024ELj64ELj4096ELj137ELj64Ell21rocsparse_complex_numIdEEEvT5_PKS3_S5_NS_24const_host_device_scalarIT6_EEPKT4_S5_PKS7_SB_S5_SD_S8_SB_S5_SD_SB_S5_PS7_21rocsparse_index_base_SF_SF_SF_bbb.private_seg_size, 40
	.set _ZN9rocsparseL41csrgemm_numeric_fill_block_per_row_kernelILj1024ELj64ELj4096ELj137ELj64Ell21rocsparse_complex_numIdEEEvT5_PKS3_S5_NS_24const_host_device_scalarIT6_EEPKT4_S5_PKS7_SB_S5_SD_S8_SB_S5_SD_SB_S5_PS7_21rocsparse_index_base_SF_SF_SF_bbb.uses_vcc, 1
	.set _ZN9rocsparseL41csrgemm_numeric_fill_block_per_row_kernelILj1024ELj64ELj4096ELj137ELj64Ell21rocsparse_complex_numIdEEEvT5_PKS3_S5_NS_24const_host_device_scalarIT6_EEPKT4_S5_PKS7_SB_S5_SD_S8_SB_S5_SD_SB_S5_PS7_21rocsparse_index_base_SF_SF_SF_bbb.uses_flat_scratch, 0
	.set _ZN9rocsparseL41csrgemm_numeric_fill_block_per_row_kernelILj1024ELj64ELj4096ELj137ELj64Ell21rocsparse_complex_numIdEEEvT5_PKS3_S5_NS_24const_host_device_scalarIT6_EEPKT4_S5_PKS7_SB_S5_SD_S8_SB_S5_SD_SB_S5_PS7_21rocsparse_index_base_SF_SF_SF_bbb.has_dyn_sized_stack, 0
	.set _ZN9rocsparseL41csrgemm_numeric_fill_block_per_row_kernelILj1024ELj64ELj4096ELj137ELj64Ell21rocsparse_complex_numIdEEEvT5_PKS3_S5_NS_24const_host_device_scalarIT6_EEPKT4_S5_PKS7_SB_S5_SD_S8_SB_S5_SD_SB_S5_PS7_21rocsparse_index_base_SF_SF_SF_bbb.has_recursion, 0
	.set _ZN9rocsparseL41csrgemm_numeric_fill_block_per_row_kernelILj1024ELj64ELj4096ELj137ELj64Ell21rocsparse_complex_numIdEEEvT5_PKS3_S5_NS_24const_host_device_scalarIT6_EEPKT4_S5_PKS7_SB_S5_SD_S8_SB_S5_SD_SB_S5_PS7_21rocsparse_index_base_SF_SF_SF_bbb.has_indirect_call, 0
	.section	.AMDGPU.csdata,"",@progbits
; Kernel info:
; codeLenInByte = 3612
; TotalNumSgprs: 69
; NumVgprs: 40
; NumAgprs: 0
; TotalNumVgprs: 40
; ScratchSize: 40
; MemoryBound: 0
; FloatMode: 240
; IeeeMode: 1
; LDSByteSize: 0 bytes/workgroup (compile time only)
; SGPRBlocks: 8
; VGPRBlocks: 4
; NumSGPRsForWavesPerEU: 69
; NumVGPRsForWavesPerEU: 40
; AccumOffset: 40
; Occupancy: 8
; WaveLimiterHint : 1
; COMPUTE_PGM_RSRC2:SCRATCH_EN: 1
; COMPUTE_PGM_RSRC2:USER_SGPR: 2
; COMPUTE_PGM_RSRC2:TRAP_HANDLER: 0
; COMPUTE_PGM_RSRC2:TGID_X_EN: 1
; COMPUTE_PGM_RSRC2:TGID_Y_EN: 0
; COMPUTE_PGM_RSRC2:TGID_Z_EN: 0
; COMPUTE_PGM_RSRC2:TIDIG_COMP_CNT: 0
; COMPUTE_PGM_RSRC3_GFX90A:ACCUM_OFFSET: 9
; COMPUTE_PGM_RSRC3_GFX90A:TG_SPLIT: 0
	.section	.text._ZN9rocsparseL41csrgemm_numeric_fill_block_per_row_kernelILj1024ELj64ELj8192ELj137ELj32Ell21rocsparse_complex_numIdEEEvT5_PKS3_S5_NS_24const_host_device_scalarIT6_EEPKT4_S5_PKS7_SB_S5_SD_S8_SB_S5_SD_SB_S5_PS7_21rocsparse_index_base_SF_SF_SF_bbb,"axG",@progbits,_ZN9rocsparseL41csrgemm_numeric_fill_block_per_row_kernelILj1024ELj64ELj8192ELj137ELj32Ell21rocsparse_complex_numIdEEEvT5_PKS3_S5_NS_24const_host_device_scalarIT6_EEPKT4_S5_PKS7_SB_S5_SD_S8_SB_S5_SD_SB_S5_PS7_21rocsparse_index_base_SF_SF_SF_bbb,comdat
	.globl	_ZN9rocsparseL41csrgemm_numeric_fill_block_per_row_kernelILj1024ELj64ELj8192ELj137ELj32Ell21rocsparse_complex_numIdEEEvT5_PKS3_S5_NS_24const_host_device_scalarIT6_EEPKT4_S5_PKS7_SB_S5_SD_S8_SB_S5_SD_SB_S5_PS7_21rocsparse_index_base_SF_SF_SF_bbb ; -- Begin function _ZN9rocsparseL41csrgemm_numeric_fill_block_per_row_kernelILj1024ELj64ELj8192ELj137ELj32Ell21rocsparse_complex_numIdEEEvT5_PKS3_S5_NS_24const_host_device_scalarIT6_EEPKT4_S5_PKS7_SB_S5_SD_S8_SB_S5_SD_SB_S5_PS7_21rocsparse_index_base_SF_SF_SF_bbb
	.p2align	8
	.type	_ZN9rocsparseL41csrgemm_numeric_fill_block_per_row_kernelILj1024ELj64ELj8192ELj137ELj32Ell21rocsparse_complex_numIdEEEvT5_PKS3_S5_NS_24const_host_device_scalarIT6_EEPKT4_S5_PKS7_SB_S5_SD_S8_SB_S5_SD_SB_S5_PS7_21rocsparse_index_base_SF_SF_SF_bbb,@function
_ZN9rocsparseL41csrgemm_numeric_fill_block_per_row_kernelILj1024ELj64ELj8192ELj137ELj32Ell21rocsparse_complex_numIdEEEvT5_PKS3_S5_NS_24const_host_device_scalarIT6_EEPKT4_S5_PKS7_SB_S5_SD_S8_SB_S5_SD_SB_S5_PS7_21rocsparse_index_base_SF_SF_SF_bbb: ; @_ZN9rocsparseL41csrgemm_numeric_fill_block_per_row_kernelILj1024ELj64ELj8192ELj137ELj32Ell21rocsparse_complex_numIdEEEvT5_PKS3_S5_NS_24const_host_device_scalarIT6_EEPKT4_S5_PKS7_SB_S5_SD_S8_SB_S5_SD_SB_S5_PS7_21rocsparse_index_base_SF_SF_SF_bbb
; %bb.0:
	s_load_dword s3, s[0:1], 0xa8
	s_load_dwordx8 s[8:15], s[0:1], 0x8
	s_load_dwordx4 s[44:47], s[0:1], 0x98
	s_load_dwordx4 s[16:19], s[0:1], 0x58
	v_mov_b64_e32 v[6:7], 0
	v_mov_b64_e32 v[10:11], 0
	s_waitcnt lgkmcnt(0)
	s_bitcmp1_b32 s3, 0
	s_cselect_b64 s[6:7], -1, 0
	s_bitcmp1_b32 s3, 16
	s_cselect_b64 s[20:21], -1, 0
	s_xor_b64 s[4:5], s[20:21], -1
	v_mov_b64_e32 v[2:3], s[12:13]
	v_cndmask_b32_e64 v1, 0, 1, s[4:5]
	scratch_store_dwordx2 off, v[2:3], off offset:16
	v_mov_b64_e32 v[2:3], s[16:17]
	s_bitcmp0_b32 s3, 0
	v_cmp_ne_u32_e64 s[4:5], 1, v1
	v_mov_b64_e32 v[12:13], 0
	scratch_store_dwordx2 off, v[2:3], off offset:24
	s_cbranch_scc1 .LBB152_3
; %bb.1:
	s_mov_b64 s[22:23], src_private_base
	s_and_b64 s[24:25], s[20:21], exec
	s_cselect_b32 s22, s23, s13
	s_cselect_b32 s23, 16, s12
	v_mov_b32_e32 v2, s23
	v_mov_b32_e32 v3, s22
	flat_load_dwordx2 v[10:11], v[2:3]
	s_and_b64 vcc, exec, s[4:5]
	v_mov_b64_e32 v[12:13], s[14:15]
	s_cbranch_vccnz .LBB152_3
; %bb.2:
	v_mov_b64_e32 v[2:3], s[12:13]
	flat_load_dwordx2 v[12:13], v[2:3] offset:8
.LBB152_3:
	s_bitcmp1_b32 s3, 8
	s_cselect_b64 s[12:13], -1, 0
	s_bfe_u32 s3, s3, 0x10008
	s_cmp_eq_u32 s3, 0
	v_mov_b64_e32 v[8:9], 0
	s_cbranch_scc1 .LBB152_6
; %bb.4:
	s_mov_b64 s[14:15], src_private_base
	s_and_b64 s[20:21], s[20:21], exec
	s_cselect_b32 s3, s15, s17
	s_cselect_b32 s14, 24, s16
	v_mov_b32_e32 v2, s14
	v_mov_b32_e32 v3, s3
	flat_load_dwordx2 v[8:9], v[2:3]
	s_and_b64 vcc, exec, s[4:5]
	v_mov_b64_e32 v[6:7], s[18:19]
	s_cbranch_vccnz .LBB152_6
; %bb.5:
	v_mov_b64_e32 v[2:3], s[16:17]
	flat_load_dwordx2 v[6:7], v[2:3] offset:8
.LBB152_6:
	s_load_dwordx2 s[68:69], s[0:1], 0x0
	s_mov_b32 s4, 0
	v_lshl_add_u32 v34, v0, 4, 0
	v_lshl_add_u32 v1, v0, 3, 0
	v_add_u32_e32 v18, 0x10000, v34
	s_waitcnt lgkmcnt(0)
	v_mov_b64_e32 v[2:3], s[68:69]
	s_mov_b32 s5, s4
	s_mov_b32 s14, s4
	;; [unrolled: 1-line block ×3, first 2 shown]
	v_mov_b64_e32 v[16:17], s[68:69]
	v_mov_b64_e32 v[4:5], s[4:5]
	;; [unrolled: 1-line block ×3, first 2 shown]
	ds_write2st64_b64 v1, v[2:3], v[16:17] offset1:16
	v_add_u32_e32 v2, 0x4000, v18
	v_add_u32_e32 v16, 0x8000, v18
	ds_write2_b64 v2, v[4:5], v[14:15] offset1:1
	v_mov_b64_e32 v[2:3], s[68:69]
	ds_write2_b64 v16, v[4:5], v[14:15] offset1:1
	v_mov_b64_e32 v[16:17], s[68:69]
	ds_write2st64_b64 v1, v[2:3], v[16:17] offset0:32 offset1:48
	v_add_u32_e32 v2, 0xc000, v18
	v_add_u32_e32 v16, 0x20000, v34
	ds_write2_b64 v2, v[4:5], v[14:15] offset1:1
	v_mov_b64_e32 v[2:3], s[68:69]
	ds_write2_b64 v16, v[4:5], v[14:15] offset1:1
	v_mov_b64_e32 v[16:17], s[68:69]
	ds_write2st64_b64 v1, v[2:3], v[16:17] offset0:64 offset1:80
	v_add_u32_e32 v2, 0x24000, v34
	v_add_u32_e32 v16, 0x28000, v34
	ds_write2_b64 v2, v[4:5], v[14:15] offset1:1
	v_mov_b64_e32 v[2:3], s[68:69]
	ds_write2_b64 v16, v[4:5], v[14:15] offset1:1
	v_mov_b64_e32 v[16:17], s[68:69]
	ds_write2st64_b64 v1, v[2:3], v[16:17] offset0:96 offset1:112
	v_add_u32_e32 v2, 0x2c000, v34
	ds_write2_b64 v18, v[4:5], v[14:15] offset1:1
	ds_write2_b64 v2, v[4:5], v[14:15] offset1:1
	s_waitcnt lgkmcnt(0)
	s_barrier
	s_load_dwordx2 s[8:9], s[8:9], 0x0
	s_mov_b32 s3, s4
	s_waitcnt lgkmcnt(0)
	s_lshl_b64 s[4:5], s[8:9], 3
	s_add_u32 s4, s10, s4
	s_addc_u32 s5, s11, s5
	s_lshl_b64 s[2:3], s[2:3], 3
	s_add_u32 s2, s4, s2
	s_addc_u32 s3, s5, s3
	s_load_dwordx2 s[42:43], s[2:3], 0x0
	s_andn2_b64 vcc, exec, s[6:7]
	s_cbranch_vccnz .LBB152_26
; %bb.7:
	s_load_dwordx2 s[2:3], s[0:1], 0x28
	s_waitcnt lgkmcnt(0)
	s_lshl_b64 s[4:5], s[42:43], 3
	v_lshrrev_b32_e32 v2, 6, v0
	v_subrev_co_u32_e32 v2, vcc, s44, v2
	s_add_u32 s2, s2, s4
	s_addc_u32 s3, s3, s5
	s_load_dwordx4 s[4:7], s[2:3], 0x0
	v_subb_co_u32_e64 v3, s[2:3], 0, 0, vcc
	s_waitcnt lgkmcnt(0)
	s_sub_u32 s2, s6, s44
	s_subb_u32 s3, s7, 0
	v_lshl_add_u64 v[14:15], s[4:5], 0, v[2:3]
	v_cmp_gt_i64_e32 vcc, s[2:3], v[14:15]
	s_and_saveexec_b64 s[14:15], vcc
	s_cbranch_execz .LBB152_25
; %bb.8:
	s_load_dwordx2 s[16:17], s[0:1], 0x50
	s_load_dwordx8 s[4:11], s[0:1], 0x30
	v_and_b32_e32 v2, 63, v0
	v_subrev_co_u32_e32 v16, vcc, s45, v2
	s_mov_b32 s33, s45
	s_nop 0
	v_subb_co_u32_e64 v17, s[18:19], 0, 0, vcc
	s_mov_b64 s[18:19], 0
	s_movk_i32 s40, 0x89
	s_branch .LBB152_10
.LBB152_9:                              ;   in Loop: Header=BB152_10 Depth=1
	s_or_b64 exec, exec, s[20:21]
	v_lshl_add_u64 v[14:15], v[14:15], 0, 16
	v_cmp_le_i64_e32 vcc, s[2:3], v[14:15]
	s_or_b64 s[18:19], vcc, s[18:19]
	s_andn2_b64 exec, exec, s[18:19]
	s_cbranch_execz .LBB152_25
.LBB152_10:                             ; =>This Loop Header: Depth=1
                                        ;     Child Loop BB152_14 Depth 2
                                        ;       Child Loop BB152_17 Depth 3
	s_waitcnt lgkmcnt(0)
	v_lshl_add_u64 v[2:3], v[14:15], 3, s[4:5]
	global_load_dwordx2 v[2:3], v[2:3], off
	s_waitcnt vmcnt(0)
	v_subrev_co_u32_e32 v2, vcc, s44, v2
	s_nop 1
	v_subbrev_co_u32_e32 v3, vcc, 0, v3, vcc
	v_lshl_add_u64 v[2:3], v[2:3], 3, s[8:9]
	global_load_dwordx4 v[2:5], v[2:3], off
	s_waitcnt vmcnt(0)
	v_subrev_co_u32_e32 v18, vcc, s33, v4
	s_nop 1
	v_subbrev_co_u32_e32 v19, vcc, 0, v5, vcc
	v_lshl_add_u64 v[20:21], v[2:3], 0, v[16:17]
	v_cmp_lt_i64_e32 vcc, v[20:21], v[18:19]
	s_and_saveexec_b64 s[20:21], vcc
	s_cbranch_execz .LBB152_9
; %bb.11:                               ;   in Loop: Header=BB152_10 Depth=1
	v_lshl_add_u64 v[2:3], v[14:15], 4, s[6:7]
	global_load_dwordx4 v[2:5], v[2:3], off
	s_mov_b64 s[22:23], 0
	s_waitcnt vmcnt(0)
	v_mul_f64 v[22:23], v[4:5], -v[12:13]
	v_mul_f64 v[24:25], v[10:11], v[4:5]
	v_fmac_f64_e32 v[22:23], v[10:11], v[2:3]
	v_fmac_f64_e32 v[24:25], v[12:13], v[2:3]
	s_branch .LBB152_14
.LBB152_12:                             ;   in Loop: Header=BB152_14 Depth=2
	s_or_b64 exec, exec, s[26:27]
.LBB152_13:                             ;   in Loop: Header=BB152_14 Depth=2
	s_or_b64 exec, exec, s[24:25]
	s_waitcnt vmcnt(0)
	v_mul_f64 v[28:29], v[4:5], -v[24:25]
	v_mul_f64 v[4:5], v[22:23], v[4:5]
	v_fmac_f64_e32 v[28:29], v[22:23], v[2:3]
	v_fmac_f64_e32 v[4:5], v[24:25], v[2:3]
	v_lshl_add_u32 v2, v26, 4, 0
	v_add_u32_e32 v2, 0x10000, v2
	ds_add_f64 v2, v[28:29]
	ds_add_f64 v2, v[4:5] offset:8
	v_lshl_add_u64 v[20:21], v[20:21], 0, 64
	v_cmp_ge_i64_e32 vcc, v[20:21], v[18:19]
	s_or_b64 s[22:23], vcc, s[22:23]
	s_andn2_b64 exec, exec, s[22:23]
	s_cbranch_execz .LBB152_9
.LBB152_14:                             ;   Parent Loop BB152_10 Depth=1
                                        ; =>  This Loop Header: Depth=2
                                        ;       Child Loop BB152_17 Depth 3
	v_lshl_add_u64 v[2:3], v[20:21], 3, s[10:11]
	global_load_dwordx2 v[26:27], v[2:3], off
	v_lshl_add_u64 v[2:3], v[20:21], 4, s[16:17]
	global_load_dwordx4 v[2:5], v[2:3], off
	s_waitcnt vmcnt(1)
	v_subrev_co_u32_e32 v28, vcc, s33, v26
	v_mul_lo_u32 v26, v28, s40
	v_and_b32_e32 v26, 0x1fff, v26
	v_lshl_add_u32 v35, v26, 3, 0
	ds_read_b64 v[32:33], v35
	v_subbrev_co_u32_e32 v29, vcc, 0, v27, vcc
	s_waitcnt lgkmcnt(0)
	v_cmp_ne_u64_e32 vcc, v[32:33], v[28:29]
	s_and_saveexec_b64 s[24:25], vcc
	s_cbranch_execz .LBB152_13
; %bb.15:                               ;   in Loop: Header=BB152_14 Depth=2
	s_mov_b64 s[26:27], 0
                                        ; implicit-def: $sgpr28_sgpr29
                                        ; implicit-def: $sgpr30_sgpr31
	s_branch .LBB152_17
.LBB152_16:                             ;   in Loop: Header=BB152_17 Depth=3
	s_or_b64 exec, exec, s[38:39]
	s_and_b64 s[34:35], exec, s[36:37]
	s_or_b64 s[26:27], s[34:35], s[26:27]
	s_andn2_b64 s[28:29], s[28:29], exec
	s_and_b64 s[34:35], s[30:31], exec
	s_or_b64 s[28:29], s[28:29], s[34:35]
	s_andn2_b64 exec, exec, s[26:27]
	s_cbranch_execz .LBB152_23
.LBB152_17:                             ;   Parent Loop BB152_10 Depth=1
                                        ;     Parent Loop BB152_14 Depth=2
                                        ; =>    This Inner Loop Header: Depth=3
	v_mov_b64_e32 v[30:31], v[26:27]
	v_cmp_ne_u64_e32 vcc, s[68:69], v[32:33]
	s_mov_b64 s[34:35], 0
                                        ; implicit-def: $vgpr26_vgpr27
	s_and_saveexec_b64 s[36:37], vcc
	s_xor_b64 s[36:37], exec, s[36:37]
; %bb.18:                               ;   in Loop: Header=BB152_17 Depth=3
	v_add_u32_e32 v26, 1, v30
	s_mov_b64 s[34:35], exec
	v_and_b32_e32 v26, 0x1fff, v26
                                        ; implicit-def: $vgpr35
; %bb.19:                               ;   in Loop: Header=BB152_17 Depth=3
	s_andn2_saveexec_b64 s[36:37], s[36:37]
	s_cbranch_execz .LBB152_21
; %bb.20:                               ;   in Loop: Header=BB152_17 Depth=3
	v_mov_b64_e32 v[26:27], s[68:69]
	ds_cmpst_rtn_b64 v[26:27], v35, v[26:27], v[28:29]
	s_andn2_b64 s[34:35], s[34:35], exec
	s_waitcnt lgkmcnt(0)
	v_cmp_ne_u64_e32 vcc, s[68:69], v[26:27]
	s_and_b64 s[38:39], vcc, exec
	s_or_b64 s[34:35], s[34:35], s[38:39]
	v_mov_b64_e32 v[26:27], v[30:31]
.LBB152_21:                             ;   in Loop: Header=BB152_17 Depth=3
	s_or_b64 exec, exec, s[36:37]
	s_mov_b64 s[36:37], -1
	s_or_b64 s[30:31], s[30:31], exec
                                        ; implicit-def: $vgpr35
                                        ; implicit-def: $vgpr32_vgpr33
	s_and_saveexec_b64 s[38:39], s[34:35]
	s_cbranch_execz .LBB152_16
; %bb.22:                               ;   in Loop: Header=BB152_17 Depth=3
	v_lshl_add_u32 v35, v26, 3, 0
	ds_read_b64 v[32:33], v35
	s_andn2_b64 s[30:31], s[30:31], exec
	s_waitcnt lgkmcnt(0)
	v_cmp_eq_u64_e32 vcc, v[32:33], v[28:29]
	s_orn2_b64 s[36:37], vcc, exec
	s_branch .LBB152_16
.LBB152_23:                             ;   in Loop: Header=BB152_14 Depth=2
	s_or_b64 exec, exec, s[26:27]
	s_and_saveexec_b64 s[26:27], s[28:29]
	s_xor_b64 s[26:27], exec, s[26:27]
	s_cbranch_execz .LBB152_12
; %bb.24:                               ;   in Loop: Header=BB152_14 Depth=2
	v_mov_b32_e32 v26, v30
	s_branch .LBB152_12
.LBB152_25:
	s_or_b64 exec, exec, s[14:15]
.LBB152_26:
	s_load_dwordx2 s[28:29], s[0:1], 0x90
	s_load_dwordx2 s[2:3], s[0:1], 0x80
                                        ; implicit-def: $vgpr38 : SGPR spill to VGPR lane
	s_andn2_b64 vcc, exec, s[12:13]
	s_waitcnt lgkmcnt(0)
	v_writelane_b32 v38, s2, 0
	s_nop 1
	v_writelane_b32 v38, s3, 1
	s_cbranch_vccnz .LBB152_43
; %bb.27:
	s_load_dwordx2 s[2:3], s[0:1], 0x68
	s_lshl_b64 s[4:5], s[42:43], 3
	v_subrev_co_u32_e32 v2, vcc, s47, v0
	s_waitcnt lgkmcnt(0)
	s_add_u32 s2, s2, s4
	s_addc_u32 s3, s3, s5
	s_load_dwordx4 s[4:7], s[2:3], 0x0
	v_subb_co_u32_e64 v3, s[2:3], 0, 0, vcc
	s_waitcnt lgkmcnt(0)
	s_sub_u32 s2, s6, s47
	s_subb_u32 s3, s7, 0
	s_waitcnt vmcnt(0)
	v_lshl_add_u64 v[10:11], s[4:5], 0, v[2:3]
	v_cmp_gt_i64_e32 vcc, s[2:3], v[10:11]
	s_and_saveexec_b64 s[8:9], vcc
	s_cbranch_execz .LBB152_42
; %bb.28:
	s_load_dwordx4 s[4:7], s[0:1], 0x70
	s_mov_b32 s26, s47
	s_mov_b64 s[0:1], 0
	s_movk_i32 s27, 0x89
	s_mov_b64 s[10:11], 0x400
	s_branch .LBB152_31
.LBB152_29:                             ;   in Loop: Header=BB152_31 Depth=1
	s_or_b64 exec, exec, s[14:15]
.LBB152_30:                             ;   in Loop: Header=BB152_31 Depth=1
	s_or_b64 exec, exec, s[12:13]
	s_waitcnt vmcnt(0)
	v_mul_f64 v[14:15], v[4:5], -v[6:7]
	v_mul_f64 v[4:5], v[8:9], v[4:5]
	v_fmac_f64_e32 v[14:15], v[8:9], v[2:3]
	v_fmac_f64_e32 v[4:5], v[6:7], v[2:3]
	v_lshl_add_u32 v2, v12, 4, 0
	v_add_u32_e32 v2, 0x10000, v2
	ds_add_f64 v2, v[14:15]
	ds_add_f64 v2, v[4:5] offset:8
	v_lshl_add_u64 v[10:11], v[10:11], 0, s[10:11]
	v_cmp_le_i64_e32 vcc, s[2:3], v[10:11]
	s_or_b64 s[0:1], vcc, s[0:1]
	s_andn2_b64 exec, exec, s[0:1]
	s_cbranch_execz .LBB152_42
.LBB152_31:                             ; =>This Loop Header: Depth=1
                                        ;     Child Loop BB152_34 Depth 2
	s_waitcnt lgkmcnt(0)
	v_lshl_add_u64 v[2:3], v[10:11], 3, s[4:5]
	global_load_dwordx2 v[12:13], v[2:3], off
	v_lshl_add_u64 v[2:3], v[10:11], 4, s[6:7]
	global_load_dwordx4 v[2:5], v[2:3], off
	s_waitcnt vmcnt(1)
	v_subrev_co_u32_e32 v14, vcc, s26, v12
	v_mul_lo_u32 v12, v14, s27
	v_and_b32_e32 v12, 0x1fff, v12
	v_lshl_add_u32 v20, v12, 3, 0
	ds_read_b64 v[18:19], v20
	v_subbrev_co_u32_e32 v15, vcc, 0, v13, vcc
	s_waitcnt lgkmcnt(0)
	v_cmp_ne_u64_e32 vcc, v[18:19], v[14:15]
	s_and_saveexec_b64 s[12:13], vcc
	s_cbranch_execz .LBB152_30
; %bb.32:                               ;   in Loop: Header=BB152_31 Depth=1
	s_mov_b64 s[14:15], 0
                                        ; implicit-def: $sgpr16_sgpr17
                                        ; implicit-def: $sgpr18_sgpr19
	s_branch .LBB152_34
.LBB152_33:                             ;   in Loop: Header=BB152_34 Depth=2
	s_or_b64 exec, exec, s[24:25]
	s_and_b64 s[20:21], exec, s[22:23]
	s_or_b64 s[14:15], s[20:21], s[14:15]
	s_andn2_b64 s[16:17], s[16:17], exec
	s_and_b64 s[20:21], s[18:19], exec
	s_or_b64 s[16:17], s[16:17], s[20:21]
	s_andn2_b64 exec, exec, s[14:15]
	s_cbranch_execz .LBB152_40
.LBB152_34:                             ;   Parent Loop BB152_31 Depth=1
                                        ; =>  This Inner Loop Header: Depth=2
	v_mov_b64_e32 v[16:17], v[12:13]
	v_cmp_ne_u64_e32 vcc, s[68:69], v[18:19]
	s_mov_b64 s[20:21], 0
                                        ; implicit-def: $vgpr12_vgpr13
	s_and_saveexec_b64 s[22:23], vcc
	s_xor_b64 s[22:23], exec, s[22:23]
; %bb.35:                               ;   in Loop: Header=BB152_34 Depth=2
	v_add_u32_e32 v12, 1, v16
	s_mov_b64 s[20:21], exec
	v_and_b32_e32 v12, 0x1fff, v12
                                        ; implicit-def: $vgpr20
; %bb.36:                               ;   in Loop: Header=BB152_34 Depth=2
	s_andn2_saveexec_b64 s[22:23], s[22:23]
	s_cbranch_execz .LBB152_38
; %bb.37:                               ;   in Loop: Header=BB152_34 Depth=2
	v_mov_b64_e32 v[12:13], s[68:69]
	ds_cmpst_rtn_b64 v[12:13], v20, v[12:13], v[14:15]
	s_andn2_b64 s[20:21], s[20:21], exec
	s_waitcnt lgkmcnt(0)
	v_cmp_ne_u64_e32 vcc, s[68:69], v[12:13]
	s_and_b64 s[24:25], vcc, exec
	s_or_b64 s[20:21], s[20:21], s[24:25]
	v_mov_b64_e32 v[12:13], v[16:17]
.LBB152_38:                             ;   in Loop: Header=BB152_34 Depth=2
	s_or_b64 exec, exec, s[22:23]
	s_mov_b64 s[22:23], -1
	s_or_b64 s[18:19], s[18:19], exec
                                        ; implicit-def: $vgpr20
                                        ; implicit-def: $vgpr18_vgpr19
	s_and_saveexec_b64 s[24:25], s[20:21]
	s_cbranch_execz .LBB152_33
; %bb.39:                               ;   in Loop: Header=BB152_34 Depth=2
	v_lshl_add_u32 v20, v12, 3, 0
	ds_read_b64 v[18:19], v20
	s_andn2_b64 s[18:19], s[18:19], exec
	s_waitcnt lgkmcnt(0)
	v_cmp_eq_u64_e32 vcc, v[18:19], v[14:15]
	s_orn2_b64 s[22:23], vcc, exec
	s_branch .LBB152_33
.LBB152_40:                             ;   in Loop: Header=BB152_31 Depth=1
	s_or_b64 exec, exec, s[14:15]
	s_and_saveexec_b64 s[14:15], s[16:17]
	s_xor_b64 s[14:15], exec, s[14:15]
	s_cbranch_execz .LBB152_29
; %bb.41:                               ;   in Loop: Header=BB152_31 Depth=1
	v_mov_b32_e32 v12, v16
	s_branch .LBB152_29
.LBB152_42:
	s_or_b64 exec, exec, s[8:9]
.LBB152_43:
	v_writelane_b32 v38, s28, 2
	s_movk_i32 s33, 0x25f
	v_cmp_lt_u32_e64 s[34:35], s33, v0
	v_writelane_b32 v38, s29, 3
	v_writelane_b32 v38, s42, 4
	s_movk_i32 s33, 0x27f
	v_cmp_lt_u32_e64 s[36:37], s33, v0
	v_writelane_b32 v38, s43, 5
	s_movk_i32 s33, 0x29f
	v_writelane_b32 v38, s44, 6
	v_cmp_lt_u32_e64 s[38:39], s33, v0
	s_movk_i32 s33, 0x2bf
	v_writelane_b32 v38, s45, 7
	v_cmp_lt_u32_e64 s[40:41], s33, v0
	;; [unrolled: 3-line block ×4, first 2 shown]
	s_movk_i32 s33, 0x31f
	v_cmp_lt_u32_e64 s[46:47], s33, v0
	s_movk_i32 s33, 0x33f
	v_cmp_lt_u32_e64 s[48:49], s33, v0
	;; [unrolled: 2-line block ×3, first 2 shown]
	s_movk_i32 s33, 0x37f
	v_mbcnt_lo_u32_b32 v2, -1, 0
	v_cmp_lt_u32_e64 s[52:53], s33, v0
	s_movk_i32 s33, 0x39f
	v_mbcnt_hi_u32_b32 v2, -1, v2
	v_cmp_lt_u32_e64 s[54:55], s33, v0
	s_movk_i32 s33, 0x3bf
	v_sub_u32_e32 v2, 63, v2
	s_add_i32 s0, 0, 0x30000
	v_cmp_lt_u32_e64 s[56:57], s33, v0
	s_movk_i32 s33, 0x3df
	v_lshrrev_b64 v[4:5], v2, -1
	v_lshrrev_b32_e32 v2, 2, v0
	v_writelane_b32 v38, s0, 10
	v_cmp_lt_u32_e64 s[58:59], s33, v0
	s_add_i32 s33, 0, 0x30008
	v_and_b32_e32 v2, 0xf8, v2
	v_writelane_b32 v38, s33, 11
	s_add_i32 s33, 0, 0x30010
	s_waitcnt vmcnt(0)
	v_add_u32_e32 v12, s0, v2
	s_movk_i32 s0, 0x3ff
	v_writelane_b32 v38, s33, 12
	s_add_i32 s33, 0, 0x30018
	v_cmp_eq_u32_e32 vcc, s0, v0
	s_movk_i32 s0, 0x5f
	s_movk_i32 s2, 0x7f
	;; [unrolled: 1-line block ×16, first 2 shown]
	v_writelane_b32 v38, s33, 13
	s_add_i32 s33, 0, 0x30028
	v_mov_b32_e32 v3, 0
	v_cmp_lt_u32_e64 s[0:1], s0, v0
	v_cmp_lt_u32_e64 s[2:3], s2, v0
	;; [unrolled: 1-line block ×16, first 2 shown]
	v_or_b32_e32 v13, 0xfffffc00, v0
	v_add_u32_e32 v14, 0x10000, v34
	v_mov_b64_e32 v[6:7], 0
	s_add_i32 s81, 0, 0x30020
	v_writelane_b32 v38, s33, 14
	s_add_i32 s84, 0, 0x30030
	s_add_i32 s85, 0, 0x30038
	;; [unrolled: 1-line block ×26, first 2 shown]
	v_cmp_lt_u32_e64 s[60:61], 31, v0
	v_cmp_lt_u32_e64 s[62:63], 63, v0
	s_mov_b64 s[76:77], 0
	s_waitcnt lgkmcnt(0)
	s_barrier
	s_branch .LBB152_45
.LBB152_44:                             ;   in Loop: Header=BB152_45 Depth=1
	s_or_b64 exec, exec, s[64:65]
	v_mov_b32_e32 v2, s80
	s_waitcnt lgkmcnt(0)
	s_barrier
	ds_read_b64 v[8:9], v2
	v_add_u32_e32 v13, 0x400, v13
	s_movk_i32 s64, 0x1bff
	v_cmp_lt_u32_e64 s[64:65], s64, v13
	v_add_u32_e32 v14, 0x4000, v14
	s_waitcnt lgkmcnt(0)
	v_lshl_add_u64 v[6:7], v[8:9], 0, v[6:7]
	s_or_b64 s[76:77], s[64:65], s[76:77]
	v_add_u32_e32 v1, 0x2000, v1
	s_andn2_b64 exec, exec, s[76:77]
	s_cbranch_execz .LBB152_111
.LBB152_45:                             ; =>This Inner Loop Header: Depth=1
	ds_read2_b64 v[16:19], v14 offset1:1
	ds_read_b64 v[8:9], v1
	s_waitcnt lgkmcnt(1)
	scratch_store_dwordx4 off, v[16:19], off
	s_waitcnt lgkmcnt(0)
	v_cmp_gt_i64_e64 s[64:65], s[68:69], v[8:9]
	s_bcnt1_i32_b64 s78, s[64:65]
	v_mov_b32_e32 v2, s78
	v_and_b32_e32 v11, s64, v4
	v_and_b32_e32 v10, s65, v5
	v_bcnt_u32_b32 v11, v11, 0
	v_bcnt_u32_b32 v10, v10, v11
	s_barrier
	ds_write_b64 v12, v[2:3]
	s_waitcnt lgkmcnt(0)
	s_barrier
	s_and_saveexec_b64 s[78:79], s[60:61]
	s_cbranch_execnz .LBB152_78
; %bb.46:                               ;   in Loop: Header=BB152_45 Depth=1
	s_or_b64 exec, exec, s[78:79]
	s_and_saveexec_b64 s[78:79], s[62:63]
	s_cbranch_execnz .LBB152_79
.LBB152_47:                             ;   in Loop: Header=BB152_45 Depth=1
	s_or_b64 exec, exec, s[78:79]
	s_and_saveexec_b64 s[78:79], s[0:1]
	s_cbranch_execnz .LBB152_80
.LBB152_48:                             ;   in Loop: Header=BB152_45 Depth=1
	s_or_b64 exec, exec, s[78:79]
	s_and_saveexec_b64 s[78:79], s[2:3]
	s_cbranch_execnz .LBB152_81
.LBB152_49:                             ;   in Loop: Header=BB152_45 Depth=1
	s_or_b64 exec, exec, s[78:79]
	s_and_saveexec_b64 s[78:79], s[4:5]
	s_cbranch_execnz .LBB152_82
.LBB152_50:                             ;   in Loop: Header=BB152_45 Depth=1
	s_or_b64 exec, exec, s[78:79]
	s_and_saveexec_b64 s[78:79], s[6:7]
	s_cbranch_execnz .LBB152_83
.LBB152_51:                             ;   in Loop: Header=BB152_45 Depth=1
	s_or_b64 exec, exec, s[78:79]
	s_and_saveexec_b64 s[78:79], s[8:9]
	s_cbranch_execnz .LBB152_84
.LBB152_52:                             ;   in Loop: Header=BB152_45 Depth=1
	s_or_b64 exec, exec, s[78:79]
	s_and_saveexec_b64 s[78:79], s[10:11]
	s_cbranch_execnz .LBB152_85
.LBB152_53:                             ;   in Loop: Header=BB152_45 Depth=1
	s_or_b64 exec, exec, s[78:79]
	s_and_saveexec_b64 s[78:79], s[12:13]
	s_cbranch_execnz .LBB152_86
.LBB152_54:                             ;   in Loop: Header=BB152_45 Depth=1
	s_or_b64 exec, exec, s[78:79]
	s_and_saveexec_b64 s[78:79], s[14:15]
	s_cbranch_execnz .LBB152_87
.LBB152_55:                             ;   in Loop: Header=BB152_45 Depth=1
	s_or_b64 exec, exec, s[78:79]
	s_and_saveexec_b64 s[78:79], s[16:17]
	s_cbranch_execnz .LBB152_88
.LBB152_56:                             ;   in Loop: Header=BB152_45 Depth=1
	s_or_b64 exec, exec, s[78:79]
	s_and_saveexec_b64 s[78:79], s[18:19]
	s_cbranch_execnz .LBB152_89
.LBB152_57:                             ;   in Loop: Header=BB152_45 Depth=1
	s_or_b64 exec, exec, s[78:79]
	s_and_saveexec_b64 s[78:79], s[20:21]
	s_cbranch_execnz .LBB152_90
.LBB152_58:                             ;   in Loop: Header=BB152_45 Depth=1
	s_or_b64 exec, exec, s[78:79]
	s_and_saveexec_b64 s[78:79], s[22:23]
	s_cbranch_execnz .LBB152_91
.LBB152_59:                             ;   in Loop: Header=BB152_45 Depth=1
	s_or_b64 exec, exec, s[78:79]
	s_and_saveexec_b64 s[78:79], s[24:25]
	s_cbranch_execnz .LBB152_92
.LBB152_60:                             ;   in Loop: Header=BB152_45 Depth=1
	s_or_b64 exec, exec, s[78:79]
	s_and_saveexec_b64 s[78:79], s[26:27]
	s_cbranch_execnz .LBB152_93
.LBB152_61:                             ;   in Loop: Header=BB152_45 Depth=1
	s_or_b64 exec, exec, s[78:79]
	s_and_saveexec_b64 s[78:79], s[28:29]
	s_cbranch_execnz .LBB152_94
.LBB152_62:                             ;   in Loop: Header=BB152_45 Depth=1
	s_or_b64 exec, exec, s[78:79]
	s_and_saveexec_b64 s[78:79], s[30:31]
	s_cbranch_execnz .LBB152_95
.LBB152_63:                             ;   in Loop: Header=BB152_45 Depth=1
	s_or_b64 exec, exec, s[78:79]
	s_and_saveexec_b64 s[78:79], s[34:35]
	s_cbranch_execnz .LBB152_96
.LBB152_64:                             ;   in Loop: Header=BB152_45 Depth=1
	s_or_b64 exec, exec, s[78:79]
	s_and_saveexec_b64 s[78:79], s[36:37]
	s_cbranch_execnz .LBB152_97
.LBB152_65:                             ;   in Loop: Header=BB152_45 Depth=1
	s_or_b64 exec, exec, s[78:79]
	s_and_saveexec_b64 s[78:79], s[38:39]
	s_cbranch_execnz .LBB152_98
.LBB152_66:                             ;   in Loop: Header=BB152_45 Depth=1
	s_or_b64 exec, exec, s[78:79]
	s_and_saveexec_b64 s[78:79], s[40:41]
	s_cbranch_execnz .LBB152_99
.LBB152_67:                             ;   in Loop: Header=BB152_45 Depth=1
	s_or_b64 exec, exec, s[78:79]
	s_and_saveexec_b64 s[78:79], s[42:43]
	s_cbranch_execnz .LBB152_100
.LBB152_68:                             ;   in Loop: Header=BB152_45 Depth=1
	s_or_b64 exec, exec, s[78:79]
	s_and_saveexec_b64 s[78:79], s[44:45]
	s_cbranch_execnz .LBB152_101
.LBB152_69:                             ;   in Loop: Header=BB152_45 Depth=1
	s_or_b64 exec, exec, s[78:79]
	s_and_saveexec_b64 s[78:79], s[46:47]
	s_cbranch_execnz .LBB152_102
.LBB152_70:                             ;   in Loop: Header=BB152_45 Depth=1
	s_or_b64 exec, exec, s[78:79]
	s_and_saveexec_b64 s[78:79], s[48:49]
	s_cbranch_execnz .LBB152_103
.LBB152_71:                             ;   in Loop: Header=BB152_45 Depth=1
	s_or_b64 exec, exec, s[78:79]
	s_and_saveexec_b64 s[78:79], s[50:51]
	s_cbranch_execnz .LBB152_104
.LBB152_72:                             ;   in Loop: Header=BB152_45 Depth=1
	s_or_b64 exec, exec, s[78:79]
	s_and_saveexec_b64 s[78:79], s[52:53]
	s_cbranch_execnz .LBB152_105
.LBB152_73:                             ;   in Loop: Header=BB152_45 Depth=1
	s_or_b64 exec, exec, s[78:79]
	s_and_saveexec_b64 s[78:79], s[54:55]
	s_cbranch_execnz .LBB152_106
.LBB152_74:                             ;   in Loop: Header=BB152_45 Depth=1
	s_or_b64 exec, exec, s[78:79]
	s_and_saveexec_b64 s[78:79], s[56:57]
	s_cbranch_execnz .LBB152_107
.LBB152_75:                             ;   in Loop: Header=BB152_45 Depth=1
	s_or_b64 exec, exec, s[78:79]
	s_and_saveexec_b64 s[78:79], s[58:59]
	s_cbranch_execnz .LBB152_108
.LBB152_76:                             ;   in Loop: Header=BB152_45 Depth=1
	s_or_b64 exec, exec, s[78:79]
	v_ashrrev_i32_e32 v11, 31, v10
	s_and_saveexec_b64 s[78:79], s[64:65]
	s_cbranch_execnz .LBB152_109
.LBB152_77:                             ;   in Loop: Header=BB152_45 Depth=1
	s_or_b64 exec, exec, s[78:79]
	s_and_saveexec_b64 s[64:65], vcc
	s_cbranch_execz .LBB152_44
	s_branch .LBB152_110
.LBB152_78:                             ;   in Loop: Header=BB152_45 Depth=1
	v_readlane_b32 s82, v38, 10
	s_nop 1
	v_mov_b32_e32 v2, s82
	ds_read_b32 v2, v2
	s_waitcnt lgkmcnt(0)
	v_add_u32_e32 v10, v2, v10
	s_or_b64 exec, exec, s[78:79]
	s_and_saveexec_b64 s[78:79], s[62:63]
	s_cbranch_execz .LBB152_47
.LBB152_79:                             ;   in Loop: Header=BB152_45 Depth=1
	v_readlane_b32 s82, v38, 11
	s_nop 1
	v_mov_b32_e32 v2, s82
	ds_read_b32 v2, v2
	s_waitcnt lgkmcnt(0)
	v_add_u32_e32 v10, v10, v2
	s_or_b64 exec, exec, s[78:79]
	s_and_saveexec_b64 s[78:79], s[0:1]
	s_cbranch_execz .LBB152_48
.LBB152_80:                             ;   in Loop: Header=BB152_45 Depth=1
	v_readlane_b32 s82, v38, 12
	s_nop 1
	v_mov_b32_e32 v2, s82
	ds_read_b32 v2, v2
	s_waitcnt lgkmcnt(0)
	v_add_u32_e32 v10, v10, v2
	s_or_b64 exec, exec, s[78:79]
	s_and_saveexec_b64 s[78:79], s[2:3]
	s_cbranch_execz .LBB152_49
.LBB152_81:                             ;   in Loop: Header=BB152_45 Depth=1
	v_readlane_b32 s82, v38, 13
	s_nop 1
	v_mov_b32_e32 v2, s82
	ds_read_b32 v2, v2
	s_waitcnt lgkmcnt(0)
	v_add_u32_e32 v10, v10, v2
	s_or_b64 exec, exec, s[78:79]
	s_and_saveexec_b64 s[78:79], s[4:5]
	s_cbranch_execz .LBB152_50
.LBB152_82:                             ;   in Loop: Header=BB152_45 Depth=1
	v_mov_b32_e32 v2, s81
	ds_read_b32 v2, v2
	s_waitcnt lgkmcnt(0)
	v_add_u32_e32 v10, v10, v2
	s_or_b64 exec, exec, s[78:79]
	s_and_saveexec_b64 s[78:79], s[6:7]
	s_cbranch_execz .LBB152_51
.LBB152_83:                             ;   in Loop: Header=BB152_45 Depth=1
	v_readlane_b32 s82, v38, 14
	s_nop 1
	v_mov_b32_e32 v2, s82
	ds_read_b32 v2, v2
	s_waitcnt lgkmcnt(0)
	v_add_u32_e32 v10, v10, v2
	s_or_b64 exec, exec, s[78:79]
	s_and_saveexec_b64 s[78:79], s[8:9]
	s_cbranch_execz .LBB152_52
.LBB152_84:                             ;   in Loop: Header=BB152_45 Depth=1
	v_mov_b32_e32 v2, s84
	ds_read_b32 v2, v2
	s_waitcnt lgkmcnt(0)
	v_add_u32_e32 v10, v10, v2
	s_or_b64 exec, exec, s[78:79]
	s_and_saveexec_b64 s[78:79], s[10:11]
	s_cbranch_execz .LBB152_53
.LBB152_85:                             ;   in Loop: Header=BB152_45 Depth=1
	v_mov_b32_e32 v2, s85
	ds_read_b32 v2, v2
	s_waitcnt lgkmcnt(0)
	v_add_u32_e32 v10, v10, v2
	s_or_b64 exec, exec, s[78:79]
	s_and_saveexec_b64 s[78:79], s[12:13]
	s_cbranch_execz .LBB152_54
.LBB152_86:                             ;   in Loop: Header=BB152_45 Depth=1
	v_mov_b32_e32 v2, s86
	ds_read_b32 v2, v2
	s_waitcnt lgkmcnt(0)
	v_add_u32_e32 v10, v10, v2
	s_or_b64 exec, exec, s[78:79]
	s_and_saveexec_b64 s[78:79], s[14:15]
	s_cbranch_execz .LBB152_55
.LBB152_87:                             ;   in Loop: Header=BB152_45 Depth=1
	v_mov_b32_e32 v2, s87
	ds_read_b32 v2, v2
	s_waitcnt lgkmcnt(0)
	v_add_u32_e32 v10, v10, v2
	s_or_b64 exec, exec, s[78:79]
	s_and_saveexec_b64 s[78:79], s[16:17]
	s_cbranch_execz .LBB152_56
.LBB152_88:                             ;   in Loop: Header=BB152_45 Depth=1
	v_mov_b32_e32 v2, s88
	ds_read_b32 v2, v2
	s_waitcnt lgkmcnt(0)
	v_add_u32_e32 v10, v10, v2
	s_or_b64 exec, exec, s[78:79]
	s_and_saveexec_b64 s[78:79], s[18:19]
	s_cbranch_execz .LBB152_57
.LBB152_89:                             ;   in Loop: Header=BB152_45 Depth=1
	v_mov_b32_e32 v2, s89
	ds_read_b32 v2, v2
	s_waitcnt lgkmcnt(0)
	v_add_u32_e32 v10, v10, v2
	s_or_b64 exec, exec, s[78:79]
	s_and_saveexec_b64 s[78:79], s[20:21]
	s_cbranch_execz .LBB152_58
.LBB152_90:                             ;   in Loop: Header=BB152_45 Depth=1
	v_mov_b32_e32 v2, s90
	ds_read_b32 v2, v2
	s_waitcnt lgkmcnt(0)
	v_add_u32_e32 v10, v10, v2
	s_or_b64 exec, exec, s[78:79]
	s_and_saveexec_b64 s[78:79], s[22:23]
	s_cbranch_execz .LBB152_59
.LBB152_91:                             ;   in Loop: Header=BB152_45 Depth=1
	v_mov_b32_e32 v2, s91
	ds_read_b32 v2, v2
	s_waitcnt lgkmcnt(0)
	v_add_u32_e32 v10, v10, v2
	s_or_b64 exec, exec, s[78:79]
	s_and_saveexec_b64 s[78:79], s[24:25]
	s_cbranch_execz .LBB152_60
.LBB152_92:                             ;   in Loop: Header=BB152_45 Depth=1
	v_mov_b32_e32 v2, s92
	ds_read_b32 v2, v2
	s_waitcnt lgkmcnt(0)
	v_add_u32_e32 v10, v10, v2
	s_or_b64 exec, exec, s[78:79]
	s_and_saveexec_b64 s[78:79], s[26:27]
	s_cbranch_execz .LBB152_61
.LBB152_93:                             ;   in Loop: Header=BB152_45 Depth=1
	v_mov_b32_e32 v2, s93
	ds_read_b32 v2, v2
	s_waitcnt lgkmcnt(0)
	v_add_u32_e32 v10, v10, v2
	s_or_b64 exec, exec, s[78:79]
	s_and_saveexec_b64 s[78:79], s[28:29]
	s_cbranch_execz .LBB152_62
.LBB152_94:                             ;   in Loop: Header=BB152_45 Depth=1
	v_mov_b32_e32 v2, s94
	ds_read_b32 v2, v2
	s_waitcnt lgkmcnt(0)
	v_add_u32_e32 v10, v10, v2
	s_or_b64 exec, exec, s[78:79]
	s_and_saveexec_b64 s[78:79], s[30:31]
	s_cbranch_execz .LBB152_63
.LBB152_95:                             ;   in Loop: Header=BB152_45 Depth=1
	v_mov_b32_e32 v2, s95
	ds_read_b32 v2, v2
	s_waitcnt lgkmcnt(0)
	v_add_u32_e32 v10, v10, v2
	s_or_b64 exec, exec, s[78:79]
	s_and_saveexec_b64 s[78:79], s[34:35]
	s_cbranch_execz .LBB152_64
.LBB152_96:                             ;   in Loop: Header=BB152_45 Depth=1
	v_mov_b32_e32 v2, s96
	ds_read_b32 v2, v2
	s_waitcnt lgkmcnt(0)
	v_add_u32_e32 v10, v10, v2
	s_or_b64 exec, exec, s[78:79]
	s_and_saveexec_b64 s[78:79], s[36:37]
	s_cbranch_execz .LBB152_65
.LBB152_97:                             ;   in Loop: Header=BB152_45 Depth=1
	v_mov_b32_e32 v2, s97
	ds_read_b32 v2, v2
	s_waitcnt lgkmcnt(0)
	v_add_u32_e32 v10, v10, v2
	s_or_b64 exec, exec, s[78:79]
	s_and_saveexec_b64 s[78:79], s[38:39]
	s_cbranch_execz .LBB152_66
.LBB152_98:                             ;   in Loop: Header=BB152_45 Depth=1
	v_mov_b32_e32 v2, s98
	ds_read_b32 v2, v2
	s_waitcnt lgkmcnt(0)
	v_add_u32_e32 v10, v10, v2
	s_or_b64 exec, exec, s[78:79]
	s_and_saveexec_b64 s[78:79], s[40:41]
	s_cbranch_execz .LBB152_67
.LBB152_99:                             ;   in Loop: Header=BB152_45 Depth=1
	v_mov_b32_e32 v2, s99
	ds_read_b32 v2, v2
	s_waitcnt lgkmcnt(0)
	v_add_u32_e32 v10, v10, v2
	s_or_b64 exec, exec, s[78:79]
	s_and_saveexec_b64 s[78:79], s[42:43]
	s_cbranch_execz .LBB152_68
.LBB152_100:                            ;   in Loop: Header=BB152_45 Depth=1
	v_mov_b32_e32 v2, s70
	ds_read_b32 v2, v2
	s_waitcnt lgkmcnt(0)
	v_add_u32_e32 v10, v10, v2
	s_or_b64 exec, exec, s[78:79]
	s_and_saveexec_b64 s[78:79], s[44:45]
	s_cbranch_execz .LBB152_69
.LBB152_101:                            ;   in Loop: Header=BB152_45 Depth=1
	v_mov_b32_e32 v2, s71
	ds_read_b32 v2, v2
	s_waitcnt lgkmcnt(0)
	v_add_u32_e32 v10, v10, v2
	s_or_b64 exec, exec, s[78:79]
	s_and_saveexec_b64 s[78:79], s[46:47]
	s_cbranch_execz .LBB152_70
.LBB152_102:                            ;   in Loop: Header=BB152_45 Depth=1
	v_mov_b32_e32 v2, s74
	ds_read_b32 v2, v2
	s_waitcnt lgkmcnt(0)
	v_add_u32_e32 v10, v10, v2
	s_or_b64 exec, exec, s[78:79]
	s_and_saveexec_b64 s[78:79], s[48:49]
	s_cbranch_execz .LBB152_71
.LBB152_103:                            ;   in Loop: Header=BB152_45 Depth=1
	v_mov_b32_e32 v2, s75
	ds_read_b32 v2, v2
	s_waitcnt lgkmcnt(0)
	v_add_u32_e32 v10, v10, v2
	s_or_b64 exec, exec, s[78:79]
	s_and_saveexec_b64 s[78:79], s[50:51]
	s_cbranch_execz .LBB152_72
.LBB152_104:                            ;   in Loop: Header=BB152_45 Depth=1
	v_mov_b32_e32 v2, s66
	ds_read_b32 v2, v2
	s_waitcnt lgkmcnt(0)
	v_add_u32_e32 v10, v10, v2
	s_or_b64 exec, exec, s[78:79]
	s_and_saveexec_b64 s[78:79], s[52:53]
	s_cbranch_execz .LBB152_73
.LBB152_105:                            ;   in Loop: Header=BB152_45 Depth=1
	v_mov_b32_e32 v2, s72
	ds_read_b32 v2, v2
	s_waitcnt lgkmcnt(0)
	v_add_u32_e32 v10, v10, v2
	s_or_b64 exec, exec, s[78:79]
	s_and_saveexec_b64 s[78:79], s[54:55]
	s_cbranch_execz .LBB152_74
.LBB152_106:                            ;   in Loop: Header=BB152_45 Depth=1
	v_mov_b32_e32 v2, s73
	ds_read_b32 v2, v2
	s_waitcnt lgkmcnt(0)
	v_add_u32_e32 v10, v10, v2
	s_or_b64 exec, exec, s[78:79]
	s_and_saveexec_b64 s[78:79], s[56:57]
	s_cbranch_execz .LBB152_75
.LBB152_107:                            ;   in Loop: Header=BB152_45 Depth=1
	v_mov_b32_e32 v2, s33
	ds_read_b32 v2, v2
	s_waitcnt lgkmcnt(0)
	v_add_u32_e32 v10, v10, v2
	s_or_b64 exec, exec, s[78:79]
	s_and_saveexec_b64 s[78:79], s[58:59]
	s_cbranch_execz .LBB152_76
.LBB152_108:                            ;   in Loop: Header=BB152_45 Depth=1
	v_mov_b32_e32 v2, s67
	ds_read_b32 v2, v2
	s_waitcnt lgkmcnt(0)
	v_add_u32_e32 v10, v10, v2
	s_or_b64 exec, exec, s[78:79]
	v_ashrrev_i32_e32 v11, 31, v10
	s_and_saveexec_b64 s[78:79], s[64:65]
	s_cbranch_execz .LBB152_77
.LBB152_109:                            ;   in Loop: Header=BB152_45 Depth=1
	scratch_load_dwordx4 v[16:19], off, off
	v_add3_u32 v2, v6, -1, v10
	v_add_u32_e32 v15, v6, v10
	v_lshl_add_u32 v2, v2, 3, 0
	v_lshl_add_u32 v15, v15, 4, 0
	v_add_u32_e32 v15, 0xfff0, v15
	ds_write_b64 v2, v[8:9]
	s_waitcnt vmcnt(0)
	ds_write2_b64 v15, v[16:17], v[18:19] offset1:1
	s_or_b64 exec, exec, s[78:79]
	s_and_saveexec_b64 s[64:65], vcc
	s_cbranch_execz .LBB152_44
.LBB152_110:                            ;   in Loop: Header=BB152_45 Depth=1
	v_mov_b32_e32 v2, s80
	ds_write_b64 v2, v[10:11]
	s_branch .LBB152_44
.LBB152_111:
	s_or_b64 exec, exec, s[76:77]
	v_readlane_b32 s0, v38, 4
	v_readlane_b32 s1, v38, 5
	s_lshl_b64 s[0:1], s[0:1], 3
	v_readlane_b32 s2, v38, 0
	v_readlane_b32 s3, v38, 1
	s_add_u32 s4, s2, s0
	s_addc_u32 s5, s3, s1
	s_load_dwordx4 s[0:3], s[4:5], 0x0
	v_mov_b32_e32 v1, 0
	s_waitcnt lgkmcnt(0)
	s_sub_u32 s4, s2, s0
	s_subb_u32 s5, s3, s1
	v_cmp_gt_i64_e32 vcc, s[4:5], v[0:1]
	s_and_saveexec_b64 s[6:7], vcc
	v_readlane_b32 s20, v38, 2
	v_readlane_b32 s21, v38, 3
	s_cbranch_execz .LBB152_121
; %bb.112:
	v_readlane_b32 s8, v38, 6
	v_readlane_b32 s10, v38, 8
	;; [unrolled: 1-line block ×3, first 2 shown]
	s_sub_u32 s8, s0, s10
	s_subb_u32 s9, s1, 0
	s_and_b32 s6, s4, 7
	s_sub_u32 s0, s0, s2
	s_mov_b32 s7, 0
	s_subb_u32 s1, s1, s3
	s_and_b32 s10, s4, -8
	s_cmp_lg_u64 s[6:7], 0
	v_cmp_lt_u64_e64 s[0:1], s[0:1], -7
	s_cselect_b64 s[2:3], -1, 0
	v_readlane_b32 s11, v38, 9
	v_cndmask_b32_e64 v2, 0, 1, s[0:1]
	v_cmp_ne_u32_e64 s[0:1], 1, v2
	v_cndmask_b32_e64 v2, 0, 1, s[2:3]
	s_mov_b32 s11, s5
	s_mov_b64 s[12:13], 0
	v_cmp_ne_u32_e64 s[2:3], 1, v2
	s_mov_b64 s[14:15], 0x400
	s_branch .LBB152_114
.LBB152_113:                            ;   in Loop: Header=BB152_114 Depth=1
	s_waitcnt lgkmcnt(0)
	v_lshl_add_u32 v2, v0, 4, 0
	v_add_u32_e32 v2, 0x10000, v2
	ds_read2_b64 v[6:9], v2 offset1:1
	v_lshl_add_u64 v[0:1], v[0:1], 0, s[14:15]
	v_cmp_le_i64_e32 vcc, s[4:5], v[0:1]
	v_lshl_add_u64 v[2:3], v[4:5], 4, s[20:21]
	s_or_b64 s[12:13], vcc, s[12:13]
	s_waitcnt lgkmcnt(0)
	global_store_dwordx4 v[2:3], v[6:9], off
	s_andn2_b64 exec, exec, s[12:13]
	s_cbranch_execz .LBB152_121
.LBB152_114:                            ; =>This Loop Header: Depth=1
                                        ;     Child Loop BB152_116 Depth 2
                                        ;     Child Loop BB152_120 Depth 2
	v_lshl_add_u32 v2, v0, 3, 0
	ds_read_b64 v[2:3], v2
	s_and_b64 vcc, exec, s[0:1]
	v_mov_b64_e32 v[4:5], s[8:9]
	s_mov_b64 s[16:17], 0
	s_cbranch_vccnz .LBB152_118
; %bb.115:                              ;   in Loop: Header=BB152_114 Depth=1
	s_mov_b32 s18, 0
	v_mov_b64_e32 v[4:5], s[8:9]
.LBB152_116:                            ;   Parent Loop BB152_114 Depth=1
                                        ; =>  This Inner Loop Header: Depth=2
	v_mov_b32_e32 v18, s18
	ds_read2_b64 v[6:9], v18 offset1:1
	ds_read2_b64 v[10:13], v18 offset0:2 offset1:3
	ds_read2_b64 v[14:17], v18 offset0:4 offset1:5
	;; [unrolled: 1-line block ×3, first 2 shown]
	v_mov_b32_e32 v23, s7
	s_waitcnt lgkmcnt(3)
	v_cmp_gt_i64_e32 vcc, v[2:3], v[6:7]
	v_mov_b32_e32 v25, s7
	v_mov_b32_e32 v27, s7
	v_cndmask_b32_e64 v22, 0, 1, vcc
	v_cmp_gt_i64_e32 vcc, v[2:3], v[8:9]
	v_lshl_add_u64 v[4:5], v[4:5], 0, v[22:23]
	v_mov_b32_e32 v29, s7
	v_cndmask_b32_e64 v24, 0, 1, vcc
	s_waitcnt lgkmcnt(2)
	v_cmp_gt_i64_e32 vcc, v[2:3], v[10:11]
	v_lshl_add_u64 v[4:5], v[4:5], 0, v[24:25]
	v_mov_b32_e32 v31, s7
	v_cndmask_b32_e64 v26, 0, 1, vcc
	v_cmp_gt_i64_e32 vcc, v[2:3], v[12:13]
	v_lshl_add_u64 v[4:5], v[4:5], 0, v[26:27]
	v_mov_b32_e32 v33, s7
	v_cndmask_b32_e64 v28, 0, 1, vcc
	s_waitcnt lgkmcnt(1)
	v_cmp_gt_i64_e32 vcc, v[2:3], v[14:15]
	v_lshl_add_u64 v[4:5], v[4:5], 0, v[28:29]
	v_mov_b32_e32 v35, s7
	v_cndmask_b32_e64 v30, 0, 1, vcc
	v_cmp_gt_i64_e32 vcc, v[2:3], v[16:17]
	v_lshl_add_u64 v[4:5], v[4:5], 0, v[30:31]
	s_add_u32 s16, s16, 8
	v_cndmask_b32_e64 v32, 0, 1, vcc
	s_waitcnt lgkmcnt(0)
	v_cmp_gt_i64_e32 vcc, v[2:3], v[18:19]
	v_lshl_add_u64 v[4:5], v[4:5], 0, v[32:33]
	v_mov_b32_e32 v37, s7
	v_cndmask_b32_e64 v34, 0, 1, vcc
	v_cmp_gt_i64_e32 vcc, v[2:3], v[20:21]
	s_addc_u32 s17, s17, 0
	s_add_i32 s18, s18, 64
	v_cndmask_b32_e64 v36, 0, 1, vcc
	v_lshl_add_u64 v[4:5], v[4:5], 0, v[34:35]
	s_cmp_eq_u64 s[10:11], s[16:17]
	v_lshl_add_u64 v[4:5], v[4:5], 0, v[36:37]
	s_cbranch_scc0 .LBB152_116
; %bb.117:                              ;   in Loop: Header=BB152_114 Depth=1
	s_mov_b64 s[16:17], s[10:11]
.LBB152_118:                            ;   in Loop: Header=BB152_114 Depth=1
	s_and_b64 vcc, exec, s[2:3]
	s_cbranch_vccnz .LBB152_113
; %bb.119:                              ;   in Loop: Header=BB152_114 Depth=1
	s_lshl_b32 s16, s16, 3
	s_add_i32 s18, s16, 0
	s_mov_b64 s[16:17], s[6:7]
.LBB152_120:                            ;   Parent Loop BB152_114 Depth=1
                                        ; =>  This Inner Loop Header: Depth=2
	v_mov_b32_e32 v6, s18
	ds_read_b64 v[8:9], v6
	s_add_i32 s18, s18, 8
	s_add_u32 s16, s16, -1
	v_mov_b32_e32 v7, s7
	s_addc_u32 s17, s17, -1
	s_waitcnt lgkmcnt(0)
	v_cmp_gt_i64_e32 vcc, v[2:3], v[8:9]
	s_cmp_lg_u64 s[16:17], 0
	s_nop 0
	v_cndmask_b32_e64 v6, 0, 1, vcc
	v_lshl_add_u64 v[4:5], v[4:5], 0, v[6:7]
	s_cbranch_scc1 .LBB152_120
	s_branch .LBB152_113
.LBB152_121:
	s_endpgm
	.section	.rodata,"a",@progbits
	.p2align	6, 0x0
	.amdhsa_kernel _ZN9rocsparseL41csrgemm_numeric_fill_block_per_row_kernelILj1024ELj64ELj8192ELj137ELj32Ell21rocsparse_complex_numIdEEEvT5_PKS3_S5_NS_24const_host_device_scalarIT6_EEPKT4_S5_PKS7_SB_S5_SD_S8_SB_S5_SD_SB_S5_PS7_21rocsparse_index_base_SF_SF_SF_bbb
		.amdhsa_group_segment_fixed_size 0
		.amdhsa_private_segment_fixed_size 40
		.amdhsa_kernarg_size 172
		.amdhsa_user_sgpr_count 2
		.amdhsa_user_sgpr_dispatch_ptr 0
		.amdhsa_user_sgpr_queue_ptr 0
		.amdhsa_user_sgpr_kernarg_segment_ptr 1
		.amdhsa_user_sgpr_dispatch_id 0
		.amdhsa_user_sgpr_kernarg_preload_length 0
		.amdhsa_user_sgpr_kernarg_preload_offset 0
		.amdhsa_user_sgpr_private_segment_size 0
		.amdhsa_uses_dynamic_stack 0
		.amdhsa_enable_private_segment 1
		.amdhsa_system_sgpr_workgroup_id_x 1
		.amdhsa_system_sgpr_workgroup_id_y 0
		.amdhsa_system_sgpr_workgroup_id_z 0
		.amdhsa_system_sgpr_workgroup_info 0
		.amdhsa_system_vgpr_workitem_id 0
		.amdhsa_next_free_vgpr 39
		.amdhsa_next_free_sgpr 100
		.amdhsa_accum_offset 40
		.amdhsa_reserve_vcc 1
		.amdhsa_float_round_mode_32 0
		.amdhsa_float_round_mode_16_64 0
		.amdhsa_float_denorm_mode_32 3
		.amdhsa_float_denorm_mode_16_64 3
		.amdhsa_dx10_clamp 1
		.amdhsa_ieee_mode 1
		.amdhsa_fp16_overflow 0
		.amdhsa_tg_split 0
		.amdhsa_exception_fp_ieee_invalid_op 0
		.amdhsa_exception_fp_denorm_src 0
		.amdhsa_exception_fp_ieee_div_zero 0
		.amdhsa_exception_fp_ieee_overflow 0
		.amdhsa_exception_fp_ieee_underflow 0
		.amdhsa_exception_fp_ieee_inexact 0
		.amdhsa_exception_int_div_zero 0
	.end_amdhsa_kernel
	.section	.text._ZN9rocsparseL41csrgemm_numeric_fill_block_per_row_kernelILj1024ELj64ELj8192ELj137ELj32Ell21rocsparse_complex_numIdEEEvT5_PKS3_S5_NS_24const_host_device_scalarIT6_EEPKT4_S5_PKS7_SB_S5_SD_S8_SB_S5_SD_SB_S5_PS7_21rocsparse_index_base_SF_SF_SF_bbb,"axG",@progbits,_ZN9rocsparseL41csrgemm_numeric_fill_block_per_row_kernelILj1024ELj64ELj8192ELj137ELj32Ell21rocsparse_complex_numIdEEEvT5_PKS3_S5_NS_24const_host_device_scalarIT6_EEPKT4_S5_PKS7_SB_S5_SD_S8_SB_S5_SD_SB_S5_PS7_21rocsparse_index_base_SF_SF_SF_bbb,comdat
.Lfunc_end152:
	.size	_ZN9rocsparseL41csrgemm_numeric_fill_block_per_row_kernelILj1024ELj64ELj8192ELj137ELj32Ell21rocsparse_complex_numIdEEEvT5_PKS3_S5_NS_24const_host_device_scalarIT6_EEPKT4_S5_PKS7_SB_S5_SD_S8_SB_S5_SD_SB_S5_PS7_21rocsparse_index_base_SF_SF_SF_bbb, .Lfunc_end152-_ZN9rocsparseL41csrgemm_numeric_fill_block_per_row_kernelILj1024ELj64ELj8192ELj137ELj32Ell21rocsparse_complex_numIdEEEvT5_PKS3_S5_NS_24const_host_device_scalarIT6_EEPKT4_S5_PKS7_SB_S5_SD_S8_SB_S5_SD_SB_S5_PS7_21rocsparse_index_base_SF_SF_SF_bbb
                                        ; -- End function
	.set _ZN9rocsparseL41csrgemm_numeric_fill_block_per_row_kernelILj1024ELj64ELj8192ELj137ELj32Ell21rocsparse_complex_numIdEEEvT5_PKS3_S5_NS_24const_host_device_scalarIT6_EEPKT4_S5_PKS7_SB_S5_SD_S8_SB_S5_SD_SB_S5_PS7_21rocsparse_index_base_SF_SF_SF_bbb.num_vgpr, 39
	.set _ZN9rocsparseL41csrgemm_numeric_fill_block_per_row_kernelILj1024ELj64ELj8192ELj137ELj32Ell21rocsparse_complex_numIdEEEvT5_PKS3_S5_NS_24const_host_device_scalarIT6_EEPKT4_S5_PKS7_SB_S5_SD_S8_SB_S5_SD_SB_S5_PS7_21rocsparse_index_base_SF_SF_SF_bbb.num_agpr, 0
	.set _ZN9rocsparseL41csrgemm_numeric_fill_block_per_row_kernelILj1024ELj64ELj8192ELj137ELj32Ell21rocsparse_complex_numIdEEEvT5_PKS3_S5_NS_24const_host_device_scalarIT6_EEPKT4_S5_PKS7_SB_S5_SD_S8_SB_S5_SD_SB_S5_PS7_21rocsparse_index_base_SF_SF_SF_bbb.numbered_sgpr, 100
	.set _ZN9rocsparseL41csrgemm_numeric_fill_block_per_row_kernelILj1024ELj64ELj8192ELj137ELj32Ell21rocsparse_complex_numIdEEEvT5_PKS3_S5_NS_24const_host_device_scalarIT6_EEPKT4_S5_PKS7_SB_S5_SD_S8_SB_S5_SD_SB_S5_PS7_21rocsparse_index_base_SF_SF_SF_bbb.num_named_barrier, 0
	.set _ZN9rocsparseL41csrgemm_numeric_fill_block_per_row_kernelILj1024ELj64ELj8192ELj137ELj32Ell21rocsparse_complex_numIdEEEvT5_PKS3_S5_NS_24const_host_device_scalarIT6_EEPKT4_S5_PKS7_SB_S5_SD_S8_SB_S5_SD_SB_S5_PS7_21rocsparse_index_base_SF_SF_SF_bbb.private_seg_size, 40
	.set _ZN9rocsparseL41csrgemm_numeric_fill_block_per_row_kernelILj1024ELj64ELj8192ELj137ELj32Ell21rocsparse_complex_numIdEEEvT5_PKS3_S5_NS_24const_host_device_scalarIT6_EEPKT4_S5_PKS7_SB_S5_SD_S8_SB_S5_SD_SB_S5_PS7_21rocsparse_index_base_SF_SF_SF_bbb.uses_vcc, 1
	.set _ZN9rocsparseL41csrgemm_numeric_fill_block_per_row_kernelILj1024ELj64ELj8192ELj137ELj32Ell21rocsparse_complex_numIdEEEvT5_PKS3_S5_NS_24const_host_device_scalarIT6_EEPKT4_S5_PKS7_SB_S5_SD_S8_SB_S5_SD_SB_S5_PS7_21rocsparse_index_base_SF_SF_SF_bbb.uses_flat_scratch, 0
	.set _ZN9rocsparseL41csrgemm_numeric_fill_block_per_row_kernelILj1024ELj64ELj8192ELj137ELj32Ell21rocsparse_complex_numIdEEEvT5_PKS3_S5_NS_24const_host_device_scalarIT6_EEPKT4_S5_PKS7_SB_S5_SD_S8_SB_S5_SD_SB_S5_PS7_21rocsparse_index_base_SF_SF_SF_bbb.has_dyn_sized_stack, 0
	.set _ZN9rocsparseL41csrgemm_numeric_fill_block_per_row_kernelILj1024ELj64ELj8192ELj137ELj32Ell21rocsparse_complex_numIdEEEvT5_PKS3_S5_NS_24const_host_device_scalarIT6_EEPKT4_S5_PKS7_SB_S5_SD_S8_SB_S5_SD_SB_S5_PS7_21rocsparse_index_base_SF_SF_SF_bbb.has_recursion, 0
	.set _ZN9rocsparseL41csrgemm_numeric_fill_block_per_row_kernelILj1024ELj64ELj8192ELj137ELj32Ell21rocsparse_complex_numIdEEEvT5_PKS3_S5_NS_24const_host_device_scalarIT6_EEPKT4_S5_PKS7_SB_S5_SD_S8_SB_S5_SD_SB_S5_PS7_21rocsparse_index_base_SF_SF_SF_bbb.has_indirect_call, 0
	.section	.AMDGPU.csdata,"",@progbits
; Kernel info:
; codeLenInByte = 5048
; TotalNumSgprs: 106
; NumVgprs: 39
; NumAgprs: 0
; TotalNumVgprs: 39
; ScratchSize: 40
; MemoryBound: 0
; FloatMode: 240
; IeeeMode: 1
; LDSByteSize: 0 bytes/workgroup (compile time only)
; SGPRBlocks: 13
; VGPRBlocks: 4
; NumSGPRsForWavesPerEU: 106
; NumVGPRsForWavesPerEU: 39
; AccumOffset: 40
; Occupancy: 7
; WaveLimiterHint : 1
; COMPUTE_PGM_RSRC2:SCRATCH_EN: 1
; COMPUTE_PGM_RSRC2:USER_SGPR: 2
; COMPUTE_PGM_RSRC2:TRAP_HANDLER: 0
; COMPUTE_PGM_RSRC2:TGID_X_EN: 1
; COMPUTE_PGM_RSRC2:TGID_Y_EN: 0
; COMPUTE_PGM_RSRC2:TGID_Z_EN: 0
; COMPUTE_PGM_RSRC2:TIDIG_COMP_CNT: 0
; COMPUTE_PGM_RSRC3_GFX90A:ACCUM_OFFSET: 9
; COMPUTE_PGM_RSRC3_GFX90A:TG_SPLIT: 0
	.section	.text._ZN9rocsparseL41csrgemm_numeric_fill_block_per_row_kernelILj1024ELj64ELj8192ELj137ELj64Ell21rocsparse_complex_numIdEEEvT5_PKS3_S5_NS_24const_host_device_scalarIT6_EEPKT4_S5_PKS7_SB_S5_SD_S8_SB_S5_SD_SB_S5_PS7_21rocsparse_index_base_SF_SF_SF_bbb,"axG",@progbits,_ZN9rocsparseL41csrgemm_numeric_fill_block_per_row_kernelILj1024ELj64ELj8192ELj137ELj64Ell21rocsparse_complex_numIdEEEvT5_PKS3_S5_NS_24const_host_device_scalarIT6_EEPKT4_S5_PKS7_SB_S5_SD_S8_SB_S5_SD_SB_S5_PS7_21rocsparse_index_base_SF_SF_SF_bbb,comdat
	.globl	_ZN9rocsparseL41csrgemm_numeric_fill_block_per_row_kernelILj1024ELj64ELj8192ELj137ELj64Ell21rocsparse_complex_numIdEEEvT5_PKS3_S5_NS_24const_host_device_scalarIT6_EEPKT4_S5_PKS7_SB_S5_SD_S8_SB_S5_SD_SB_S5_PS7_21rocsparse_index_base_SF_SF_SF_bbb ; -- Begin function _ZN9rocsparseL41csrgemm_numeric_fill_block_per_row_kernelILj1024ELj64ELj8192ELj137ELj64Ell21rocsparse_complex_numIdEEEvT5_PKS3_S5_NS_24const_host_device_scalarIT6_EEPKT4_S5_PKS7_SB_S5_SD_S8_SB_S5_SD_SB_S5_PS7_21rocsparse_index_base_SF_SF_SF_bbb
	.p2align	8
	.type	_ZN9rocsparseL41csrgemm_numeric_fill_block_per_row_kernelILj1024ELj64ELj8192ELj137ELj64Ell21rocsparse_complex_numIdEEEvT5_PKS3_S5_NS_24const_host_device_scalarIT6_EEPKT4_S5_PKS7_SB_S5_SD_S8_SB_S5_SD_SB_S5_PS7_21rocsparse_index_base_SF_SF_SF_bbb,@function
_ZN9rocsparseL41csrgemm_numeric_fill_block_per_row_kernelILj1024ELj64ELj8192ELj137ELj64Ell21rocsparse_complex_numIdEEEvT5_PKS3_S5_NS_24const_host_device_scalarIT6_EEPKT4_S5_PKS7_SB_S5_SD_S8_SB_S5_SD_SB_S5_PS7_21rocsparse_index_base_SF_SF_SF_bbb: ; @_ZN9rocsparseL41csrgemm_numeric_fill_block_per_row_kernelILj1024ELj64ELj8192ELj137ELj64Ell21rocsparse_complex_numIdEEEvT5_PKS3_S5_NS_24const_host_device_scalarIT6_EEPKT4_S5_PKS7_SB_S5_SD_S8_SB_S5_SD_SB_S5_PS7_21rocsparse_index_base_SF_SF_SF_bbb
; %bb.0:
	s_load_dword s3, s[0:1], 0xa8
	s_load_dwordx8 s[8:15], s[0:1], 0x8
	s_load_dwordx4 s[36:39], s[0:1], 0x98
	s_load_dwordx4 s[16:19], s[0:1], 0x58
	v_mov_b64_e32 v[6:7], 0
	v_mov_b64_e32 v[10:11], 0
	s_waitcnt lgkmcnt(0)
	s_bitcmp1_b32 s3, 0
	s_cselect_b64 s[6:7], -1, 0
	s_bitcmp1_b32 s3, 16
	s_cselect_b64 s[20:21], -1, 0
	s_xor_b64 s[4:5], s[20:21], -1
	v_mov_b64_e32 v[2:3], s[12:13]
	v_cndmask_b32_e64 v1, 0, 1, s[4:5]
	scratch_store_dwordx2 off, v[2:3], off offset:16
	v_mov_b64_e32 v[2:3], s[16:17]
	s_bitcmp0_b32 s3, 0
	v_cmp_ne_u32_e64 s[4:5], 1, v1
	v_mov_b64_e32 v[12:13], 0
	scratch_store_dwordx2 off, v[2:3], off offset:24
	s_cbranch_scc1 .LBB153_3
; %bb.1:
	s_mov_b64 s[22:23], src_private_base
	s_and_b64 s[24:25], s[20:21], exec
	s_cselect_b32 s22, s23, s13
	s_cselect_b32 s23, 16, s12
	v_mov_b32_e32 v2, s23
	v_mov_b32_e32 v3, s22
	flat_load_dwordx2 v[10:11], v[2:3]
	s_and_b64 vcc, exec, s[4:5]
	v_mov_b64_e32 v[12:13], s[14:15]
	s_cbranch_vccnz .LBB153_3
; %bb.2:
	v_mov_b64_e32 v[2:3], s[12:13]
	flat_load_dwordx2 v[12:13], v[2:3] offset:8
.LBB153_3:
	s_bitcmp1_b32 s3, 8
	s_cselect_b64 s[12:13], -1, 0
	s_bfe_u32 s3, s3, 0x10008
	s_cmp_eq_u32 s3, 0
	v_mov_b64_e32 v[8:9], 0
	s_cbranch_scc1 .LBB153_6
; %bb.4:
	s_mov_b64 s[14:15], src_private_base
	s_and_b64 s[20:21], s[20:21], exec
	s_cselect_b32 s3, s15, s17
	s_cselect_b32 s14, 24, s16
	v_mov_b32_e32 v2, s14
	v_mov_b32_e32 v3, s3
	flat_load_dwordx2 v[8:9], v[2:3]
	s_and_b64 vcc, exec, s[4:5]
	v_mov_b64_e32 v[6:7], s[18:19]
	s_cbranch_vccnz .LBB153_6
; %bb.5:
	v_mov_b64_e32 v[2:3], s[16:17]
	flat_load_dwordx2 v[6:7], v[2:3] offset:8
.LBB153_6:
	s_load_dwordx2 s[34:35], s[0:1], 0x0
	s_mov_b32 s4, 0
	v_lshl_add_u32 v34, v0, 4, 0
	v_lshl_add_u32 v1, v0, 3, 0
	v_add_u32_e32 v18, 0x10000, v34
	s_waitcnt lgkmcnt(0)
	v_mov_b64_e32 v[2:3], s[34:35]
	s_mov_b32 s5, s4
	s_mov_b32 s14, s4
	;; [unrolled: 1-line block ×3, first 2 shown]
	v_mov_b64_e32 v[16:17], s[34:35]
	v_mov_b64_e32 v[4:5], s[4:5]
	;; [unrolled: 1-line block ×3, first 2 shown]
	ds_write2st64_b64 v1, v[2:3], v[16:17] offset1:16
	v_add_u32_e32 v2, 0x4000, v18
	v_add_u32_e32 v16, 0x8000, v18
	ds_write2_b64 v2, v[4:5], v[14:15] offset1:1
	v_mov_b64_e32 v[2:3], s[34:35]
	ds_write2_b64 v16, v[4:5], v[14:15] offset1:1
	v_mov_b64_e32 v[16:17], s[34:35]
	ds_write2st64_b64 v1, v[2:3], v[16:17] offset0:32 offset1:48
	v_add_u32_e32 v2, 0xc000, v18
	v_add_u32_e32 v16, 0x20000, v34
	ds_write2_b64 v2, v[4:5], v[14:15] offset1:1
	v_mov_b64_e32 v[2:3], s[34:35]
	ds_write2_b64 v16, v[4:5], v[14:15] offset1:1
	v_mov_b64_e32 v[16:17], s[34:35]
	ds_write2st64_b64 v1, v[2:3], v[16:17] offset0:64 offset1:80
	;; [unrolled: 7-line block ×3, first 2 shown]
	v_add_u32_e32 v2, 0x2c000, v34
	ds_write2_b64 v18, v[4:5], v[14:15] offset1:1
	ds_write2_b64 v2, v[4:5], v[14:15] offset1:1
	s_waitcnt lgkmcnt(0)
	s_barrier
	s_load_dwordx2 s[8:9], s[8:9], 0x0
	s_mov_b32 s3, s4
	v_lshrrev_b32_e32 v35, 6, v0
	s_waitcnt lgkmcnt(0)
	s_lshl_b64 s[4:5], s[8:9], 3
	s_add_u32 s4, s10, s4
	s_addc_u32 s5, s11, s5
	s_lshl_b64 s[2:3], s[2:3], 3
	s_add_u32 s2, s4, s2
	s_addc_u32 s3, s5, s3
	s_load_dwordx2 s[40:41], s[2:3], 0x0
	s_andn2_b64 vcc, exec, s[6:7]
	s_cbranch_vccnz .LBB153_26
; %bb.7:
	s_load_dwordx2 s[2:3], s[0:1], 0x28
	s_waitcnt lgkmcnt(0)
	s_lshl_b64 s[4:5], s[40:41], 3
	v_subrev_co_u32_e32 v2, vcc, s36, v35
	s_add_u32 s2, s2, s4
	s_addc_u32 s3, s3, s5
	s_load_dwordx4 s[4:7], s[2:3], 0x0
	v_subb_co_u32_e64 v3, s[2:3], 0, 0, vcc
	s_waitcnt lgkmcnt(0)
	s_sub_u32 s2, s6, s36
	s_subb_u32 s3, s7, 0
	v_lshl_add_u64 v[14:15], s[4:5], 0, v[2:3]
	v_cmp_gt_i64_e32 vcc, s[2:3], v[14:15]
	s_and_saveexec_b64 s[14:15], vcc
	s_cbranch_execz .LBB153_25
; %bb.8:
	s_load_dwordx2 s[16:17], s[0:1], 0x50
	s_load_dwordx8 s[4:11], s[0:1], 0x30
	v_and_b32_e32 v2, 63, v0
	v_subrev_co_u32_e32 v16, vcc, s37, v2
	s_mov_b32 s33, s37
	s_nop 0
	v_subb_co_u32_e64 v17, s[18:19], 0, 0, vcc
	s_mov_b64 s[18:19], 0
	s_movk_i32 s37, 0x89
	s_branch .LBB153_10
.LBB153_9:                              ;   in Loop: Header=BB153_10 Depth=1
	s_or_b64 exec, exec, s[20:21]
	v_lshl_add_u64 v[14:15], v[14:15], 0, 16
	v_cmp_le_i64_e32 vcc, s[2:3], v[14:15]
	s_or_b64 s[18:19], vcc, s[18:19]
	s_andn2_b64 exec, exec, s[18:19]
	s_cbranch_execz .LBB153_25
.LBB153_10:                             ; =>This Loop Header: Depth=1
                                        ;     Child Loop BB153_14 Depth 2
                                        ;       Child Loop BB153_17 Depth 3
	s_waitcnt lgkmcnt(0)
	v_lshl_add_u64 v[2:3], v[14:15], 3, s[4:5]
	global_load_dwordx2 v[2:3], v[2:3], off
	s_waitcnt vmcnt(0)
	v_subrev_co_u32_e32 v2, vcc, s36, v2
	s_nop 1
	v_subbrev_co_u32_e32 v3, vcc, 0, v3, vcc
	v_lshl_add_u64 v[2:3], v[2:3], 3, s[8:9]
	global_load_dwordx4 v[2:5], v[2:3], off
	s_waitcnt vmcnt(0)
	v_subrev_co_u32_e32 v18, vcc, s33, v4
	s_nop 1
	v_subbrev_co_u32_e32 v19, vcc, 0, v5, vcc
	v_lshl_add_u64 v[20:21], v[2:3], 0, v[16:17]
	v_cmp_lt_i64_e32 vcc, v[20:21], v[18:19]
	s_and_saveexec_b64 s[20:21], vcc
	s_cbranch_execz .LBB153_9
; %bb.11:                               ;   in Loop: Header=BB153_10 Depth=1
	v_lshl_add_u64 v[2:3], v[14:15], 4, s[6:7]
	global_load_dwordx4 v[2:5], v[2:3], off
	s_mov_b64 s[22:23], 0
	s_waitcnt vmcnt(0)
	v_mul_f64 v[22:23], v[4:5], -v[12:13]
	v_mul_f64 v[24:25], v[10:11], v[4:5]
	v_fmac_f64_e32 v[22:23], v[10:11], v[2:3]
	v_fmac_f64_e32 v[24:25], v[12:13], v[2:3]
	s_branch .LBB153_14
.LBB153_12:                             ;   in Loop: Header=BB153_14 Depth=2
	s_or_b64 exec, exec, s[26:27]
.LBB153_13:                             ;   in Loop: Header=BB153_14 Depth=2
	s_or_b64 exec, exec, s[24:25]
	s_waitcnt vmcnt(0)
	v_mul_f64 v[28:29], v[4:5], -v[24:25]
	v_mul_f64 v[4:5], v[22:23], v[4:5]
	v_fmac_f64_e32 v[28:29], v[22:23], v[2:3]
	v_fmac_f64_e32 v[4:5], v[24:25], v[2:3]
	v_lshl_add_u32 v2, v26, 4, 0
	v_add_u32_e32 v2, 0x10000, v2
	ds_add_f64 v2, v[28:29]
	ds_add_f64 v2, v[4:5] offset:8
	v_lshl_add_u64 v[20:21], v[20:21], 0, 64
	v_cmp_ge_i64_e32 vcc, v[20:21], v[18:19]
	s_or_b64 s[22:23], vcc, s[22:23]
	s_andn2_b64 exec, exec, s[22:23]
	s_cbranch_execz .LBB153_9
.LBB153_14:                             ;   Parent Loop BB153_10 Depth=1
                                        ; =>  This Loop Header: Depth=2
                                        ;       Child Loop BB153_17 Depth 3
	v_lshl_add_u64 v[2:3], v[20:21], 3, s[10:11]
	global_load_dwordx2 v[26:27], v[2:3], off
	v_lshl_add_u64 v[2:3], v[20:21], 4, s[16:17]
	global_load_dwordx4 v[2:5], v[2:3], off
	s_waitcnt vmcnt(1)
	v_subrev_co_u32_e32 v28, vcc, s33, v26
	v_mul_lo_u32 v26, v28, s37
	v_and_b32_e32 v26, 0x1fff, v26
	v_lshl_add_u32 v36, v26, 3, 0
	ds_read_b64 v[32:33], v36
	v_subbrev_co_u32_e32 v29, vcc, 0, v27, vcc
	s_waitcnt lgkmcnt(0)
	v_cmp_ne_u64_e32 vcc, v[32:33], v[28:29]
	s_and_saveexec_b64 s[24:25], vcc
	s_cbranch_execz .LBB153_13
; %bb.15:                               ;   in Loop: Header=BB153_14 Depth=2
	s_mov_b64 s[26:27], 0
                                        ; implicit-def: $sgpr28_sgpr29
                                        ; implicit-def: $sgpr30_sgpr31
	s_branch .LBB153_17
.LBB153_16:                             ;   in Loop: Header=BB153_17 Depth=3
	s_or_b64 exec, exec, s[46:47]
	s_and_b64 s[42:43], exec, s[44:45]
	s_or_b64 s[26:27], s[42:43], s[26:27]
	s_andn2_b64 s[28:29], s[28:29], exec
	s_and_b64 s[42:43], s[30:31], exec
	s_or_b64 s[28:29], s[28:29], s[42:43]
	s_andn2_b64 exec, exec, s[26:27]
	s_cbranch_execz .LBB153_23
.LBB153_17:                             ;   Parent Loop BB153_10 Depth=1
                                        ;     Parent Loop BB153_14 Depth=2
                                        ; =>    This Inner Loop Header: Depth=3
	v_mov_b64_e32 v[30:31], v[26:27]
	v_cmp_ne_u64_e32 vcc, s[34:35], v[32:33]
	s_mov_b64 s[42:43], 0
                                        ; implicit-def: $vgpr26_vgpr27
	s_and_saveexec_b64 s[44:45], vcc
	s_xor_b64 s[44:45], exec, s[44:45]
; %bb.18:                               ;   in Loop: Header=BB153_17 Depth=3
	v_add_u32_e32 v26, 1, v30
	s_mov_b64 s[42:43], exec
	v_and_b32_e32 v26, 0x1fff, v26
                                        ; implicit-def: $vgpr36
; %bb.19:                               ;   in Loop: Header=BB153_17 Depth=3
	s_andn2_saveexec_b64 s[44:45], s[44:45]
	s_cbranch_execz .LBB153_21
; %bb.20:                               ;   in Loop: Header=BB153_17 Depth=3
	v_mov_b64_e32 v[26:27], s[34:35]
	ds_cmpst_rtn_b64 v[26:27], v36, v[26:27], v[28:29]
	s_andn2_b64 s[42:43], s[42:43], exec
	s_waitcnt lgkmcnt(0)
	v_cmp_ne_u64_e32 vcc, s[34:35], v[26:27]
	s_and_b64 s[46:47], vcc, exec
	s_or_b64 s[42:43], s[42:43], s[46:47]
	v_mov_b64_e32 v[26:27], v[30:31]
.LBB153_21:                             ;   in Loop: Header=BB153_17 Depth=3
	s_or_b64 exec, exec, s[44:45]
	s_mov_b64 s[44:45], -1
	s_or_b64 s[30:31], s[30:31], exec
                                        ; implicit-def: $vgpr36
                                        ; implicit-def: $vgpr32_vgpr33
	s_and_saveexec_b64 s[46:47], s[42:43]
	s_cbranch_execz .LBB153_16
; %bb.22:                               ;   in Loop: Header=BB153_17 Depth=3
	v_lshl_add_u32 v36, v26, 3, 0
	ds_read_b64 v[32:33], v36
	s_andn2_b64 s[30:31], s[30:31], exec
	s_waitcnt lgkmcnt(0)
	v_cmp_eq_u64_e32 vcc, v[32:33], v[28:29]
	s_orn2_b64 s[44:45], vcc, exec
	s_branch .LBB153_16
.LBB153_23:                             ;   in Loop: Header=BB153_14 Depth=2
	s_or_b64 exec, exec, s[26:27]
	s_and_saveexec_b64 s[26:27], s[28:29]
	s_xor_b64 s[26:27], exec, s[26:27]
	s_cbranch_execz .LBB153_12
; %bb.24:                               ;   in Loop: Header=BB153_14 Depth=2
	v_mov_b32_e32 v26, v30
	s_branch .LBB153_12
.LBB153_25:
	s_or_b64 exec, exec, s[14:15]
.LBB153_26:
	s_load_dwordx2 s[36:37], s[0:1], 0x90
	s_load_dwordx2 s[42:43], s[0:1], 0x80
	s_andn2_b64 vcc, exec, s[12:13]
	s_cbranch_vccnz .LBB153_43
; %bb.27:
	s_load_dwordx2 s[2:3], s[0:1], 0x68
	s_waitcnt lgkmcnt(0)
	s_lshl_b64 s[4:5], s[40:41], 3
	v_subrev_co_u32_e32 v2, vcc, s39, v0
	s_add_u32 s2, s2, s4
	s_addc_u32 s3, s3, s5
	s_load_dwordx4 s[4:7], s[2:3], 0x0
	v_subb_co_u32_e64 v3, s[2:3], 0, 0, vcc
	s_waitcnt lgkmcnt(0)
	s_sub_u32 s2, s6, s39
	s_subb_u32 s3, s7, 0
	s_waitcnt vmcnt(0)
	v_lshl_add_u64 v[10:11], s[4:5], 0, v[2:3]
	v_cmp_gt_i64_e32 vcc, s[2:3], v[10:11]
	s_and_saveexec_b64 s[8:9], vcc
	s_cbranch_execz .LBB153_42
; %bb.28:
	s_load_dwordx4 s[4:7], s[0:1], 0x70
	s_mov_b32 s26, s39
	s_mov_b64 s[0:1], 0
	s_movk_i32 s27, 0x89
	s_mov_b64 s[10:11], 0x400
	s_branch .LBB153_31
.LBB153_29:                             ;   in Loop: Header=BB153_31 Depth=1
	s_or_b64 exec, exec, s[14:15]
.LBB153_30:                             ;   in Loop: Header=BB153_31 Depth=1
	s_or_b64 exec, exec, s[12:13]
	s_waitcnt vmcnt(0)
	v_mul_f64 v[14:15], v[4:5], -v[6:7]
	v_mul_f64 v[4:5], v[8:9], v[4:5]
	v_fmac_f64_e32 v[14:15], v[8:9], v[2:3]
	v_fmac_f64_e32 v[4:5], v[6:7], v[2:3]
	v_lshl_add_u32 v2, v12, 4, 0
	v_add_u32_e32 v2, 0x10000, v2
	ds_add_f64 v2, v[14:15]
	ds_add_f64 v2, v[4:5] offset:8
	v_lshl_add_u64 v[10:11], v[10:11], 0, s[10:11]
	v_cmp_le_i64_e32 vcc, s[2:3], v[10:11]
	s_or_b64 s[0:1], vcc, s[0:1]
	s_andn2_b64 exec, exec, s[0:1]
	s_cbranch_execz .LBB153_42
.LBB153_31:                             ; =>This Loop Header: Depth=1
                                        ;     Child Loop BB153_34 Depth 2
	s_waitcnt lgkmcnt(0)
	v_lshl_add_u64 v[2:3], v[10:11], 3, s[4:5]
	global_load_dwordx2 v[12:13], v[2:3], off
	v_lshl_add_u64 v[2:3], v[10:11], 4, s[6:7]
	global_load_dwordx4 v[2:5], v[2:3], off
	s_waitcnt vmcnt(1)
	v_subrev_co_u32_e32 v14, vcc, s26, v12
	v_mul_lo_u32 v12, v14, s27
	v_and_b32_e32 v12, 0x1fff, v12
	v_lshl_add_u32 v20, v12, 3, 0
	ds_read_b64 v[18:19], v20
	v_subbrev_co_u32_e32 v15, vcc, 0, v13, vcc
	s_waitcnt lgkmcnt(0)
	v_cmp_ne_u64_e32 vcc, v[18:19], v[14:15]
	s_and_saveexec_b64 s[12:13], vcc
	s_cbranch_execz .LBB153_30
; %bb.32:                               ;   in Loop: Header=BB153_31 Depth=1
	s_mov_b64 s[14:15], 0
                                        ; implicit-def: $sgpr16_sgpr17
                                        ; implicit-def: $sgpr18_sgpr19
	s_branch .LBB153_34
.LBB153_33:                             ;   in Loop: Header=BB153_34 Depth=2
	s_or_b64 exec, exec, s[24:25]
	s_and_b64 s[20:21], exec, s[22:23]
	s_or_b64 s[14:15], s[20:21], s[14:15]
	s_andn2_b64 s[16:17], s[16:17], exec
	s_and_b64 s[20:21], s[18:19], exec
	s_or_b64 s[16:17], s[16:17], s[20:21]
	s_andn2_b64 exec, exec, s[14:15]
	s_cbranch_execz .LBB153_40
.LBB153_34:                             ;   Parent Loop BB153_31 Depth=1
                                        ; =>  This Inner Loop Header: Depth=2
	v_mov_b64_e32 v[16:17], v[12:13]
	v_cmp_ne_u64_e32 vcc, s[34:35], v[18:19]
	s_mov_b64 s[20:21], 0
                                        ; implicit-def: $vgpr12_vgpr13
	s_and_saveexec_b64 s[22:23], vcc
	s_xor_b64 s[22:23], exec, s[22:23]
; %bb.35:                               ;   in Loop: Header=BB153_34 Depth=2
	v_add_u32_e32 v12, 1, v16
	s_mov_b64 s[20:21], exec
	v_and_b32_e32 v12, 0x1fff, v12
                                        ; implicit-def: $vgpr20
; %bb.36:                               ;   in Loop: Header=BB153_34 Depth=2
	s_andn2_saveexec_b64 s[22:23], s[22:23]
	s_cbranch_execz .LBB153_38
; %bb.37:                               ;   in Loop: Header=BB153_34 Depth=2
	v_mov_b64_e32 v[12:13], s[34:35]
	ds_cmpst_rtn_b64 v[12:13], v20, v[12:13], v[14:15]
	s_andn2_b64 s[20:21], s[20:21], exec
	s_waitcnt lgkmcnt(0)
	v_cmp_ne_u64_e32 vcc, s[34:35], v[12:13]
	s_and_b64 s[24:25], vcc, exec
	s_or_b64 s[20:21], s[20:21], s[24:25]
	v_mov_b64_e32 v[12:13], v[16:17]
.LBB153_38:                             ;   in Loop: Header=BB153_34 Depth=2
	s_or_b64 exec, exec, s[22:23]
	s_mov_b64 s[22:23], -1
	s_or_b64 s[18:19], s[18:19], exec
                                        ; implicit-def: $vgpr20
                                        ; implicit-def: $vgpr18_vgpr19
	s_and_saveexec_b64 s[24:25], s[20:21]
	s_cbranch_execz .LBB153_33
; %bb.39:                               ;   in Loop: Header=BB153_34 Depth=2
	v_lshl_add_u32 v20, v12, 3, 0
	ds_read_b64 v[18:19], v20
	s_andn2_b64 s[18:19], s[18:19], exec
	s_waitcnt lgkmcnt(0)
	v_cmp_eq_u64_e32 vcc, v[18:19], v[14:15]
	s_orn2_b64 s[22:23], vcc, exec
	s_branch .LBB153_33
.LBB153_40:                             ;   in Loop: Header=BB153_31 Depth=1
	s_or_b64 exec, exec, s[14:15]
	s_and_saveexec_b64 s[14:15], s[16:17]
	s_xor_b64 s[14:15], exec, s[14:15]
	s_cbranch_execz .LBB153_29
; %bb.41:                               ;   in Loop: Header=BB153_31 Depth=1
	v_mov_b32_e32 v12, v16
	s_branch .LBB153_29
.LBB153_42:
	s_or_b64 exec, exec, s[8:9]
.LBB153_43:
	v_mbcnt_lo_u32_b32 v2, -1, 0
	v_mbcnt_hi_u32_b32 v2, -1, v2
	v_sub_u32_e32 v2, 63, v2
	s_add_i32 s33, 0, 0x30000
	s_movk_i32 s0, 0x3ff
	s_movk_i32 s2, 0x7f
	;; [unrolled: 1-line block ×15, first 2 shown]
	s_add_i32 s61, 0, 0x30078
	v_mov_b32_e32 v3, 0
	v_lshrrev_b64 v[4:5], v2, -1
	s_waitcnt vmcnt(0)
	v_lshl_add_u32 v12, v35, 3, s33
	v_cmp_eq_u32_e32 vcc, s0, v0
	v_cmp_lt_u32_e64 s[0:1], 63, v0
	v_cmp_lt_u32_e64 s[2:3], s2, v0
	;; [unrolled: 1-line block ×15, first 2 shown]
	v_or_b32_e32 v13, 0xfffffc00, v0
	v_add_u32_e32 v14, 0x10000, v34
	s_mov_b64 s[44:45], 0
	v_mov_b64_e32 v[6:7], 0
	s_add_i32 s39, 0, 0x30008
	s_add_i32 s48, 0, 0x30010
	;; [unrolled: 1-line block ×14, first 2 shown]
	v_mov_b32_e32 v15, s61
	s_movk_i32 s62, 0x1bff
	s_waitcnt lgkmcnt(0)
	s_barrier
	s_branch .LBB153_45
.LBB153_44:                             ;   in Loop: Header=BB153_45 Depth=1
	s_or_b64 exec, exec, s[30:31]
	s_waitcnt lgkmcnt(0)
	s_barrier
	ds_read_b64 v[8:9], v15
	v_add_u32_e32 v13, 0x400, v13
	v_cmp_lt_u32_e64 s[30:31], s62, v13
	v_add_u32_e32 v14, 0x4000, v14
	s_or_b64 s[44:45], s[30:31], s[44:45]
	s_waitcnt lgkmcnt(0)
	v_lshl_add_u64 v[6:7], v[8:9], 0, v[6:7]
	v_add_u32_e32 v1, 0x2000, v1
	s_andn2_b64 exec, exec, s[44:45]
	s_cbranch_execz .LBB153_79
.LBB153_45:                             ; =>This Inner Loop Header: Depth=1
	ds_read2_b64 v[16:19], v14 offset1:1
	ds_read_b64 v[8:9], v1
	s_waitcnt lgkmcnt(1)
	scratch_store_dwordx4 off, v[16:19], off
	s_waitcnt lgkmcnt(0)
	v_cmp_gt_i64_e64 s[30:31], s[34:35], v[8:9]
	s_bcnt1_i32_b64 s46, s[30:31]
	v_mov_b32_e32 v2, s46
	v_and_b32_e32 v11, s30, v4
	v_and_b32_e32 v10, s31, v5
	v_bcnt_u32_b32 v11, v11, 0
	v_bcnt_u32_b32 v10, v10, v11
	s_barrier
	ds_write_b64 v12, v[2:3]
	s_waitcnt lgkmcnt(0)
	s_barrier
	s_and_saveexec_b64 s[46:47], s[0:1]
	s_cbranch_execnz .LBB153_62
; %bb.46:                               ;   in Loop: Header=BB153_45 Depth=1
	s_or_b64 exec, exec, s[46:47]
	s_and_saveexec_b64 s[46:47], s[2:3]
	s_cbranch_execnz .LBB153_63
.LBB153_47:                             ;   in Loop: Header=BB153_45 Depth=1
	s_or_b64 exec, exec, s[46:47]
	s_and_saveexec_b64 s[46:47], s[4:5]
	s_cbranch_execnz .LBB153_64
.LBB153_48:                             ;   in Loop: Header=BB153_45 Depth=1
	s_or_b64 exec, exec, s[46:47]
	s_and_saveexec_b64 s[46:47], s[6:7]
	s_cbranch_execnz .LBB153_65
.LBB153_49:                             ;   in Loop: Header=BB153_45 Depth=1
	s_or_b64 exec, exec, s[46:47]
	s_and_saveexec_b64 s[46:47], s[8:9]
	s_cbranch_execnz .LBB153_66
.LBB153_50:                             ;   in Loop: Header=BB153_45 Depth=1
	s_or_b64 exec, exec, s[46:47]
	s_and_saveexec_b64 s[46:47], s[10:11]
	s_cbranch_execnz .LBB153_67
.LBB153_51:                             ;   in Loop: Header=BB153_45 Depth=1
	s_or_b64 exec, exec, s[46:47]
	s_and_saveexec_b64 s[46:47], s[12:13]
	s_cbranch_execnz .LBB153_68
.LBB153_52:                             ;   in Loop: Header=BB153_45 Depth=1
	s_or_b64 exec, exec, s[46:47]
	s_and_saveexec_b64 s[46:47], s[14:15]
	s_cbranch_execnz .LBB153_69
.LBB153_53:                             ;   in Loop: Header=BB153_45 Depth=1
	s_or_b64 exec, exec, s[46:47]
	s_and_saveexec_b64 s[46:47], s[16:17]
	s_cbranch_execnz .LBB153_70
.LBB153_54:                             ;   in Loop: Header=BB153_45 Depth=1
	s_or_b64 exec, exec, s[46:47]
	s_and_saveexec_b64 s[46:47], s[18:19]
	s_cbranch_execnz .LBB153_71
.LBB153_55:                             ;   in Loop: Header=BB153_45 Depth=1
	s_or_b64 exec, exec, s[46:47]
	s_and_saveexec_b64 s[46:47], s[20:21]
	s_cbranch_execnz .LBB153_72
.LBB153_56:                             ;   in Loop: Header=BB153_45 Depth=1
	s_or_b64 exec, exec, s[46:47]
	s_and_saveexec_b64 s[46:47], s[22:23]
	s_cbranch_execnz .LBB153_73
.LBB153_57:                             ;   in Loop: Header=BB153_45 Depth=1
	s_or_b64 exec, exec, s[46:47]
	s_and_saveexec_b64 s[46:47], s[24:25]
	s_cbranch_execnz .LBB153_74
.LBB153_58:                             ;   in Loop: Header=BB153_45 Depth=1
	s_or_b64 exec, exec, s[46:47]
	s_and_saveexec_b64 s[46:47], s[26:27]
	s_cbranch_execnz .LBB153_75
.LBB153_59:                             ;   in Loop: Header=BB153_45 Depth=1
	s_or_b64 exec, exec, s[46:47]
	s_and_saveexec_b64 s[46:47], s[28:29]
	s_cbranch_execnz .LBB153_76
.LBB153_60:                             ;   in Loop: Header=BB153_45 Depth=1
	s_or_b64 exec, exec, s[46:47]
	v_ashrrev_i32_e32 v11, 31, v10
	s_and_saveexec_b64 s[46:47], s[30:31]
	s_cbranch_execnz .LBB153_77
.LBB153_61:                             ;   in Loop: Header=BB153_45 Depth=1
	s_or_b64 exec, exec, s[46:47]
	s_and_saveexec_b64 s[30:31], vcc
	s_cbranch_execz .LBB153_44
	s_branch .LBB153_78
.LBB153_62:                             ;   in Loop: Header=BB153_45 Depth=1
	v_mov_b32_e32 v2, s33
	ds_read_b32 v2, v2
	s_waitcnt lgkmcnt(0)
	v_add_u32_e32 v10, v2, v10
	s_or_b64 exec, exec, s[46:47]
	s_and_saveexec_b64 s[46:47], s[2:3]
	s_cbranch_execz .LBB153_47
.LBB153_63:                             ;   in Loop: Header=BB153_45 Depth=1
	v_mov_b32_e32 v2, s39
	ds_read_b32 v2, v2
	s_waitcnt lgkmcnt(0)
	v_add_u32_e32 v10, v10, v2
	s_or_b64 exec, exec, s[46:47]
	s_and_saveexec_b64 s[46:47], s[4:5]
	s_cbranch_execz .LBB153_48
.LBB153_64:                             ;   in Loop: Header=BB153_45 Depth=1
	v_mov_b32_e32 v2, s48
	ds_read_b32 v2, v2
	s_waitcnt lgkmcnt(0)
	v_add_u32_e32 v10, v10, v2
	s_or_b64 exec, exec, s[46:47]
	s_and_saveexec_b64 s[46:47], s[6:7]
	s_cbranch_execz .LBB153_49
.LBB153_65:                             ;   in Loop: Header=BB153_45 Depth=1
	v_mov_b32_e32 v2, s49
	ds_read_b32 v2, v2
	s_waitcnt lgkmcnt(0)
	v_add_u32_e32 v10, v10, v2
	s_or_b64 exec, exec, s[46:47]
	s_and_saveexec_b64 s[46:47], s[8:9]
	s_cbranch_execz .LBB153_50
.LBB153_66:                             ;   in Loop: Header=BB153_45 Depth=1
	v_mov_b32_e32 v2, s50
	ds_read_b32 v2, v2
	s_waitcnt lgkmcnt(0)
	v_add_u32_e32 v10, v10, v2
	s_or_b64 exec, exec, s[46:47]
	s_and_saveexec_b64 s[46:47], s[10:11]
	s_cbranch_execz .LBB153_51
.LBB153_67:                             ;   in Loop: Header=BB153_45 Depth=1
	v_mov_b32_e32 v2, s51
	ds_read_b32 v2, v2
	s_waitcnt lgkmcnt(0)
	v_add_u32_e32 v10, v10, v2
	s_or_b64 exec, exec, s[46:47]
	s_and_saveexec_b64 s[46:47], s[12:13]
	s_cbranch_execz .LBB153_52
.LBB153_68:                             ;   in Loop: Header=BB153_45 Depth=1
	v_mov_b32_e32 v2, s52
	ds_read_b32 v2, v2
	s_waitcnt lgkmcnt(0)
	v_add_u32_e32 v10, v10, v2
	s_or_b64 exec, exec, s[46:47]
	s_and_saveexec_b64 s[46:47], s[14:15]
	s_cbranch_execz .LBB153_53
.LBB153_69:                             ;   in Loop: Header=BB153_45 Depth=1
	v_mov_b32_e32 v2, s53
	ds_read_b32 v2, v2
	s_waitcnt lgkmcnt(0)
	v_add_u32_e32 v10, v10, v2
	s_or_b64 exec, exec, s[46:47]
	s_and_saveexec_b64 s[46:47], s[16:17]
	s_cbranch_execz .LBB153_54
.LBB153_70:                             ;   in Loop: Header=BB153_45 Depth=1
	v_mov_b32_e32 v2, s54
	ds_read_b32 v2, v2
	s_waitcnt lgkmcnt(0)
	v_add_u32_e32 v10, v10, v2
	s_or_b64 exec, exec, s[46:47]
	s_and_saveexec_b64 s[46:47], s[18:19]
	s_cbranch_execz .LBB153_55
.LBB153_71:                             ;   in Loop: Header=BB153_45 Depth=1
	v_mov_b32_e32 v2, s55
	ds_read_b32 v2, v2
	s_waitcnt lgkmcnt(0)
	v_add_u32_e32 v10, v10, v2
	s_or_b64 exec, exec, s[46:47]
	s_and_saveexec_b64 s[46:47], s[20:21]
	s_cbranch_execz .LBB153_56
.LBB153_72:                             ;   in Loop: Header=BB153_45 Depth=1
	v_mov_b32_e32 v2, s56
	ds_read_b32 v2, v2
	s_waitcnt lgkmcnt(0)
	v_add_u32_e32 v10, v10, v2
	s_or_b64 exec, exec, s[46:47]
	s_and_saveexec_b64 s[46:47], s[22:23]
	s_cbranch_execz .LBB153_57
.LBB153_73:                             ;   in Loop: Header=BB153_45 Depth=1
	v_mov_b32_e32 v2, s57
	ds_read_b32 v2, v2
	s_waitcnt lgkmcnt(0)
	v_add_u32_e32 v10, v10, v2
	s_or_b64 exec, exec, s[46:47]
	s_and_saveexec_b64 s[46:47], s[24:25]
	s_cbranch_execz .LBB153_58
.LBB153_74:                             ;   in Loop: Header=BB153_45 Depth=1
	v_mov_b32_e32 v2, s58
	ds_read_b32 v2, v2
	s_waitcnt lgkmcnt(0)
	v_add_u32_e32 v10, v10, v2
	s_or_b64 exec, exec, s[46:47]
	s_and_saveexec_b64 s[46:47], s[26:27]
	s_cbranch_execz .LBB153_59
.LBB153_75:                             ;   in Loop: Header=BB153_45 Depth=1
	v_mov_b32_e32 v2, s59
	ds_read_b32 v2, v2
	s_waitcnt lgkmcnt(0)
	v_add_u32_e32 v10, v10, v2
	s_or_b64 exec, exec, s[46:47]
	s_and_saveexec_b64 s[46:47], s[28:29]
	s_cbranch_execz .LBB153_60
.LBB153_76:                             ;   in Loop: Header=BB153_45 Depth=1
	v_mov_b32_e32 v2, s60
	ds_read_b32 v2, v2
	s_waitcnt lgkmcnt(0)
	v_add_u32_e32 v10, v10, v2
	s_or_b64 exec, exec, s[46:47]
	v_ashrrev_i32_e32 v11, 31, v10
	s_and_saveexec_b64 s[46:47], s[30:31]
	s_cbranch_execz .LBB153_61
.LBB153_77:                             ;   in Loop: Header=BB153_45 Depth=1
	scratch_load_dwordx4 v[16:19], off, off
	v_add3_u32 v2, v6, -1, v10
	v_add_u32_e32 v20, v6, v10
	v_lshl_add_u32 v2, v2, 3, 0
	v_lshl_add_u32 v20, v20, 4, 0
	v_add_u32_e32 v20, 0xfff0, v20
	ds_write_b64 v2, v[8:9]
	s_waitcnt vmcnt(0)
	ds_write2_b64 v20, v[16:17], v[18:19] offset1:1
	s_or_b64 exec, exec, s[46:47]
	s_and_saveexec_b64 s[30:31], vcc
	s_cbranch_execz .LBB153_44
.LBB153_78:                             ;   in Loop: Header=BB153_45 Depth=1
	v_mov_b32_e32 v2, s61
	ds_write_b64 v2, v[10:11]
	s_branch .LBB153_44
.LBB153_79:
	s_or_b64 exec, exec, s[44:45]
	s_lshl_b64 s[0:1], s[40:41], 3
	s_add_u32 s4, s42, s0
	s_addc_u32 s5, s43, s1
	s_load_dwordx4 s[0:3], s[4:5], 0x0
	v_mov_b32_e32 v1, 0
	s_waitcnt lgkmcnt(0)
	s_sub_u32 s4, s2, s0
	s_subb_u32 s5, s3, s1
	v_cmp_gt_i64_e32 vcc, s[4:5], v[0:1]
	s_and_saveexec_b64 s[6:7], vcc
	s_cbranch_execz .LBB153_89
; %bb.80:
	s_sub_u32 s8, s0, s38
	s_subb_u32 s9, s1, 0
	s_and_b32 s6, s4, 7
	s_sub_u32 s0, s0, s2
	s_mov_b32 s7, 0
	s_subb_u32 s1, s1, s3
	s_and_b32 s10, s4, -8
	s_cmp_lg_u64 s[6:7], 0
	v_cmp_lt_u64_e64 s[0:1], s[0:1], -7
	s_cselect_b64 s[2:3], -1, 0
	s_mov_b32 s11, s5
	v_cndmask_b32_e64 v2, 0, 1, s[0:1]
	v_cmp_ne_u32_e64 s[0:1], 1, v2
	v_cndmask_b32_e64 v2, 0, 1, s[2:3]
	s_mov_b64 s[12:13], 0
	v_cmp_ne_u32_e64 s[2:3], 1, v2
	s_mov_b64 s[14:15], 0x400
	s_branch .LBB153_82
.LBB153_81:                             ;   in Loop: Header=BB153_82 Depth=1
	s_waitcnt lgkmcnt(0)
	v_lshl_add_u32 v2, v0, 4, 0
	v_add_u32_e32 v2, 0x10000, v2
	ds_read2_b64 v[6:9], v2 offset1:1
	v_lshl_add_u64 v[0:1], v[0:1], 0, s[14:15]
	v_cmp_le_i64_e32 vcc, s[4:5], v[0:1]
	v_lshl_add_u64 v[2:3], v[4:5], 4, s[36:37]
	s_or_b64 s[12:13], vcc, s[12:13]
	s_waitcnt lgkmcnt(0)
	global_store_dwordx4 v[2:3], v[6:9], off
	s_andn2_b64 exec, exec, s[12:13]
	s_cbranch_execz .LBB153_89
.LBB153_82:                             ; =>This Loop Header: Depth=1
                                        ;     Child Loop BB153_84 Depth 2
                                        ;     Child Loop BB153_88 Depth 2
	v_lshl_add_u32 v2, v0, 3, 0
	ds_read_b64 v[2:3], v2
	s_and_b64 vcc, exec, s[0:1]
	v_mov_b64_e32 v[4:5], s[8:9]
	s_mov_b64 s[16:17], 0
	s_cbranch_vccnz .LBB153_86
; %bb.83:                               ;   in Loop: Header=BB153_82 Depth=1
	s_mov_b32 s18, 0
	v_mov_b64_e32 v[4:5], s[8:9]
.LBB153_84:                             ;   Parent Loop BB153_82 Depth=1
                                        ; =>  This Inner Loop Header: Depth=2
	v_mov_b32_e32 v18, s18
	ds_read2_b64 v[6:9], v18 offset1:1
	ds_read2_b64 v[10:13], v18 offset0:2 offset1:3
	ds_read2_b64 v[14:17], v18 offset0:4 offset1:5
	;; [unrolled: 1-line block ×3, first 2 shown]
	v_mov_b32_e32 v23, s7
	s_waitcnt lgkmcnt(3)
	v_cmp_gt_i64_e32 vcc, v[2:3], v[6:7]
	v_mov_b32_e32 v25, s7
	v_mov_b32_e32 v27, s7
	v_cndmask_b32_e64 v22, 0, 1, vcc
	v_cmp_gt_i64_e32 vcc, v[2:3], v[8:9]
	v_lshl_add_u64 v[4:5], v[4:5], 0, v[22:23]
	v_mov_b32_e32 v29, s7
	v_cndmask_b32_e64 v24, 0, 1, vcc
	s_waitcnt lgkmcnt(2)
	v_cmp_gt_i64_e32 vcc, v[2:3], v[10:11]
	v_lshl_add_u64 v[4:5], v[4:5], 0, v[24:25]
	v_mov_b32_e32 v31, s7
	v_cndmask_b32_e64 v26, 0, 1, vcc
	v_cmp_gt_i64_e32 vcc, v[2:3], v[12:13]
	v_lshl_add_u64 v[4:5], v[4:5], 0, v[26:27]
	v_mov_b32_e32 v33, s7
	v_cndmask_b32_e64 v28, 0, 1, vcc
	s_waitcnt lgkmcnt(1)
	v_cmp_gt_i64_e32 vcc, v[2:3], v[14:15]
	v_lshl_add_u64 v[4:5], v[4:5], 0, v[28:29]
	v_mov_b32_e32 v35, s7
	v_cndmask_b32_e64 v30, 0, 1, vcc
	v_cmp_gt_i64_e32 vcc, v[2:3], v[16:17]
	v_lshl_add_u64 v[4:5], v[4:5], 0, v[30:31]
	s_add_u32 s16, s16, 8
	v_cndmask_b32_e64 v32, 0, 1, vcc
	s_waitcnt lgkmcnt(0)
	v_cmp_gt_i64_e32 vcc, v[2:3], v[18:19]
	v_lshl_add_u64 v[4:5], v[4:5], 0, v[32:33]
	v_mov_b32_e32 v37, s7
	v_cndmask_b32_e64 v34, 0, 1, vcc
	v_cmp_gt_i64_e32 vcc, v[2:3], v[20:21]
	s_addc_u32 s17, s17, 0
	s_add_i32 s18, s18, 64
	v_cndmask_b32_e64 v36, 0, 1, vcc
	v_lshl_add_u64 v[4:5], v[4:5], 0, v[34:35]
	s_cmp_eq_u64 s[10:11], s[16:17]
	v_lshl_add_u64 v[4:5], v[4:5], 0, v[36:37]
	s_cbranch_scc0 .LBB153_84
; %bb.85:                               ;   in Loop: Header=BB153_82 Depth=1
	s_mov_b64 s[16:17], s[10:11]
.LBB153_86:                             ;   in Loop: Header=BB153_82 Depth=1
	s_and_b64 vcc, exec, s[2:3]
	s_cbranch_vccnz .LBB153_81
; %bb.87:                               ;   in Loop: Header=BB153_82 Depth=1
	s_lshl_b32 s16, s16, 3
	s_add_i32 s18, s16, 0
	s_mov_b64 s[16:17], s[6:7]
.LBB153_88:                             ;   Parent Loop BB153_82 Depth=1
                                        ; =>  This Inner Loop Header: Depth=2
	v_mov_b32_e32 v6, s18
	ds_read_b64 v[8:9], v6
	s_add_i32 s18, s18, 8
	s_add_u32 s16, s16, -1
	v_mov_b32_e32 v7, s7
	s_addc_u32 s17, s17, -1
	s_waitcnt lgkmcnt(0)
	v_cmp_gt_i64_e32 vcc, v[2:3], v[8:9]
	s_cmp_lg_u64 s[16:17], 0
	s_nop 0
	v_cndmask_b32_e64 v6, 0, 1, vcc
	v_lshl_add_u64 v[4:5], v[4:5], 0, v[6:7]
	s_cbranch_scc1 .LBB153_88
	s_branch .LBB153_81
.LBB153_89:
	s_endpgm
	.section	.rodata,"a",@progbits
	.p2align	6, 0x0
	.amdhsa_kernel _ZN9rocsparseL41csrgemm_numeric_fill_block_per_row_kernelILj1024ELj64ELj8192ELj137ELj64Ell21rocsparse_complex_numIdEEEvT5_PKS3_S5_NS_24const_host_device_scalarIT6_EEPKT4_S5_PKS7_SB_S5_SD_S8_SB_S5_SD_SB_S5_PS7_21rocsparse_index_base_SF_SF_SF_bbb
		.amdhsa_group_segment_fixed_size 0
		.amdhsa_private_segment_fixed_size 40
		.amdhsa_kernarg_size 172
		.amdhsa_user_sgpr_count 2
		.amdhsa_user_sgpr_dispatch_ptr 0
		.amdhsa_user_sgpr_queue_ptr 0
		.amdhsa_user_sgpr_kernarg_segment_ptr 1
		.amdhsa_user_sgpr_dispatch_id 0
		.amdhsa_user_sgpr_kernarg_preload_length 0
		.amdhsa_user_sgpr_kernarg_preload_offset 0
		.amdhsa_user_sgpr_private_segment_size 0
		.amdhsa_uses_dynamic_stack 0
		.amdhsa_enable_private_segment 1
		.amdhsa_system_sgpr_workgroup_id_x 1
		.amdhsa_system_sgpr_workgroup_id_y 0
		.amdhsa_system_sgpr_workgroup_id_z 0
		.amdhsa_system_sgpr_workgroup_info 0
		.amdhsa_system_vgpr_workitem_id 0
		.amdhsa_next_free_vgpr 38
		.amdhsa_next_free_sgpr 63
		.amdhsa_accum_offset 40
		.amdhsa_reserve_vcc 1
		.amdhsa_float_round_mode_32 0
		.amdhsa_float_round_mode_16_64 0
		.amdhsa_float_denorm_mode_32 3
		.amdhsa_float_denorm_mode_16_64 3
		.amdhsa_dx10_clamp 1
		.amdhsa_ieee_mode 1
		.amdhsa_fp16_overflow 0
		.amdhsa_tg_split 0
		.amdhsa_exception_fp_ieee_invalid_op 0
		.amdhsa_exception_fp_denorm_src 0
		.amdhsa_exception_fp_ieee_div_zero 0
		.amdhsa_exception_fp_ieee_overflow 0
		.amdhsa_exception_fp_ieee_underflow 0
		.amdhsa_exception_fp_ieee_inexact 0
		.amdhsa_exception_int_div_zero 0
	.end_amdhsa_kernel
	.section	.text._ZN9rocsparseL41csrgemm_numeric_fill_block_per_row_kernelILj1024ELj64ELj8192ELj137ELj64Ell21rocsparse_complex_numIdEEEvT5_PKS3_S5_NS_24const_host_device_scalarIT6_EEPKT4_S5_PKS7_SB_S5_SD_S8_SB_S5_SD_SB_S5_PS7_21rocsparse_index_base_SF_SF_SF_bbb,"axG",@progbits,_ZN9rocsparseL41csrgemm_numeric_fill_block_per_row_kernelILj1024ELj64ELj8192ELj137ELj64Ell21rocsparse_complex_numIdEEEvT5_PKS3_S5_NS_24const_host_device_scalarIT6_EEPKT4_S5_PKS7_SB_S5_SD_S8_SB_S5_SD_SB_S5_PS7_21rocsparse_index_base_SF_SF_SF_bbb,comdat
.Lfunc_end153:
	.size	_ZN9rocsparseL41csrgemm_numeric_fill_block_per_row_kernelILj1024ELj64ELj8192ELj137ELj64Ell21rocsparse_complex_numIdEEEvT5_PKS3_S5_NS_24const_host_device_scalarIT6_EEPKT4_S5_PKS7_SB_S5_SD_S8_SB_S5_SD_SB_S5_PS7_21rocsparse_index_base_SF_SF_SF_bbb, .Lfunc_end153-_ZN9rocsparseL41csrgemm_numeric_fill_block_per_row_kernelILj1024ELj64ELj8192ELj137ELj64Ell21rocsparse_complex_numIdEEEvT5_PKS3_S5_NS_24const_host_device_scalarIT6_EEPKT4_S5_PKS7_SB_S5_SD_S8_SB_S5_SD_SB_S5_PS7_21rocsparse_index_base_SF_SF_SF_bbb
                                        ; -- End function
	.set _ZN9rocsparseL41csrgemm_numeric_fill_block_per_row_kernelILj1024ELj64ELj8192ELj137ELj64Ell21rocsparse_complex_numIdEEEvT5_PKS3_S5_NS_24const_host_device_scalarIT6_EEPKT4_S5_PKS7_SB_S5_SD_S8_SB_S5_SD_SB_S5_PS7_21rocsparse_index_base_SF_SF_SF_bbb.num_vgpr, 38
	.set _ZN9rocsparseL41csrgemm_numeric_fill_block_per_row_kernelILj1024ELj64ELj8192ELj137ELj64Ell21rocsparse_complex_numIdEEEvT5_PKS3_S5_NS_24const_host_device_scalarIT6_EEPKT4_S5_PKS7_SB_S5_SD_S8_SB_S5_SD_SB_S5_PS7_21rocsparse_index_base_SF_SF_SF_bbb.num_agpr, 0
	.set _ZN9rocsparseL41csrgemm_numeric_fill_block_per_row_kernelILj1024ELj64ELj8192ELj137ELj64Ell21rocsparse_complex_numIdEEEvT5_PKS3_S5_NS_24const_host_device_scalarIT6_EEPKT4_S5_PKS7_SB_S5_SD_S8_SB_S5_SD_SB_S5_PS7_21rocsparse_index_base_SF_SF_SF_bbb.numbered_sgpr, 63
	.set _ZN9rocsparseL41csrgemm_numeric_fill_block_per_row_kernelILj1024ELj64ELj8192ELj137ELj64Ell21rocsparse_complex_numIdEEEvT5_PKS3_S5_NS_24const_host_device_scalarIT6_EEPKT4_S5_PKS7_SB_S5_SD_S8_SB_S5_SD_SB_S5_PS7_21rocsparse_index_base_SF_SF_SF_bbb.num_named_barrier, 0
	.set _ZN9rocsparseL41csrgemm_numeric_fill_block_per_row_kernelILj1024ELj64ELj8192ELj137ELj64Ell21rocsparse_complex_numIdEEEvT5_PKS3_S5_NS_24const_host_device_scalarIT6_EEPKT4_S5_PKS7_SB_S5_SD_S8_SB_S5_SD_SB_S5_PS7_21rocsparse_index_base_SF_SF_SF_bbb.private_seg_size, 40
	.set _ZN9rocsparseL41csrgemm_numeric_fill_block_per_row_kernelILj1024ELj64ELj8192ELj137ELj64Ell21rocsparse_complex_numIdEEEvT5_PKS3_S5_NS_24const_host_device_scalarIT6_EEPKT4_S5_PKS7_SB_S5_SD_S8_SB_S5_SD_SB_S5_PS7_21rocsparse_index_base_SF_SF_SF_bbb.uses_vcc, 1
	.set _ZN9rocsparseL41csrgemm_numeric_fill_block_per_row_kernelILj1024ELj64ELj8192ELj137ELj64Ell21rocsparse_complex_numIdEEEvT5_PKS3_S5_NS_24const_host_device_scalarIT6_EEPKT4_S5_PKS7_SB_S5_SD_S8_SB_S5_SD_SB_S5_PS7_21rocsparse_index_base_SF_SF_SF_bbb.uses_flat_scratch, 0
	.set _ZN9rocsparseL41csrgemm_numeric_fill_block_per_row_kernelILj1024ELj64ELj8192ELj137ELj64Ell21rocsparse_complex_numIdEEEvT5_PKS3_S5_NS_24const_host_device_scalarIT6_EEPKT4_S5_PKS7_SB_S5_SD_S8_SB_S5_SD_SB_S5_PS7_21rocsparse_index_base_SF_SF_SF_bbb.has_dyn_sized_stack, 0
	.set _ZN9rocsparseL41csrgemm_numeric_fill_block_per_row_kernelILj1024ELj64ELj8192ELj137ELj64Ell21rocsparse_complex_numIdEEEvT5_PKS3_S5_NS_24const_host_device_scalarIT6_EEPKT4_S5_PKS7_SB_S5_SD_S8_SB_S5_SD_SB_S5_PS7_21rocsparse_index_base_SF_SF_SF_bbb.has_recursion, 0
	.set _ZN9rocsparseL41csrgemm_numeric_fill_block_per_row_kernelILj1024ELj64ELj8192ELj137ELj64Ell21rocsparse_complex_numIdEEEvT5_PKS3_S5_NS_24const_host_device_scalarIT6_EEPKT4_S5_PKS7_SB_S5_SD_S8_SB_S5_SD_SB_S5_PS7_21rocsparse_index_base_SF_SF_SF_bbb.has_indirect_call, 0
	.section	.AMDGPU.csdata,"",@progbits
; Kernel info:
; codeLenInByte = 3752
; TotalNumSgprs: 69
; NumVgprs: 38
; NumAgprs: 0
; TotalNumVgprs: 38
; ScratchSize: 40
; MemoryBound: 0
; FloatMode: 240
; IeeeMode: 1
; LDSByteSize: 0 bytes/workgroup (compile time only)
; SGPRBlocks: 8
; VGPRBlocks: 4
; NumSGPRsForWavesPerEU: 69
; NumVGPRsForWavesPerEU: 38
; AccumOffset: 40
; Occupancy: 8
; WaveLimiterHint : 1
; COMPUTE_PGM_RSRC2:SCRATCH_EN: 1
; COMPUTE_PGM_RSRC2:USER_SGPR: 2
; COMPUTE_PGM_RSRC2:TRAP_HANDLER: 0
; COMPUTE_PGM_RSRC2:TGID_X_EN: 1
; COMPUTE_PGM_RSRC2:TGID_Y_EN: 0
; COMPUTE_PGM_RSRC2:TGID_Z_EN: 0
; COMPUTE_PGM_RSRC2:TIDIG_COMP_CNT: 0
; COMPUTE_PGM_RSRC3_GFX90A:ACCUM_OFFSET: 9
; COMPUTE_PGM_RSRC3_GFX90A:TG_SPLIT: 0
	.section	.text._ZN9rocsparseL41csrgemm_numeric_fill_block_per_row_kernelILj1024ELj64ELj16384ELj137ELj32Ell21rocsparse_complex_numIdEEEvT5_PKS3_S5_NS_24const_host_device_scalarIT6_EEPKT4_S5_PKS7_SB_S5_SD_S8_SB_S5_SD_SB_S5_PS7_21rocsparse_index_base_SF_SF_SF_bbb,"axG",@progbits,_ZN9rocsparseL41csrgemm_numeric_fill_block_per_row_kernelILj1024ELj64ELj16384ELj137ELj32Ell21rocsparse_complex_numIdEEEvT5_PKS3_S5_NS_24const_host_device_scalarIT6_EEPKT4_S5_PKS7_SB_S5_SD_S8_SB_S5_SD_SB_S5_PS7_21rocsparse_index_base_SF_SF_SF_bbb,comdat
	.globl	_ZN9rocsparseL41csrgemm_numeric_fill_block_per_row_kernelILj1024ELj64ELj16384ELj137ELj32Ell21rocsparse_complex_numIdEEEvT5_PKS3_S5_NS_24const_host_device_scalarIT6_EEPKT4_S5_PKS7_SB_S5_SD_S8_SB_S5_SD_SB_S5_PS7_21rocsparse_index_base_SF_SF_SF_bbb ; -- Begin function _ZN9rocsparseL41csrgemm_numeric_fill_block_per_row_kernelILj1024ELj64ELj16384ELj137ELj32Ell21rocsparse_complex_numIdEEEvT5_PKS3_S5_NS_24const_host_device_scalarIT6_EEPKT4_S5_PKS7_SB_S5_SD_S8_SB_S5_SD_SB_S5_PS7_21rocsparse_index_base_SF_SF_SF_bbb
	.p2align	8
	.type	_ZN9rocsparseL41csrgemm_numeric_fill_block_per_row_kernelILj1024ELj64ELj16384ELj137ELj32Ell21rocsparse_complex_numIdEEEvT5_PKS3_S5_NS_24const_host_device_scalarIT6_EEPKT4_S5_PKS7_SB_S5_SD_S8_SB_S5_SD_SB_S5_PS7_21rocsparse_index_base_SF_SF_SF_bbb,@function
_ZN9rocsparseL41csrgemm_numeric_fill_block_per_row_kernelILj1024ELj64ELj16384ELj137ELj32Ell21rocsparse_complex_numIdEEEvT5_PKS3_S5_NS_24const_host_device_scalarIT6_EEPKT4_S5_PKS7_SB_S5_SD_S8_SB_S5_SD_SB_S5_PS7_21rocsparse_index_base_SF_SF_SF_bbb: ; @_ZN9rocsparseL41csrgemm_numeric_fill_block_per_row_kernelILj1024ELj64ELj16384ELj137ELj32Ell21rocsparse_complex_numIdEEEvT5_PKS3_S5_NS_24const_host_device_scalarIT6_EEPKT4_S5_PKS7_SB_S5_SD_S8_SB_S5_SD_SB_S5_PS7_21rocsparse_index_base_SF_SF_SF_bbb
; %bb.0:
	s_load_dword s3, s[0:1], 0xa8
	s_load_dwordx4 s[40:43], s[0:1], 0x98
	s_load_dwordx4 s[8:11], s[0:1], 0x18
	;; [unrolled: 1-line block ×3, first 2 shown]
	v_mov_b64_e32 v[6:7], 0
	s_waitcnt lgkmcnt(0)
	s_bitcmp1_b32 s3, 0
	s_cselect_b64 s[28:29], -1, 0
	s_bitcmp1_b32 s3, 16
	s_cselect_b64 s[30:31], -1, 0
	s_xor_b64 s[4:5], s[30:31], -1
	v_mov_b64_e32 v[2:3], s[8:9]
	v_cndmask_b32_e64 v1, 0, 1, s[4:5]
	scratch_store_dwordx2 off, v[2:3], off offset:16
	v_mov_b64_e32 v[2:3], s[24:25]
	s_bitcmp0_b32 s3, 0
	v_cmp_ne_u32_e64 s[4:5], 1, v1
	v_mov_b64_e32 v[10:11], 0
	v_mov_b64_e32 v[12:13], 0
	scratch_store_dwordx2 off, v[2:3], off offset:24
	s_cbranch_scc1 .LBB154_3
; %bb.1:
	s_mov_b64 s[6:7], src_private_base
	s_and_b64 s[12:13], s[30:31], exec
	s_cselect_b32 s6, s7, s9
	s_cselect_b32 s7, 16, s8
	v_mov_b32_e32 v2, s7
	v_mov_b32_e32 v3, s6
	flat_load_dwordx2 v[10:11], v[2:3]
	s_and_b64 vcc, exec, s[4:5]
	v_mov_b64_e32 v[12:13], s[10:11]
	s_cbranch_vccnz .LBB154_3
; %bb.2:
	v_mov_b64_e32 v[2:3], s[8:9]
	flat_load_dwordx2 v[12:13], v[2:3] offset:8
.LBB154_3:
	s_load_dwordx2 s[6:7], s[0:1], 0x90
	s_load_dwordx8 s[44:51], s[0:1], 0x68
	s_load_dwordx4 s[16:19], s[0:1], 0x48
	s_load_dwordx4 s[20:23], s[0:1], 0x8
	s_load_dwordx8 s[8:15], s[0:1], 0x28
                                        ; implicit-def: $vgpr38 : SGPR spill to VGPR lane
	s_bitcmp1_b32 s3, 8
	v_mov_b64_e32 v[8:9], 0
	s_waitcnt lgkmcnt(0)
	v_writelane_b32 v38, s6, 0
	s_nop 1
	v_writelane_b32 v38, s7, 1
	s_cselect_b64 s[6:7], -1, 0
	s_bfe_u32 s3, s3, 0x10008
	s_cmp_eq_u32 s3, 0
	s_cbranch_scc1 .LBB154_6
; %bb.4:
	s_mov_b64 s[34:35], src_private_base
	s_and_b64 s[30:31], s[30:31], exec
	s_cselect_b32 s3, s35, s25
	s_cselect_b32 s30, 24, s24
	v_mov_b32_e32 v2, s30
	v_mov_b32_e32 v3, s3
	flat_load_dwordx2 v[8:9], v[2:3]
	s_and_b64 vcc, exec, s[4:5]
	v_mov_b64_e32 v[6:7], s[26:27]
	s_cbranch_vccnz .LBB154_6
; %bb.5:
	v_mov_b64_e32 v[2:3], s[24:25]
	flat_load_dwordx2 v[6:7], v[2:3] offset:8
.LBB154_6:
	s_load_dwordx2 s[74:75], s[0:1], 0x0
	v_lshlrev_b32_e32 v2, 4, v0
	s_mov_b32 s4, 0
	v_or_b32_e32 v1, 0xfffffc00, v0
	v_add_u32_e32 v35, 0, v2
	v_lshl_add_u32 v34, v0, 3, 0
	s_mov_b32 s5, s4
	s_mov_b32 s24, s4
	;; [unrolled: 1-line block ×3, first 2 shown]
	v_add_u32_e32 v14, 0x20008, v35
	s_mov_b64 s[0:1], 0
	s_waitcnt lgkmcnt(0)
	v_mov_b64_e32 v[18:19], s[74:75]
	v_mov_b64_e32 v[2:3], s[4:5]
	;; [unrolled: 1-line block ×3, first 2 shown]
	s_movk_i32 s3, 0x3bff
	v_mov_b32_e32 v15, v34
	v_mov_b32_e32 v16, v1
.LBB154_7:                              ; =>This Inner Loop Header: Depth=1
	v_add_u32_e32 v16, 0x400, v16
	v_cmp_lt_u32_e32 vcc, s3, v16
	ds_write_b64 v15, v[18:19]
	v_add_u32_e32 v17, -8, v14
	v_add_u32_e32 v14, 0x4000, v14
	v_add_u32_e32 v15, 0x2000, v15
	s_or_b64 s[0:1], vcc, s[0:1]
	ds_write2_b64 v17, v[2:3], v[4:5] offset1:1
	s_andn2_b64 exec, exec, s[0:1]
	s_cbranch_execnz .LBB154_7
; %bb.8:
	s_or_b64 exec, exec, s[0:1]
	s_waitcnt lgkmcnt(0)
	s_barrier
	s_load_dwordx2 s[0:1], s[20:21], 0x0
	s_mov_b32 s3, 0
	s_waitcnt lgkmcnt(0)
	s_lshl_b64 s[0:1], s[0:1], 3
	s_add_u32 s4, s22, s0
	s_addc_u32 s5, s23, s1
	s_lshl_b64 s[0:1], s[2:3], 3
	s_add_u32 s0, s4, s0
	s_addc_u32 s1, s5, s1
	s_load_dwordx2 s[52:53], s[0:1], 0x0
	s_and_b64 vcc, exec, s[28:29]
	s_cbranch_vccz .LBB154_28
; %bb.9:
	s_waitcnt lgkmcnt(0)
	s_lshl_b64 s[0:1], s[52:53], 3
	s_add_u32 s0, s8, s0
	s_addc_u32 s1, s9, s1
	s_load_dwordx4 s[20:23], s[0:1], 0x0
	v_lshrrev_b32_e32 v2, 6, v0
	v_subrev_co_u32_e32 v2, vcc, s40, v2
	s_waitcnt lgkmcnt(0)
	s_sub_u32 s0, s22, s40
	v_subb_co_u32_e64 v3, s[2:3], 0, 0, vcc
	s_subb_u32 s1, s23, 0
	v_lshl_add_u64 v[14:15], s[20:21], 0, v[2:3]
	v_cmp_gt_i64_e32 vcc, s[0:1], v[14:15]
	s_and_saveexec_b64 s[2:3], vcc
	s_cbranch_execz .LBB154_27
; %bb.10:
	v_and_b32_e32 v2, 63, v0
	v_subrev_co_u32_e32 v16, vcc, s41, v2
	s_mov_b32 s33, s41
	s_nop 0
	v_subb_co_u32_e64 v17, s[4:5], 0, 0, vcc
	s_mov_b64 s[4:5], 0
	s_movk_i32 s38, 0x89
	s_branch .LBB154_12
.LBB154_11:                             ;   in Loop: Header=BB154_12 Depth=1
	s_or_b64 exec, exec, s[8:9]
	v_lshl_add_u64 v[14:15], v[14:15], 0, 16
	v_cmp_le_i64_e32 vcc, s[0:1], v[14:15]
	s_or_b64 s[4:5], vcc, s[4:5]
	s_andn2_b64 exec, exec, s[4:5]
	s_cbranch_execz .LBB154_27
.LBB154_12:                             ; =>This Loop Header: Depth=1
                                        ;     Child Loop BB154_16 Depth 2
                                        ;       Child Loop BB154_19 Depth 3
	v_lshl_add_u64 v[2:3], v[14:15], 3, s[10:11]
	global_load_dwordx2 v[2:3], v[2:3], off
	s_waitcnt vmcnt(0)
	v_subrev_co_u32_e32 v2, vcc, s40, v2
	s_nop 1
	v_subbrev_co_u32_e32 v3, vcc, 0, v3, vcc
	v_lshl_add_u64 v[2:3], v[2:3], 3, s[14:15]
	global_load_dwordx4 v[2:5], v[2:3], off
	s_waitcnt vmcnt(0)
	v_subrev_co_u32_e32 v18, vcc, s33, v4
	s_nop 1
	v_subbrev_co_u32_e32 v19, vcc, 0, v5, vcc
	v_lshl_add_u64 v[20:21], v[2:3], 0, v[16:17]
	v_cmp_lt_i64_e32 vcc, v[20:21], v[18:19]
	s_and_saveexec_b64 s[8:9], vcc
	s_cbranch_execz .LBB154_11
; %bb.13:                               ;   in Loop: Header=BB154_12 Depth=1
	v_lshl_add_u64 v[2:3], v[14:15], 4, s[12:13]
	global_load_dwordx4 v[2:5], v[2:3], off
	s_mov_b64 s[20:21], 0
	s_waitcnt vmcnt(0)
	v_mul_f64 v[22:23], v[4:5], -v[12:13]
	v_mul_f64 v[24:25], v[10:11], v[4:5]
	v_fmac_f64_e32 v[22:23], v[10:11], v[2:3]
	v_fmac_f64_e32 v[24:25], v[12:13], v[2:3]
	s_branch .LBB154_16
.LBB154_14:                             ;   in Loop: Header=BB154_16 Depth=2
	s_or_b64 exec, exec, s[24:25]
.LBB154_15:                             ;   in Loop: Header=BB154_16 Depth=2
	s_or_b64 exec, exec, s[22:23]
	s_waitcnt vmcnt(0)
	v_mul_f64 v[28:29], v[4:5], -v[24:25]
	v_mul_f64 v[4:5], v[22:23], v[4:5]
	v_fmac_f64_e32 v[28:29], v[22:23], v[2:3]
	v_fmac_f64_e32 v[4:5], v[24:25], v[2:3]
	v_lshl_add_u32 v2, v26, 4, 0
	v_add_u32_e32 v2, 0x20000, v2
	ds_add_f64 v2, v[28:29]
	ds_add_f64 v2, v[4:5] offset:8
	v_lshl_add_u64 v[20:21], v[20:21], 0, 64
	v_cmp_ge_i64_e32 vcc, v[20:21], v[18:19]
	s_or_b64 s[20:21], vcc, s[20:21]
	s_andn2_b64 exec, exec, s[20:21]
	s_cbranch_execz .LBB154_11
.LBB154_16:                             ;   Parent Loop BB154_12 Depth=1
                                        ; =>  This Loop Header: Depth=2
                                        ;       Child Loop BB154_19 Depth 3
	v_lshl_add_u64 v[2:3], v[20:21], 3, s[16:17]
	global_load_dwordx2 v[26:27], v[2:3], off
	v_lshl_add_u64 v[2:3], v[20:21], 4, s[18:19]
	global_load_dwordx4 v[2:5], v[2:3], off
	s_waitcnt vmcnt(1)
	v_subrev_co_u32_e32 v28, vcc, s33, v26
	v_mul_lo_u32 v26, v28, s38
	v_and_b32_e32 v26, 0x3fff, v26
	v_lshl_add_u32 v36, v26, 3, 0
	ds_read_b64 v[32:33], v36
	v_subbrev_co_u32_e32 v29, vcc, 0, v27, vcc
	s_waitcnt lgkmcnt(0)
	v_cmp_ne_u64_e32 vcc, v[32:33], v[28:29]
	s_and_saveexec_b64 s[22:23], vcc
	s_cbranch_execz .LBB154_15
; %bb.17:                               ;   in Loop: Header=BB154_16 Depth=2
	s_mov_b64 s[24:25], 0
                                        ; implicit-def: $sgpr26_sgpr27
                                        ; implicit-def: $sgpr28_sgpr29
	s_branch .LBB154_19
.LBB154_18:                             ;   in Loop: Header=BB154_19 Depth=3
	s_or_b64 exec, exec, s[36:37]
	s_and_b64 s[30:31], exec, s[34:35]
	s_or_b64 s[24:25], s[30:31], s[24:25]
	s_andn2_b64 s[26:27], s[26:27], exec
	s_and_b64 s[30:31], s[28:29], exec
	s_or_b64 s[26:27], s[26:27], s[30:31]
	s_andn2_b64 exec, exec, s[24:25]
	s_cbranch_execz .LBB154_25
.LBB154_19:                             ;   Parent Loop BB154_12 Depth=1
                                        ;     Parent Loop BB154_16 Depth=2
                                        ; =>    This Inner Loop Header: Depth=3
	v_mov_b64_e32 v[30:31], v[26:27]
	v_cmp_ne_u64_e32 vcc, s[74:75], v[32:33]
	s_mov_b64 s[30:31], 0
                                        ; implicit-def: $vgpr26_vgpr27
	s_and_saveexec_b64 s[34:35], vcc
	s_xor_b64 s[34:35], exec, s[34:35]
; %bb.20:                               ;   in Loop: Header=BB154_19 Depth=3
	v_add_u32_e32 v26, 1, v30
	s_mov_b64 s[30:31], exec
	v_and_b32_e32 v26, 0x3fff, v26
                                        ; implicit-def: $vgpr36
; %bb.21:                               ;   in Loop: Header=BB154_19 Depth=3
	s_andn2_saveexec_b64 s[34:35], s[34:35]
	s_cbranch_execz .LBB154_23
; %bb.22:                               ;   in Loop: Header=BB154_19 Depth=3
	v_mov_b64_e32 v[26:27], s[74:75]
	ds_cmpst_rtn_b64 v[26:27], v36, v[26:27], v[28:29]
	s_andn2_b64 s[30:31], s[30:31], exec
	s_waitcnt lgkmcnt(0)
	v_cmp_ne_u64_e32 vcc, s[74:75], v[26:27]
	s_and_b64 s[36:37], vcc, exec
	s_or_b64 s[30:31], s[30:31], s[36:37]
	v_mov_b64_e32 v[26:27], v[30:31]
.LBB154_23:                             ;   in Loop: Header=BB154_19 Depth=3
	s_or_b64 exec, exec, s[34:35]
	s_mov_b64 s[34:35], -1
	s_or_b64 s[28:29], s[28:29], exec
                                        ; implicit-def: $vgpr36
                                        ; implicit-def: $vgpr32_vgpr33
	s_and_saveexec_b64 s[36:37], s[30:31]
	s_cbranch_execz .LBB154_18
; %bb.24:                               ;   in Loop: Header=BB154_19 Depth=3
	v_lshl_add_u32 v36, v26, 3, 0
	ds_read_b64 v[32:33], v36
	s_andn2_b64 s[28:29], s[28:29], exec
	s_waitcnt lgkmcnt(0)
	v_cmp_eq_u64_e32 vcc, v[32:33], v[28:29]
	s_orn2_b64 s[34:35], vcc, exec
	s_branch .LBB154_18
.LBB154_25:                             ;   in Loop: Header=BB154_16 Depth=2
	s_or_b64 exec, exec, s[24:25]
	s_and_saveexec_b64 s[24:25], s[26:27]
	s_xor_b64 s[24:25], exec, s[24:25]
	s_cbranch_execz .LBB154_14
; %bb.26:                               ;   in Loop: Header=BB154_16 Depth=2
	v_mov_b32_e32 v26, v30
	s_branch .LBB154_14
.LBB154_27:
	s_or_b64 exec, exec, s[2:3]
.LBB154_28:
	s_andn2_b64 vcc, exec, s[6:7]
	s_cbranch_vccnz .LBB154_45
; %bb.29:
	s_waitcnt lgkmcnt(0)
	s_lshl_b64 s[0:1], s[52:53], 3
	s_add_u32 s0, s44, s0
	s_addc_u32 s1, s45, s1
	s_load_dwordx4 s[4:7], s[0:1], 0x0
	v_subrev_co_u32_e32 v2, vcc, s43, v0
	s_waitcnt lgkmcnt(0)
	s_sub_u32 s0, s6, s43
	v_subb_co_u32_e64 v3, s[2:3], 0, 0, vcc
	s_subb_u32 s1, s7, 0
	s_waitcnt vmcnt(0)
	v_lshl_add_u64 v[10:11], s[4:5], 0, v[2:3]
	v_cmp_gt_i64_e32 vcc, s[0:1], v[10:11]
	s_and_saveexec_b64 s[2:3], vcc
	s_cbranch_execz .LBB154_44
; %bb.30:
	s_mov_b32 s22, s43
	s_mov_b64 s[4:5], 0
	s_movk_i32 s23, 0x89
	s_mov_b64 s[6:7], 0x400
	s_branch .LBB154_33
.LBB154_31:                             ;   in Loop: Header=BB154_33 Depth=1
	s_or_b64 exec, exec, s[10:11]
.LBB154_32:                             ;   in Loop: Header=BB154_33 Depth=1
	s_or_b64 exec, exec, s[8:9]
	s_waitcnt vmcnt(0)
	v_mul_f64 v[14:15], v[4:5], -v[6:7]
	v_mul_f64 v[4:5], v[8:9], v[4:5]
	v_fmac_f64_e32 v[14:15], v[8:9], v[2:3]
	v_fmac_f64_e32 v[4:5], v[6:7], v[2:3]
	v_lshl_add_u32 v2, v12, 4, 0
	v_add_u32_e32 v2, 0x20000, v2
	ds_add_f64 v2, v[14:15]
	ds_add_f64 v2, v[4:5] offset:8
	v_lshl_add_u64 v[10:11], v[10:11], 0, s[6:7]
	v_cmp_le_i64_e32 vcc, s[0:1], v[10:11]
	s_or_b64 s[4:5], vcc, s[4:5]
	s_andn2_b64 exec, exec, s[4:5]
	s_cbranch_execz .LBB154_44
.LBB154_33:                             ; =>This Loop Header: Depth=1
                                        ;     Child Loop BB154_36 Depth 2
	v_lshl_add_u64 v[2:3], v[10:11], 3, s[46:47]
	global_load_dwordx2 v[12:13], v[2:3], off
	v_lshl_add_u64 v[2:3], v[10:11], 4, s[48:49]
	global_load_dwordx4 v[2:5], v[2:3], off
	s_waitcnt vmcnt(1)
	v_subrev_co_u32_e32 v14, vcc, s22, v12
	v_mul_lo_u32 v12, v14, s23
	v_and_b32_e32 v12, 0x3fff, v12
	v_lshl_add_u32 v20, v12, 3, 0
	ds_read_b64 v[18:19], v20
	v_subbrev_co_u32_e32 v15, vcc, 0, v13, vcc
	s_waitcnt lgkmcnt(0)
	v_cmp_ne_u64_e32 vcc, v[18:19], v[14:15]
	s_and_saveexec_b64 s[8:9], vcc
	s_cbranch_execz .LBB154_32
; %bb.34:                               ;   in Loop: Header=BB154_33 Depth=1
	s_mov_b64 s[10:11], 0
                                        ; implicit-def: $sgpr12_sgpr13
                                        ; implicit-def: $sgpr14_sgpr15
	s_branch .LBB154_36
.LBB154_35:                             ;   in Loop: Header=BB154_36 Depth=2
	s_or_b64 exec, exec, s[20:21]
	s_and_b64 s[16:17], exec, s[18:19]
	s_or_b64 s[10:11], s[16:17], s[10:11]
	s_andn2_b64 s[12:13], s[12:13], exec
	s_and_b64 s[16:17], s[14:15], exec
	s_or_b64 s[12:13], s[12:13], s[16:17]
	s_andn2_b64 exec, exec, s[10:11]
	s_cbranch_execz .LBB154_42
.LBB154_36:                             ;   Parent Loop BB154_33 Depth=1
                                        ; =>  This Inner Loop Header: Depth=2
	v_mov_b64_e32 v[16:17], v[12:13]
	v_cmp_ne_u64_e32 vcc, s[74:75], v[18:19]
	s_mov_b64 s[16:17], 0
                                        ; implicit-def: $vgpr12_vgpr13
	s_and_saveexec_b64 s[18:19], vcc
	s_xor_b64 s[18:19], exec, s[18:19]
; %bb.37:                               ;   in Loop: Header=BB154_36 Depth=2
	v_add_u32_e32 v12, 1, v16
	s_mov_b64 s[16:17], exec
	v_and_b32_e32 v12, 0x3fff, v12
                                        ; implicit-def: $vgpr20
; %bb.38:                               ;   in Loop: Header=BB154_36 Depth=2
	s_andn2_saveexec_b64 s[18:19], s[18:19]
	s_cbranch_execz .LBB154_40
; %bb.39:                               ;   in Loop: Header=BB154_36 Depth=2
	v_mov_b64_e32 v[12:13], s[74:75]
	ds_cmpst_rtn_b64 v[12:13], v20, v[12:13], v[14:15]
	s_andn2_b64 s[16:17], s[16:17], exec
	s_waitcnt lgkmcnt(0)
	v_cmp_ne_u64_e32 vcc, s[74:75], v[12:13]
	s_and_b64 s[20:21], vcc, exec
	s_or_b64 s[16:17], s[16:17], s[20:21]
	v_mov_b64_e32 v[12:13], v[16:17]
.LBB154_40:                             ;   in Loop: Header=BB154_36 Depth=2
	s_or_b64 exec, exec, s[18:19]
	s_mov_b64 s[18:19], -1
	s_or_b64 s[14:15], s[14:15], exec
                                        ; implicit-def: $vgpr20
                                        ; implicit-def: $vgpr18_vgpr19
	s_and_saveexec_b64 s[20:21], s[16:17]
	s_cbranch_execz .LBB154_35
; %bb.41:                               ;   in Loop: Header=BB154_36 Depth=2
	v_lshl_add_u32 v20, v12, 3, 0
	ds_read_b64 v[18:19], v20
	s_andn2_b64 s[14:15], s[14:15], exec
	s_waitcnt lgkmcnt(0)
	v_cmp_eq_u64_e32 vcc, v[18:19], v[14:15]
	s_orn2_b64 s[18:19], vcc, exec
	s_branch .LBB154_35
.LBB154_42:                             ;   in Loop: Header=BB154_33 Depth=1
	s_or_b64 exec, exec, s[10:11]
	s_and_saveexec_b64 s[10:11], s[12:13]
	s_xor_b64 s[10:11], exec, s[10:11]
	s_cbranch_execz .LBB154_31
; %bb.43:                               ;   in Loop: Header=BB154_33 Depth=1
	v_mov_b32_e32 v12, v16
	s_branch .LBB154_31
.LBB154_44:
	s_or_b64 exec, exec, s[2:3]
.LBB154_45:
	s_waitcnt lgkmcnt(0)
	v_writelane_b32 v38, s52, 2
	s_movk_i32 s33, 0x25f
	v_cmp_lt_u32_e64 s[34:35], s33, v0
	v_writelane_b32 v38, s53, 3
	v_writelane_b32 v38, s44, 4
	s_movk_i32 s33, 0x27f
	v_cmp_lt_u32_e64 s[36:37], s33, v0
	v_writelane_b32 v38, s45, 5
	v_writelane_b32 v38, s46, 6
	;; [unrolled: 1-line block ×8, first 2 shown]
	s_movk_i32 s33, 0x29f
	v_cmp_lt_u32_e64 s[38:39], s33, v0
	v_writelane_b32 v38, s41, 13
	v_writelane_b32 v38, s42, 14
	s_movk_i32 s33, 0x2bf
	v_writelane_b32 v38, s43, 15
	v_cmp_lt_u32_e64 s[40:41], s33, v0
	s_movk_i32 s33, 0x2df
	v_cmp_lt_u32_e64 s[42:43], s33, v0
	s_movk_i32 s33, 0x2ff
	;; [unrolled: 2-line block ×6, first 2 shown]
	v_mbcnt_lo_u32_b32 v2, -1, 0
	v_cmp_lt_u32_e64 s[52:53], s33, v0
	s_movk_i32 s33, 0x39f
	v_mbcnt_hi_u32_b32 v2, -1, v2
	v_cmp_lt_u32_e64 s[54:55], s33, v0
	s_movk_i32 s33, 0x3bf
	v_sub_u32_e32 v2, 63, v2
	s_add_i32 s0, 0, 0x60000
	v_cmp_lt_u32_e64 s[56:57], s33, v0
	s_movk_i32 s33, 0x3df
	v_lshrrev_b64 v[4:5], v2, -1
	v_lshrrev_b32_e32 v2, 2, v0
	v_writelane_b32 v38, s0, 16
	v_cmp_lt_u32_e64 s[58:59], s33, v0
	s_add_i32 s33, 0, 0x60008
	v_and_b32_e32 v2, 0xf8, v2
	v_writelane_b32 v38, s33, 17
	s_add_i32 s33, 0, 0x60010
	s_waitcnt vmcnt(0)
	v_add_u32_e32 v12, s0, v2
	s_movk_i32 s0, 0x3ff
	v_writelane_b32 v38, s33, 18
	s_add_i32 s33, 0, 0x60018
	v_cmp_eq_u32_e32 vcc, s0, v0
	s_movk_i32 s0, 0x5f
	s_movk_i32 s2, 0x7f
	;; [unrolled: 1-line block ×16, first 2 shown]
	v_writelane_b32 v38, s33, 19
	s_add_i32 s33, 0, 0x60028
	v_mov_b32_e32 v3, 0
	v_cmp_lt_u32_e64 s[0:1], s0, v0
	v_cmp_lt_u32_e64 s[2:3], s2, v0
	;; [unrolled: 1-line block ×16, first 2 shown]
	v_add_u32_e32 v13, 0x20000, v35
	v_mov_b64_e32 v[6:7], 0
	s_add_i32 s81, 0, 0x60020
	v_writelane_b32 v38, s33, 20
	s_add_i32 s84, 0, 0x60030
	s_add_i32 s85, 0, 0x60038
	;; [unrolled: 1-line block ×26, first 2 shown]
	v_cmp_lt_u32_e64 s[60:61], 31, v0
	v_cmp_lt_u32_e64 s[62:63], 63, v0
	s_mov_b64 s[68:69], 0
	s_barrier
	s_branch .LBB154_47
.LBB154_46:                             ;   in Loop: Header=BB154_47 Depth=1
	s_or_b64 exec, exec, s[64:65]
	v_mov_b32_e32 v2, s80
	s_waitcnt lgkmcnt(0)
	s_barrier
	ds_read_b64 v[8:9], v2
	v_add_u32_e32 v1, 0x400, v1
	s_movk_i32 s64, 0x3bff
	v_cmp_lt_u32_e64 s[64:65], s64, v1
	v_add_u32_e32 v13, 0x4000, v13
	s_waitcnt lgkmcnt(0)
	v_lshl_add_u64 v[6:7], v[8:9], 0, v[6:7]
	s_or_b64 s[68:69], s[64:65], s[68:69]
	v_add_u32_e32 v34, 0x2000, v34
	s_andn2_b64 exec, exec, s[68:69]
	s_cbranch_execz .LBB154_113
.LBB154_47:                             ; =>This Inner Loop Header: Depth=1
	ds_read2_b64 v[14:17], v13 offset1:1
	ds_read_b64 v[8:9], v34
	s_waitcnt lgkmcnt(1)
	scratch_store_dwordx4 off, v[14:17], off
	s_waitcnt lgkmcnt(0)
	v_cmp_gt_i64_e64 s[64:65], s[74:75], v[8:9]
	s_bcnt1_i32_b64 s78, s[64:65]
	v_mov_b32_e32 v2, s78
	v_and_b32_e32 v11, s64, v4
	v_and_b32_e32 v10, s65, v5
	v_bcnt_u32_b32 v11, v11, 0
	v_bcnt_u32_b32 v10, v10, v11
	s_barrier
	ds_write_b64 v12, v[2:3]
	s_waitcnt lgkmcnt(0)
	s_barrier
	s_and_saveexec_b64 s[78:79], s[60:61]
	s_cbranch_execnz .LBB154_80
; %bb.48:                               ;   in Loop: Header=BB154_47 Depth=1
	s_or_b64 exec, exec, s[78:79]
	s_and_saveexec_b64 s[78:79], s[62:63]
	s_cbranch_execnz .LBB154_81
.LBB154_49:                             ;   in Loop: Header=BB154_47 Depth=1
	s_or_b64 exec, exec, s[78:79]
	s_and_saveexec_b64 s[78:79], s[0:1]
	s_cbranch_execnz .LBB154_82
.LBB154_50:                             ;   in Loop: Header=BB154_47 Depth=1
	s_or_b64 exec, exec, s[78:79]
	s_and_saveexec_b64 s[78:79], s[2:3]
	s_cbranch_execnz .LBB154_83
.LBB154_51:                             ;   in Loop: Header=BB154_47 Depth=1
	s_or_b64 exec, exec, s[78:79]
	s_and_saveexec_b64 s[78:79], s[4:5]
	s_cbranch_execnz .LBB154_84
.LBB154_52:                             ;   in Loop: Header=BB154_47 Depth=1
	s_or_b64 exec, exec, s[78:79]
	s_and_saveexec_b64 s[78:79], s[6:7]
	s_cbranch_execnz .LBB154_85
.LBB154_53:                             ;   in Loop: Header=BB154_47 Depth=1
	s_or_b64 exec, exec, s[78:79]
	s_and_saveexec_b64 s[78:79], s[8:9]
	s_cbranch_execnz .LBB154_86
.LBB154_54:                             ;   in Loop: Header=BB154_47 Depth=1
	s_or_b64 exec, exec, s[78:79]
	s_and_saveexec_b64 s[78:79], s[10:11]
	s_cbranch_execnz .LBB154_87
.LBB154_55:                             ;   in Loop: Header=BB154_47 Depth=1
	s_or_b64 exec, exec, s[78:79]
	s_and_saveexec_b64 s[78:79], s[12:13]
	s_cbranch_execnz .LBB154_88
.LBB154_56:                             ;   in Loop: Header=BB154_47 Depth=1
	s_or_b64 exec, exec, s[78:79]
	s_and_saveexec_b64 s[78:79], s[14:15]
	s_cbranch_execnz .LBB154_89
.LBB154_57:                             ;   in Loop: Header=BB154_47 Depth=1
	s_or_b64 exec, exec, s[78:79]
	s_and_saveexec_b64 s[78:79], s[16:17]
	s_cbranch_execnz .LBB154_90
.LBB154_58:                             ;   in Loop: Header=BB154_47 Depth=1
	s_or_b64 exec, exec, s[78:79]
	s_and_saveexec_b64 s[78:79], s[18:19]
	s_cbranch_execnz .LBB154_91
.LBB154_59:                             ;   in Loop: Header=BB154_47 Depth=1
	s_or_b64 exec, exec, s[78:79]
	s_and_saveexec_b64 s[78:79], s[20:21]
	s_cbranch_execnz .LBB154_92
.LBB154_60:                             ;   in Loop: Header=BB154_47 Depth=1
	s_or_b64 exec, exec, s[78:79]
	s_and_saveexec_b64 s[78:79], s[22:23]
	s_cbranch_execnz .LBB154_93
.LBB154_61:                             ;   in Loop: Header=BB154_47 Depth=1
	s_or_b64 exec, exec, s[78:79]
	s_and_saveexec_b64 s[78:79], s[24:25]
	s_cbranch_execnz .LBB154_94
.LBB154_62:                             ;   in Loop: Header=BB154_47 Depth=1
	s_or_b64 exec, exec, s[78:79]
	s_and_saveexec_b64 s[78:79], s[26:27]
	s_cbranch_execnz .LBB154_95
.LBB154_63:                             ;   in Loop: Header=BB154_47 Depth=1
	s_or_b64 exec, exec, s[78:79]
	s_and_saveexec_b64 s[78:79], s[28:29]
	s_cbranch_execnz .LBB154_96
.LBB154_64:                             ;   in Loop: Header=BB154_47 Depth=1
	s_or_b64 exec, exec, s[78:79]
	s_and_saveexec_b64 s[78:79], s[30:31]
	s_cbranch_execnz .LBB154_97
.LBB154_65:                             ;   in Loop: Header=BB154_47 Depth=1
	s_or_b64 exec, exec, s[78:79]
	s_and_saveexec_b64 s[78:79], s[34:35]
	s_cbranch_execnz .LBB154_98
.LBB154_66:                             ;   in Loop: Header=BB154_47 Depth=1
	s_or_b64 exec, exec, s[78:79]
	s_and_saveexec_b64 s[78:79], s[36:37]
	s_cbranch_execnz .LBB154_99
.LBB154_67:                             ;   in Loop: Header=BB154_47 Depth=1
	s_or_b64 exec, exec, s[78:79]
	s_and_saveexec_b64 s[78:79], s[38:39]
	s_cbranch_execnz .LBB154_100
.LBB154_68:                             ;   in Loop: Header=BB154_47 Depth=1
	s_or_b64 exec, exec, s[78:79]
	s_and_saveexec_b64 s[78:79], s[40:41]
	s_cbranch_execnz .LBB154_101
.LBB154_69:                             ;   in Loop: Header=BB154_47 Depth=1
	s_or_b64 exec, exec, s[78:79]
	s_and_saveexec_b64 s[78:79], s[42:43]
	s_cbranch_execnz .LBB154_102
.LBB154_70:                             ;   in Loop: Header=BB154_47 Depth=1
	s_or_b64 exec, exec, s[78:79]
	s_and_saveexec_b64 s[78:79], s[44:45]
	s_cbranch_execnz .LBB154_103
.LBB154_71:                             ;   in Loop: Header=BB154_47 Depth=1
	s_or_b64 exec, exec, s[78:79]
	s_and_saveexec_b64 s[78:79], s[46:47]
	s_cbranch_execnz .LBB154_104
.LBB154_72:                             ;   in Loop: Header=BB154_47 Depth=1
	s_or_b64 exec, exec, s[78:79]
	s_and_saveexec_b64 s[78:79], s[48:49]
	s_cbranch_execnz .LBB154_105
.LBB154_73:                             ;   in Loop: Header=BB154_47 Depth=1
	s_or_b64 exec, exec, s[78:79]
	s_and_saveexec_b64 s[78:79], s[50:51]
	s_cbranch_execnz .LBB154_106
.LBB154_74:                             ;   in Loop: Header=BB154_47 Depth=1
	s_or_b64 exec, exec, s[78:79]
	s_and_saveexec_b64 s[78:79], s[52:53]
	s_cbranch_execnz .LBB154_107
.LBB154_75:                             ;   in Loop: Header=BB154_47 Depth=1
	s_or_b64 exec, exec, s[78:79]
	s_and_saveexec_b64 s[78:79], s[54:55]
	s_cbranch_execnz .LBB154_108
.LBB154_76:                             ;   in Loop: Header=BB154_47 Depth=1
	s_or_b64 exec, exec, s[78:79]
	s_and_saveexec_b64 s[78:79], s[56:57]
	s_cbranch_execnz .LBB154_109
.LBB154_77:                             ;   in Loop: Header=BB154_47 Depth=1
	s_or_b64 exec, exec, s[78:79]
	s_and_saveexec_b64 s[78:79], s[58:59]
	s_cbranch_execnz .LBB154_110
.LBB154_78:                             ;   in Loop: Header=BB154_47 Depth=1
	s_or_b64 exec, exec, s[78:79]
	v_ashrrev_i32_e32 v11, 31, v10
	s_and_saveexec_b64 s[78:79], s[64:65]
	s_cbranch_execnz .LBB154_111
.LBB154_79:                             ;   in Loop: Header=BB154_47 Depth=1
	s_or_b64 exec, exec, s[78:79]
	s_and_saveexec_b64 s[64:65], vcc
	s_cbranch_execz .LBB154_46
	s_branch .LBB154_112
.LBB154_80:                             ;   in Loop: Header=BB154_47 Depth=1
	v_readlane_b32 s82, v38, 16
	s_nop 1
	v_mov_b32_e32 v2, s82
	ds_read_b32 v2, v2
	s_waitcnt lgkmcnt(0)
	v_add_u32_e32 v10, v2, v10
	s_or_b64 exec, exec, s[78:79]
	s_and_saveexec_b64 s[78:79], s[62:63]
	s_cbranch_execz .LBB154_49
.LBB154_81:                             ;   in Loop: Header=BB154_47 Depth=1
	v_readlane_b32 s82, v38, 17
	s_nop 1
	v_mov_b32_e32 v2, s82
	ds_read_b32 v2, v2
	s_waitcnt lgkmcnt(0)
	v_add_u32_e32 v10, v10, v2
	s_or_b64 exec, exec, s[78:79]
	s_and_saveexec_b64 s[78:79], s[0:1]
	s_cbranch_execz .LBB154_50
.LBB154_82:                             ;   in Loop: Header=BB154_47 Depth=1
	v_readlane_b32 s82, v38, 18
	s_nop 1
	v_mov_b32_e32 v2, s82
	ds_read_b32 v2, v2
	s_waitcnt lgkmcnt(0)
	v_add_u32_e32 v10, v10, v2
	s_or_b64 exec, exec, s[78:79]
	s_and_saveexec_b64 s[78:79], s[2:3]
	s_cbranch_execz .LBB154_51
.LBB154_83:                             ;   in Loop: Header=BB154_47 Depth=1
	v_readlane_b32 s82, v38, 19
	s_nop 1
	v_mov_b32_e32 v2, s82
	ds_read_b32 v2, v2
	s_waitcnt lgkmcnt(0)
	v_add_u32_e32 v10, v10, v2
	s_or_b64 exec, exec, s[78:79]
	s_and_saveexec_b64 s[78:79], s[4:5]
	s_cbranch_execz .LBB154_52
.LBB154_84:                             ;   in Loop: Header=BB154_47 Depth=1
	v_mov_b32_e32 v2, s81
	ds_read_b32 v2, v2
	s_waitcnt lgkmcnt(0)
	v_add_u32_e32 v10, v10, v2
	s_or_b64 exec, exec, s[78:79]
	s_and_saveexec_b64 s[78:79], s[6:7]
	s_cbranch_execz .LBB154_53
.LBB154_85:                             ;   in Loop: Header=BB154_47 Depth=1
	v_readlane_b32 s82, v38, 20
	s_nop 1
	v_mov_b32_e32 v2, s82
	ds_read_b32 v2, v2
	s_waitcnt lgkmcnt(0)
	v_add_u32_e32 v10, v10, v2
	s_or_b64 exec, exec, s[78:79]
	s_and_saveexec_b64 s[78:79], s[8:9]
	s_cbranch_execz .LBB154_54
.LBB154_86:                             ;   in Loop: Header=BB154_47 Depth=1
	v_mov_b32_e32 v2, s84
	ds_read_b32 v2, v2
	s_waitcnt lgkmcnt(0)
	v_add_u32_e32 v10, v10, v2
	s_or_b64 exec, exec, s[78:79]
	s_and_saveexec_b64 s[78:79], s[10:11]
	s_cbranch_execz .LBB154_55
.LBB154_87:                             ;   in Loop: Header=BB154_47 Depth=1
	v_mov_b32_e32 v2, s85
	ds_read_b32 v2, v2
	s_waitcnt lgkmcnt(0)
	v_add_u32_e32 v10, v10, v2
	s_or_b64 exec, exec, s[78:79]
	s_and_saveexec_b64 s[78:79], s[12:13]
	s_cbranch_execz .LBB154_56
.LBB154_88:                             ;   in Loop: Header=BB154_47 Depth=1
	v_mov_b32_e32 v2, s86
	ds_read_b32 v2, v2
	s_waitcnt lgkmcnt(0)
	v_add_u32_e32 v10, v10, v2
	s_or_b64 exec, exec, s[78:79]
	s_and_saveexec_b64 s[78:79], s[14:15]
	s_cbranch_execz .LBB154_57
.LBB154_89:                             ;   in Loop: Header=BB154_47 Depth=1
	v_mov_b32_e32 v2, s87
	ds_read_b32 v2, v2
	s_waitcnt lgkmcnt(0)
	v_add_u32_e32 v10, v10, v2
	s_or_b64 exec, exec, s[78:79]
	s_and_saveexec_b64 s[78:79], s[16:17]
	s_cbranch_execz .LBB154_58
.LBB154_90:                             ;   in Loop: Header=BB154_47 Depth=1
	v_mov_b32_e32 v2, s88
	ds_read_b32 v2, v2
	s_waitcnt lgkmcnt(0)
	v_add_u32_e32 v10, v10, v2
	s_or_b64 exec, exec, s[78:79]
	s_and_saveexec_b64 s[78:79], s[18:19]
	s_cbranch_execz .LBB154_59
.LBB154_91:                             ;   in Loop: Header=BB154_47 Depth=1
	v_mov_b32_e32 v2, s89
	ds_read_b32 v2, v2
	s_waitcnt lgkmcnt(0)
	v_add_u32_e32 v10, v10, v2
	s_or_b64 exec, exec, s[78:79]
	s_and_saveexec_b64 s[78:79], s[20:21]
	s_cbranch_execz .LBB154_60
.LBB154_92:                             ;   in Loop: Header=BB154_47 Depth=1
	v_mov_b32_e32 v2, s90
	ds_read_b32 v2, v2
	s_waitcnt lgkmcnt(0)
	v_add_u32_e32 v10, v10, v2
	s_or_b64 exec, exec, s[78:79]
	s_and_saveexec_b64 s[78:79], s[22:23]
	s_cbranch_execz .LBB154_61
.LBB154_93:                             ;   in Loop: Header=BB154_47 Depth=1
	v_mov_b32_e32 v2, s91
	ds_read_b32 v2, v2
	s_waitcnt lgkmcnt(0)
	v_add_u32_e32 v10, v10, v2
	s_or_b64 exec, exec, s[78:79]
	s_and_saveexec_b64 s[78:79], s[24:25]
	s_cbranch_execz .LBB154_62
.LBB154_94:                             ;   in Loop: Header=BB154_47 Depth=1
	v_mov_b32_e32 v2, s92
	ds_read_b32 v2, v2
	s_waitcnt lgkmcnt(0)
	v_add_u32_e32 v10, v10, v2
	s_or_b64 exec, exec, s[78:79]
	s_and_saveexec_b64 s[78:79], s[26:27]
	s_cbranch_execz .LBB154_63
.LBB154_95:                             ;   in Loop: Header=BB154_47 Depth=1
	v_mov_b32_e32 v2, s93
	ds_read_b32 v2, v2
	s_waitcnt lgkmcnt(0)
	v_add_u32_e32 v10, v10, v2
	s_or_b64 exec, exec, s[78:79]
	s_and_saveexec_b64 s[78:79], s[28:29]
	s_cbranch_execz .LBB154_64
.LBB154_96:                             ;   in Loop: Header=BB154_47 Depth=1
	v_mov_b32_e32 v2, s94
	ds_read_b32 v2, v2
	s_waitcnt lgkmcnt(0)
	v_add_u32_e32 v10, v10, v2
	s_or_b64 exec, exec, s[78:79]
	s_and_saveexec_b64 s[78:79], s[30:31]
	s_cbranch_execz .LBB154_65
.LBB154_97:                             ;   in Loop: Header=BB154_47 Depth=1
	v_mov_b32_e32 v2, s95
	ds_read_b32 v2, v2
	s_waitcnt lgkmcnt(0)
	v_add_u32_e32 v10, v10, v2
	s_or_b64 exec, exec, s[78:79]
	s_and_saveexec_b64 s[78:79], s[34:35]
	s_cbranch_execz .LBB154_66
.LBB154_98:                             ;   in Loop: Header=BB154_47 Depth=1
	v_mov_b32_e32 v2, s96
	ds_read_b32 v2, v2
	s_waitcnt lgkmcnt(0)
	v_add_u32_e32 v10, v10, v2
	s_or_b64 exec, exec, s[78:79]
	s_and_saveexec_b64 s[78:79], s[36:37]
	s_cbranch_execz .LBB154_67
.LBB154_99:                             ;   in Loop: Header=BB154_47 Depth=1
	v_mov_b32_e32 v2, s97
	ds_read_b32 v2, v2
	s_waitcnt lgkmcnt(0)
	v_add_u32_e32 v10, v10, v2
	s_or_b64 exec, exec, s[78:79]
	s_and_saveexec_b64 s[78:79], s[38:39]
	s_cbranch_execz .LBB154_68
.LBB154_100:                            ;   in Loop: Header=BB154_47 Depth=1
	v_mov_b32_e32 v2, s98
	ds_read_b32 v2, v2
	s_waitcnt lgkmcnt(0)
	v_add_u32_e32 v10, v10, v2
	s_or_b64 exec, exec, s[78:79]
	s_and_saveexec_b64 s[78:79], s[40:41]
	s_cbranch_execz .LBB154_69
.LBB154_101:                            ;   in Loop: Header=BB154_47 Depth=1
	v_mov_b32_e32 v2, s99
	ds_read_b32 v2, v2
	s_waitcnt lgkmcnt(0)
	v_add_u32_e32 v10, v10, v2
	s_or_b64 exec, exec, s[78:79]
	s_and_saveexec_b64 s[78:79], s[42:43]
	s_cbranch_execz .LBB154_70
.LBB154_102:                            ;   in Loop: Header=BB154_47 Depth=1
	v_mov_b32_e32 v2, s76
	ds_read_b32 v2, v2
	s_waitcnt lgkmcnt(0)
	v_add_u32_e32 v10, v10, v2
	s_or_b64 exec, exec, s[78:79]
	s_and_saveexec_b64 s[78:79], s[44:45]
	s_cbranch_execz .LBB154_71
.LBB154_103:                            ;   in Loop: Header=BB154_47 Depth=1
	v_mov_b32_e32 v2, s77
	ds_read_b32 v2, v2
	s_waitcnt lgkmcnt(0)
	v_add_u32_e32 v10, v10, v2
	s_or_b64 exec, exec, s[78:79]
	s_and_saveexec_b64 s[78:79], s[46:47]
	s_cbranch_execz .LBB154_72
.LBB154_104:                            ;   in Loop: Header=BB154_47 Depth=1
	v_mov_b32_e32 v2, s70
	ds_read_b32 v2, v2
	s_waitcnt lgkmcnt(0)
	v_add_u32_e32 v10, v10, v2
	s_or_b64 exec, exec, s[78:79]
	s_and_saveexec_b64 s[78:79], s[48:49]
	s_cbranch_execz .LBB154_73
.LBB154_105:                            ;   in Loop: Header=BB154_47 Depth=1
	v_mov_b32_e32 v2, s72
	ds_read_b32 v2, v2
	s_waitcnt lgkmcnt(0)
	v_add_u32_e32 v10, v10, v2
	s_or_b64 exec, exec, s[78:79]
	s_and_saveexec_b64 s[78:79], s[50:51]
	s_cbranch_execz .LBB154_74
.LBB154_106:                            ;   in Loop: Header=BB154_47 Depth=1
	v_mov_b32_e32 v2, s73
	ds_read_b32 v2, v2
	s_waitcnt lgkmcnt(0)
	v_add_u32_e32 v10, v10, v2
	s_or_b64 exec, exec, s[78:79]
	s_and_saveexec_b64 s[78:79], s[52:53]
	s_cbranch_execz .LBB154_75
.LBB154_107:                            ;   in Loop: Header=BB154_47 Depth=1
	v_mov_b32_e32 v2, s66
	ds_read_b32 v2, v2
	s_waitcnt lgkmcnt(0)
	v_add_u32_e32 v10, v10, v2
	s_or_b64 exec, exec, s[78:79]
	s_and_saveexec_b64 s[78:79], s[54:55]
	s_cbranch_execz .LBB154_76
.LBB154_108:                            ;   in Loop: Header=BB154_47 Depth=1
	v_mov_b32_e32 v2, s67
	ds_read_b32 v2, v2
	s_waitcnt lgkmcnt(0)
	v_add_u32_e32 v10, v10, v2
	s_or_b64 exec, exec, s[78:79]
	s_and_saveexec_b64 s[78:79], s[56:57]
	s_cbranch_execz .LBB154_77
.LBB154_109:                            ;   in Loop: Header=BB154_47 Depth=1
	v_mov_b32_e32 v2, s33
	ds_read_b32 v2, v2
	s_waitcnt lgkmcnt(0)
	v_add_u32_e32 v10, v10, v2
	s_or_b64 exec, exec, s[78:79]
	s_and_saveexec_b64 s[78:79], s[58:59]
	s_cbranch_execz .LBB154_78
.LBB154_110:                            ;   in Loop: Header=BB154_47 Depth=1
	v_mov_b32_e32 v2, s71
	ds_read_b32 v2, v2
	s_waitcnt lgkmcnt(0)
	v_add_u32_e32 v10, v10, v2
	s_or_b64 exec, exec, s[78:79]
	v_ashrrev_i32_e32 v11, 31, v10
	s_and_saveexec_b64 s[78:79], s[64:65]
	s_cbranch_execz .LBB154_79
.LBB154_111:                            ;   in Loop: Header=BB154_47 Depth=1
	scratch_load_dwordx4 v[14:17], off, off
	v_add3_u32 v2, v6, -1, v10
	v_lshl_add_u32 v18, v2, 3, 0
	v_lshl_add_u32 v2, v2, 4, 0
	v_add_u32_e32 v2, 0x20000, v2
	ds_write_b64 v18, v[8:9]
	s_waitcnt vmcnt(0)
	ds_write2_b64 v2, v[14:15], v[16:17] offset1:1
	s_or_b64 exec, exec, s[78:79]
	s_and_saveexec_b64 s[64:65], vcc
	s_cbranch_execz .LBB154_46
.LBB154_112:                            ;   in Loop: Header=BB154_47 Depth=1
	v_mov_b32_e32 v2, s80
	ds_write_b64 v2, v[10:11]
	s_branch .LBB154_46
.LBB154_113:
	s_or_b64 exec, exec, s[68:69]
	v_readlane_b32 s0, v38, 2
	v_readlane_b32 s4, v38, 4
	;; [unrolled: 1-line block ×7, first 2 shown]
	s_lshl_b64 s[0:1], s[0:1], 3
	s_mov_b64 s[6:7], s[10:11]
	v_readlane_b32 s5, v38, 5
	s_add_u32 s4, s6, s0
	s_addc_u32 s5, s7, s1
	s_load_dwordx4 s[0:3], s[4:5], 0x0
	v_mov_b32_e32 v1, 0
	v_readlane_b32 s8, v38, 8
	v_readlane_b32 s9, v38, 9
	s_waitcnt lgkmcnt(0)
	s_sub_u32 s4, s2, s0
	s_subb_u32 s5, s3, s1
	v_cmp_gt_i64_e32 vcc, s[4:5], v[0:1]
	s_and_saveexec_b64 s[6:7], vcc
	s_cbranch_execz .LBB154_123
; %bb.114:
	v_readlane_b32 s8, v38, 12
	v_readlane_b32 s10, v38, 14
	;; [unrolled: 1-line block ×3, first 2 shown]
	s_sub_u32 s8, s0, s10
	s_subb_u32 s9, s1, 0
	s_and_b32 s6, s4, 7
	s_sub_u32 s0, s0, s2
	s_mov_b32 s7, 0
	s_subb_u32 s1, s1, s3
	s_and_b32 s10, s4, -8
	s_cmp_lg_u64 s[6:7], 0
	v_cmp_lt_u64_e64 s[0:1], s[0:1], -7
	s_cselect_b64 s[2:3], -1, 0
	v_readlane_b32 s11, v38, 15
	v_cndmask_b32_e64 v2, 0, 1, s[0:1]
	v_cmp_ne_u32_e64 s[0:1], 1, v2
	v_cndmask_b32_e64 v2, 0, 1, s[2:3]
	s_mov_b32 s11, s5
	s_mov_b64 s[12:13], 0
	v_cmp_ne_u32_e64 s[2:3], 1, v2
	s_mov_b64 s[14:15], 0x400
	s_branch .LBB154_116
.LBB154_115:                            ;   in Loop: Header=BB154_116 Depth=1
	s_waitcnt lgkmcnt(0)
	v_lshl_add_u32 v4, v0, 4, 0
	v_add_u32_e32 v4, 0x20000, v4
	ds_read2_b64 v[4:7], v4 offset1:1
	v_readlane_b32 s16, v38, 0
	v_lshl_add_u64 v[0:1], v[0:1], 0, s[14:15]
	v_readlane_b32 s17, v38, 1
	v_cmp_le_i64_e32 vcc, s[4:5], v[0:1]
	s_or_b64 s[12:13], vcc, s[12:13]
	v_lshl_add_u64 v[2:3], v[2:3], 4, s[16:17]
	s_waitcnt lgkmcnt(0)
	global_store_dwordx4 v[2:3], v[4:7], off
	s_andn2_b64 exec, exec, s[12:13]
	s_cbranch_execz .LBB154_123
.LBB154_116:                            ; =>This Loop Header: Depth=1
                                        ;     Child Loop BB154_118 Depth 2
                                        ;     Child Loop BB154_122 Depth 2
	v_lshl_add_u32 v2, v0, 3, 0
	ds_read_b64 v[4:5], v2
	s_and_b64 vcc, exec, s[0:1]
	v_mov_b64_e32 v[2:3], s[8:9]
	s_mov_b64 s[16:17], 0
	s_cbranch_vccnz .LBB154_120
; %bb.117:                              ;   in Loop: Header=BB154_116 Depth=1
	s_mov_b32 s18, 0
	v_mov_b64_e32 v[2:3], s[8:9]
.LBB154_118:                            ;   Parent Loop BB154_116 Depth=1
                                        ; =>  This Inner Loop Header: Depth=2
	v_mov_b32_e32 v18, s18
	ds_read2_b64 v[6:9], v18 offset1:1
	ds_read2_b64 v[10:13], v18 offset0:2 offset1:3
	ds_read2_b64 v[14:17], v18 offset0:4 offset1:5
	;; [unrolled: 1-line block ×3, first 2 shown]
	v_mov_b32_e32 v23, s7
	s_waitcnt lgkmcnt(3)
	v_cmp_gt_i64_e32 vcc, v[4:5], v[6:7]
	v_mov_b32_e32 v25, s7
	v_mov_b32_e32 v27, s7
	v_cndmask_b32_e64 v22, 0, 1, vcc
	v_cmp_gt_i64_e32 vcc, v[4:5], v[8:9]
	v_lshl_add_u64 v[2:3], v[2:3], 0, v[22:23]
	v_mov_b32_e32 v29, s7
	v_cndmask_b32_e64 v24, 0, 1, vcc
	s_waitcnt lgkmcnt(2)
	v_cmp_gt_i64_e32 vcc, v[4:5], v[10:11]
	v_lshl_add_u64 v[2:3], v[2:3], 0, v[24:25]
	v_mov_b32_e32 v31, s7
	v_cndmask_b32_e64 v26, 0, 1, vcc
	v_cmp_gt_i64_e32 vcc, v[4:5], v[12:13]
	v_lshl_add_u64 v[2:3], v[2:3], 0, v[26:27]
	v_mov_b32_e32 v33, s7
	v_cndmask_b32_e64 v28, 0, 1, vcc
	s_waitcnt lgkmcnt(1)
	v_cmp_gt_i64_e32 vcc, v[4:5], v[14:15]
	v_lshl_add_u64 v[2:3], v[2:3], 0, v[28:29]
	v_mov_b32_e32 v35, s7
	v_cndmask_b32_e64 v30, 0, 1, vcc
	v_cmp_gt_i64_e32 vcc, v[4:5], v[16:17]
	v_lshl_add_u64 v[2:3], v[2:3], 0, v[30:31]
	s_add_u32 s16, s16, 8
	v_cndmask_b32_e64 v32, 0, 1, vcc
	s_waitcnt lgkmcnt(0)
	v_cmp_gt_i64_e32 vcc, v[4:5], v[18:19]
	v_lshl_add_u64 v[2:3], v[2:3], 0, v[32:33]
	v_mov_b32_e32 v37, s7
	v_cndmask_b32_e64 v34, 0, 1, vcc
	v_cmp_gt_i64_e32 vcc, v[4:5], v[20:21]
	s_addc_u32 s17, s17, 0
	s_add_i32 s18, s18, 64
	v_cndmask_b32_e64 v36, 0, 1, vcc
	v_lshl_add_u64 v[2:3], v[2:3], 0, v[34:35]
	s_cmp_eq_u64 s[10:11], s[16:17]
	v_lshl_add_u64 v[2:3], v[2:3], 0, v[36:37]
	s_cbranch_scc0 .LBB154_118
; %bb.119:                              ;   in Loop: Header=BB154_116 Depth=1
	s_mov_b64 s[16:17], s[10:11]
.LBB154_120:                            ;   in Loop: Header=BB154_116 Depth=1
	s_and_b64 vcc, exec, s[2:3]
	s_cbranch_vccnz .LBB154_115
; %bb.121:                              ;   in Loop: Header=BB154_116 Depth=1
	s_lshl_b32 s16, s16, 3
	s_add_i32 s18, s16, 0
	s_mov_b64 s[16:17], s[6:7]
.LBB154_122:                            ;   Parent Loop BB154_116 Depth=1
                                        ; =>  This Inner Loop Header: Depth=2
	v_mov_b32_e32 v6, s18
	ds_read_b64 v[8:9], v6
	s_add_i32 s18, s18, 8
	s_add_u32 s16, s16, -1
	v_mov_b32_e32 v7, s7
	s_addc_u32 s17, s17, -1
	s_waitcnt lgkmcnt(0)
	v_cmp_gt_i64_e32 vcc, v[4:5], v[8:9]
	s_cmp_lg_u64 s[16:17], 0
	s_nop 0
	v_cndmask_b32_e64 v6, 0, 1, vcc
	v_lshl_add_u64 v[2:3], v[2:3], 0, v[6:7]
	s_cbranch_scc1 .LBB154_122
	s_branch .LBB154_115
.LBB154_123:
	s_endpgm
	.section	.rodata,"a",@progbits
	.p2align	6, 0x0
	.amdhsa_kernel _ZN9rocsparseL41csrgemm_numeric_fill_block_per_row_kernelILj1024ELj64ELj16384ELj137ELj32Ell21rocsparse_complex_numIdEEEvT5_PKS3_S5_NS_24const_host_device_scalarIT6_EEPKT4_S5_PKS7_SB_S5_SD_S8_SB_S5_SD_SB_S5_PS7_21rocsparse_index_base_SF_SF_SF_bbb
		.amdhsa_group_segment_fixed_size 0
		.amdhsa_private_segment_fixed_size 40
		.amdhsa_kernarg_size 172
		.amdhsa_user_sgpr_count 2
		.amdhsa_user_sgpr_dispatch_ptr 0
		.amdhsa_user_sgpr_queue_ptr 0
		.amdhsa_user_sgpr_kernarg_segment_ptr 1
		.amdhsa_user_sgpr_dispatch_id 0
		.amdhsa_user_sgpr_kernarg_preload_length 0
		.amdhsa_user_sgpr_kernarg_preload_offset 0
		.amdhsa_user_sgpr_private_segment_size 0
		.amdhsa_uses_dynamic_stack 0
		.amdhsa_enable_private_segment 1
		.amdhsa_system_sgpr_workgroup_id_x 1
		.amdhsa_system_sgpr_workgroup_id_y 0
		.amdhsa_system_sgpr_workgroup_id_z 0
		.amdhsa_system_sgpr_workgroup_info 0
		.amdhsa_system_vgpr_workitem_id 0
		.amdhsa_next_free_vgpr 39
		.amdhsa_next_free_sgpr 100
		.amdhsa_accum_offset 40
		.amdhsa_reserve_vcc 1
		.amdhsa_float_round_mode_32 0
		.amdhsa_float_round_mode_16_64 0
		.amdhsa_float_denorm_mode_32 3
		.amdhsa_float_denorm_mode_16_64 3
		.amdhsa_dx10_clamp 1
		.amdhsa_ieee_mode 1
		.amdhsa_fp16_overflow 0
		.amdhsa_tg_split 0
		.amdhsa_exception_fp_ieee_invalid_op 0
		.amdhsa_exception_fp_denorm_src 0
		.amdhsa_exception_fp_ieee_div_zero 0
		.amdhsa_exception_fp_ieee_overflow 0
		.amdhsa_exception_fp_ieee_underflow 0
		.amdhsa_exception_fp_ieee_inexact 0
		.amdhsa_exception_int_div_zero 0
	.end_amdhsa_kernel
	.section	.text._ZN9rocsparseL41csrgemm_numeric_fill_block_per_row_kernelILj1024ELj64ELj16384ELj137ELj32Ell21rocsparse_complex_numIdEEEvT5_PKS3_S5_NS_24const_host_device_scalarIT6_EEPKT4_S5_PKS7_SB_S5_SD_S8_SB_S5_SD_SB_S5_PS7_21rocsparse_index_base_SF_SF_SF_bbb,"axG",@progbits,_ZN9rocsparseL41csrgemm_numeric_fill_block_per_row_kernelILj1024ELj64ELj16384ELj137ELj32Ell21rocsparse_complex_numIdEEEvT5_PKS3_S5_NS_24const_host_device_scalarIT6_EEPKT4_S5_PKS7_SB_S5_SD_S8_SB_S5_SD_SB_S5_PS7_21rocsparse_index_base_SF_SF_SF_bbb,comdat
.Lfunc_end154:
	.size	_ZN9rocsparseL41csrgemm_numeric_fill_block_per_row_kernelILj1024ELj64ELj16384ELj137ELj32Ell21rocsparse_complex_numIdEEEvT5_PKS3_S5_NS_24const_host_device_scalarIT6_EEPKT4_S5_PKS7_SB_S5_SD_S8_SB_S5_SD_SB_S5_PS7_21rocsparse_index_base_SF_SF_SF_bbb, .Lfunc_end154-_ZN9rocsparseL41csrgemm_numeric_fill_block_per_row_kernelILj1024ELj64ELj16384ELj137ELj32Ell21rocsparse_complex_numIdEEEvT5_PKS3_S5_NS_24const_host_device_scalarIT6_EEPKT4_S5_PKS7_SB_S5_SD_S8_SB_S5_SD_SB_S5_PS7_21rocsparse_index_base_SF_SF_SF_bbb
                                        ; -- End function
	.set _ZN9rocsparseL41csrgemm_numeric_fill_block_per_row_kernelILj1024ELj64ELj16384ELj137ELj32Ell21rocsparse_complex_numIdEEEvT5_PKS3_S5_NS_24const_host_device_scalarIT6_EEPKT4_S5_PKS7_SB_S5_SD_S8_SB_S5_SD_SB_S5_PS7_21rocsparse_index_base_SF_SF_SF_bbb.num_vgpr, 39
	.set _ZN9rocsparseL41csrgemm_numeric_fill_block_per_row_kernelILj1024ELj64ELj16384ELj137ELj32Ell21rocsparse_complex_numIdEEEvT5_PKS3_S5_NS_24const_host_device_scalarIT6_EEPKT4_S5_PKS7_SB_S5_SD_S8_SB_S5_SD_SB_S5_PS7_21rocsparse_index_base_SF_SF_SF_bbb.num_agpr, 0
	.set _ZN9rocsparseL41csrgemm_numeric_fill_block_per_row_kernelILj1024ELj64ELj16384ELj137ELj32Ell21rocsparse_complex_numIdEEEvT5_PKS3_S5_NS_24const_host_device_scalarIT6_EEPKT4_S5_PKS7_SB_S5_SD_S8_SB_S5_SD_SB_S5_PS7_21rocsparse_index_base_SF_SF_SF_bbb.numbered_sgpr, 100
	.set _ZN9rocsparseL41csrgemm_numeric_fill_block_per_row_kernelILj1024ELj64ELj16384ELj137ELj32Ell21rocsparse_complex_numIdEEEvT5_PKS3_S5_NS_24const_host_device_scalarIT6_EEPKT4_S5_PKS7_SB_S5_SD_S8_SB_S5_SD_SB_S5_PS7_21rocsparse_index_base_SF_SF_SF_bbb.num_named_barrier, 0
	.set _ZN9rocsparseL41csrgemm_numeric_fill_block_per_row_kernelILj1024ELj64ELj16384ELj137ELj32Ell21rocsparse_complex_numIdEEEvT5_PKS3_S5_NS_24const_host_device_scalarIT6_EEPKT4_S5_PKS7_SB_S5_SD_S8_SB_S5_SD_SB_S5_PS7_21rocsparse_index_base_SF_SF_SF_bbb.private_seg_size, 40
	.set _ZN9rocsparseL41csrgemm_numeric_fill_block_per_row_kernelILj1024ELj64ELj16384ELj137ELj32Ell21rocsparse_complex_numIdEEEvT5_PKS3_S5_NS_24const_host_device_scalarIT6_EEPKT4_S5_PKS7_SB_S5_SD_S8_SB_S5_SD_SB_S5_PS7_21rocsparse_index_base_SF_SF_SF_bbb.uses_vcc, 1
	.set _ZN9rocsparseL41csrgemm_numeric_fill_block_per_row_kernelILj1024ELj64ELj16384ELj137ELj32Ell21rocsparse_complex_numIdEEEvT5_PKS3_S5_NS_24const_host_device_scalarIT6_EEPKT4_S5_PKS7_SB_S5_SD_S8_SB_S5_SD_SB_S5_PS7_21rocsparse_index_base_SF_SF_SF_bbb.uses_flat_scratch, 0
	.set _ZN9rocsparseL41csrgemm_numeric_fill_block_per_row_kernelILj1024ELj64ELj16384ELj137ELj32Ell21rocsparse_complex_numIdEEEvT5_PKS3_S5_NS_24const_host_device_scalarIT6_EEPKT4_S5_PKS7_SB_S5_SD_S8_SB_S5_SD_SB_S5_PS7_21rocsparse_index_base_SF_SF_SF_bbb.has_dyn_sized_stack, 0
	.set _ZN9rocsparseL41csrgemm_numeric_fill_block_per_row_kernelILj1024ELj64ELj16384ELj137ELj32Ell21rocsparse_complex_numIdEEEvT5_PKS3_S5_NS_24const_host_device_scalarIT6_EEPKT4_S5_PKS7_SB_S5_SD_S8_SB_S5_SD_SB_S5_PS7_21rocsparse_index_base_SF_SF_SF_bbb.has_recursion, 0
	.set _ZN9rocsparseL41csrgemm_numeric_fill_block_per_row_kernelILj1024ELj64ELj16384ELj137ELj32Ell21rocsparse_complex_numIdEEEvT5_PKS3_S5_NS_24const_host_device_scalarIT6_EEPKT4_S5_PKS7_SB_S5_SD_S8_SB_S5_SD_SB_S5_PS7_21rocsparse_index_base_SF_SF_SF_bbb.has_indirect_call, 0
	.section	.AMDGPU.csdata,"",@progbits
; Kernel info:
; codeLenInByte = 5020
; TotalNumSgprs: 106
; NumVgprs: 39
; NumAgprs: 0
; TotalNumVgprs: 39
; ScratchSize: 40
; MemoryBound: 0
; FloatMode: 240
; IeeeMode: 1
; LDSByteSize: 0 bytes/workgroup (compile time only)
; SGPRBlocks: 13
; VGPRBlocks: 4
; NumSGPRsForWavesPerEU: 106
; NumVGPRsForWavesPerEU: 39
; AccumOffset: 40
; Occupancy: 7
; WaveLimiterHint : 1
; COMPUTE_PGM_RSRC2:SCRATCH_EN: 1
; COMPUTE_PGM_RSRC2:USER_SGPR: 2
; COMPUTE_PGM_RSRC2:TRAP_HANDLER: 0
; COMPUTE_PGM_RSRC2:TGID_X_EN: 1
; COMPUTE_PGM_RSRC2:TGID_Y_EN: 0
; COMPUTE_PGM_RSRC2:TGID_Z_EN: 0
; COMPUTE_PGM_RSRC2:TIDIG_COMP_CNT: 0
; COMPUTE_PGM_RSRC3_GFX90A:ACCUM_OFFSET: 9
; COMPUTE_PGM_RSRC3_GFX90A:TG_SPLIT: 0
	.section	.text._ZN9rocsparseL41csrgemm_numeric_fill_block_per_row_kernelILj1024ELj64ELj16384ELj137ELj64Ell21rocsparse_complex_numIdEEEvT5_PKS3_S5_NS_24const_host_device_scalarIT6_EEPKT4_S5_PKS7_SB_S5_SD_S8_SB_S5_SD_SB_S5_PS7_21rocsparse_index_base_SF_SF_SF_bbb,"axG",@progbits,_ZN9rocsparseL41csrgemm_numeric_fill_block_per_row_kernelILj1024ELj64ELj16384ELj137ELj64Ell21rocsparse_complex_numIdEEEvT5_PKS3_S5_NS_24const_host_device_scalarIT6_EEPKT4_S5_PKS7_SB_S5_SD_S8_SB_S5_SD_SB_S5_PS7_21rocsparse_index_base_SF_SF_SF_bbb,comdat
	.globl	_ZN9rocsparseL41csrgemm_numeric_fill_block_per_row_kernelILj1024ELj64ELj16384ELj137ELj64Ell21rocsparse_complex_numIdEEEvT5_PKS3_S5_NS_24const_host_device_scalarIT6_EEPKT4_S5_PKS7_SB_S5_SD_S8_SB_S5_SD_SB_S5_PS7_21rocsparse_index_base_SF_SF_SF_bbb ; -- Begin function _ZN9rocsparseL41csrgemm_numeric_fill_block_per_row_kernelILj1024ELj64ELj16384ELj137ELj64Ell21rocsparse_complex_numIdEEEvT5_PKS3_S5_NS_24const_host_device_scalarIT6_EEPKT4_S5_PKS7_SB_S5_SD_S8_SB_S5_SD_SB_S5_PS7_21rocsparse_index_base_SF_SF_SF_bbb
	.p2align	8
	.type	_ZN9rocsparseL41csrgemm_numeric_fill_block_per_row_kernelILj1024ELj64ELj16384ELj137ELj64Ell21rocsparse_complex_numIdEEEvT5_PKS3_S5_NS_24const_host_device_scalarIT6_EEPKT4_S5_PKS7_SB_S5_SD_S8_SB_S5_SD_SB_S5_PS7_21rocsparse_index_base_SF_SF_SF_bbb,@function
_ZN9rocsparseL41csrgemm_numeric_fill_block_per_row_kernelILj1024ELj64ELj16384ELj137ELj64Ell21rocsparse_complex_numIdEEEvT5_PKS3_S5_NS_24const_host_device_scalarIT6_EEPKT4_S5_PKS7_SB_S5_SD_S8_SB_S5_SD_SB_S5_PS7_21rocsparse_index_base_SF_SF_SF_bbb: ; @_ZN9rocsparseL41csrgemm_numeric_fill_block_per_row_kernelILj1024ELj64ELj16384ELj137ELj64Ell21rocsparse_complex_numIdEEEvT5_PKS3_S5_NS_24const_host_device_scalarIT6_EEPKT4_S5_PKS7_SB_S5_SD_S8_SB_S5_SD_SB_S5_PS7_21rocsparse_index_base_SF_SF_SF_bbb
; %bb.0:
	s_load_dword s3, s[0:1], 0xa8
	s_load_dwordx4 s[44:47], s[0:1], 0x98
	s_load_dwordx4 s[8:11], s[0:1], 0x18
	;; [unrolled: 1-line block ×3, first 2 shown]
	v_mov_b64_e32 v[6:7], 0
	s_waitcnt lgkmcnt(0)
	s_bitcmp1_b32 s3, 0
	s_cselect_b64 s[28:29], -1, 0
	s_bitcmp1_b32 s3, 16
	s_cselect_b64 s[30:31], -1, 0
	s_xor_b64 s[4:5], s[30:31], -1
	v_mov_b64_e32 v[2:3], s[8:9]
	v_cndmask_b32_e64 v1, 0, 1, s[4:5]
	scratch_store_dwordx2 off, v[2:3], off offset:16
	v_mov_b64_e32 v[2:3], s[24:25]
	s_bitcmp0_b32 s3, 0
	v_cmp_ne_u32_e64 s[4:5], 1, v1
	v_mov_b64_e32 v[10:11], 0
	v_mov_b64_e32 v[12:13], 0
	scratch_store_dwordx2 off, v[2:3], off offset:24
	s_cbranch_scc1 .LBB155_3
; %bb.1:
	s_mov_b64 s[6:7], src_private_base
	s_and_b64 s[12:13], s[30:31], exec
	s_cselect_b32 s6, s7, s9
	s_cselect_b32 s7, 16, s8
	v_mov_b32_e32 v2, s7
	v_mov_b32_e32 v3, s6
	flat_load_dwordx2 v[10:11], v[2:3]
	s_and_b64 vcc, exec, s[4:5]
	v_mov_b64_e32 v[12:13], s[10:11]
	s_cbranch_vccnz .LBB155_3
; %bb.2:
	v_mov_b64_e32 v[2:3], s[8:9]
	flat_load_dwordx2 v[12:13], v[2:3] offset:8
.LBB155_3:
	s_load_dwordx2 s[34:35], s[0:1], 0x90
	s_load_dwordx8 s[36:43], s[0:1], 0x68
	s_load_dwordx4 s[16:19], s[0:1], 0x48
	s_load_dwordx4 s[20:23], s[0:1], 0x8
	s_load_dwordx8 s[8:15], s[0:1], 0x28
	s_bitcmp1_b32 s3, 8
	s_cselect_b64 s[6:7], -1, 0
	s_bfe_u32 s3, s3, 0x10008
	s_cmp_eq_u32 s3, 0
	v_mov_b64_e32 v[8:9], 0
	s_cbranch_scc1 .LBB155_6
; %bb.4:
	s_mov_b64 s[48:49], src_private_base
	s_and_b64 s[30:31], s[30:31], exec
	s_cselect_b32 s3, s49, s25
	s_cselect_b32 s30, 24, s24
	v_mov_b32_e32 v2, s30
	v_mov_b32_e32 v3, s3
	flat_load_dwordx2 v[8:9], v[2:3]
	s_and_b64 vcc, exec, s[4:5]
	v_mov_b64_e32 v[6:7], s[26:27]
	s_cbranch_vccnz .LBB155_6
; %bb.5:
	v_mov_b64_e32 v[2:3], s[24:25]
	flat_load_dwordx2 v[6:7], v[2:3] offset:8
.LBB155_6:
	s_load_dwordx2 s[48:49], s[0:1], 0x0
	v_lshlrev_b32_e32 v2, 4, v0
	s_mov_b32 s4, 0
	v_or_b32_e32 v1, 0xfffffc00, v0
	v_add_u32_e32 v35, 0, v2
	v_lshl_add_u32 v34, v0, 3, 0
	s_mov_b32 s5, s4
	s_mov_b32 s24, s4
	;; [unrolled: 1-line block ×3, first 2 shown]
	v_add_u32_e32 v14, 0x20008, v35
	s_mov_b64 s[0:1], 0
	s_waitcnt lgkmcnt(0)
	v_mov_b64_e32 v[18:19], s[48:49]
	v_mov_b64_e32 v[2:3], s[4:5]
	;; [unrolled: 1-line block ×3, first 2 shown]
	s_movk_i32 s3, 0x3bff
	v_mov_b32_e32 v15, v34
	v_mov_b32_e32 v16, v1
.LBB155_7:                              ; =>This Inner Loop Header: Depth=1
	v_add_u32_e32 v16, 0x400, v16
	v_cmp_lt_u32_e32 vcc, s3, v16
	ds_write_b64 v15, v[18:19]
	v_add_u32_e32 v17, -8, v14
	v_add_u32_e32 v14, 0x4000, v14
	v_add_u32_e32 v15, 0x2000, v15
	s_or_b64 s[0:1], vcc, s[0:1]
	ds_write2_b64 v17, v[2:3], v[4:5] offset1:1
	s_andn2_b64 exec, exec, s[0:1]
	s_cbranch_execnz .LBB155_7
; %bb.8:
	s_or_b64 exec, exec, s[0:1]
	s_waitcnt lgkmcnt(0)
	s_barrier
	s_load_dwordx2 s[0:1], s[20:21], 0x0
	s_mov_b32 s3, 0
	v_lshrrev_b32_e32 v36, 6, v0
	s_waitcnt lgkmcnt(0)
	s_lshl_b64 s[0:1], s[0:1], 3
	s_add_u32 s4, s22, s0
	s_addc_u32 s5, s23, s1
	s_lshl_b64 s[0:1], s[2:3], 3
	s_add_u32 s0, s4, s0
	s_addc_u32 s1, s5, s1
	s_load_dwordx2 s[50:51], s[0:1], 0x0
	s_and_b64 vcc, exec, s[28:29]
	s_cbranch_vccz .LBB155_28
; %bb.9:
	s_waitcnt lgkmcnt(0)
	s_lshl_b64 s[0:1], s[50:51], 3
	s_add_u32 s0, s8, s0
	s_addc_u32 s1, s9, s1
	s_load_dwordx4 s[20:23], s[0:1], 0x0
	v_subrev_co_u32_e32 v2, vcc, s44, v36
	s_nop 1
	v_subb_co_u32_e64 v3, s[0:1], 0, 0, vcc
	s_waitcnt lgkmcnt(0)
	s_sub_u32 s0, s22, s44
	s_subb_u32 s1, s23, 0
	v_lshl_add_u64 v[14:15], s[20:21], 0, v[2:3]
	v_cmp_gt_i64_e32 vcc, s[0:1], v[14:15]
	s_and_saveexec_b64 s[2:3], vcc
	s_cbranch_execz .LBB155_27
; %bb.10:
	v_and_b32_e32 v2, 63, v0
	v_subrev_co_u32_e32 v16, vcc, s45, v2
	s_mov_b32 s33, s45
	s_nop 0
	v_subb_co_u32_e64 v17, s[4:5], 0, 0, vcc
	s_mov_b64 s[4:5], 0
	s_movk_i32 s45, 0x89
	s_branch .LBB155_12
.LBB155_11:                             ;   in Loop: Header=BB155_12 Depth=1
	s_or_b64 exec, exec, s[8:9]
	v_lshl_add_u64 v[14:15], v[14:15], 0, 16
	v_cmp_le_i64_e32 vcc, s[0:1], v[14:15]
	s_or_b64 s[4:5], vcc, s[4:5]
	s_andn2_b64 exec, exec, s[4:5]
	s_cbranch_execz .LBB155_27
.LBB155_12:                             ; =>This Loop Header: Depth=1
                                        ;     Child Loop BB155_16 Depth 2
                                        ;       Child Loop BB155_19 Depth 3
	v_lshl_add_u64 v[2:3], v[14:15], 3, s[10:11]
	global_load_dwordx2 v[2:3], v[2:3], off
	s_waitcnt vmcnt(0)
	v_subrev_co_u32_e32 v2, vcc, s44, v2
	s_nop 1
	v_subbrev_co_u32_e32 v3, vcc, 0, v3, vcc
	v_lshl_add_u64 v[2:3], v[2:3], 3, s[14:15]
	global_load_dwordx4 v[2:5], v[2:3], off
	s_waitcnt vmcnt(0)
	v_subrev_co_u32_e32 v18, vcc, s33, v4
	s_nop 1
	v_subbrev_co_u32_e32 v19, vcc, 0, v5, vcc
	v_lshl_add_u64 v[20:21], v[2:3], 0, v[16:17]
	v_cmp_lt_i64_e32 vcc, v[20:21], v[18:19]
	s_and_saveexec_b64 s[8:9], vcc
	s_cbranch_execz .LBB155_11
; %bb.13:                               ;   in Loop: Header=BB155_12 Depth=1
	v_lshl_add_u64 v[2:3], v[14:15], 4, s[12:13]
	global_load_dwordx4 v[2:5], v[2:3], off
	s_mov_b64 s[20:21], 0
	s_waitcnt vmcnt(0)
	v_mul_f64 v[22:23], v[4:5], -v[12:13]
	v_mul_f64 v[24:25], v[10:11], v[4:5]
	v_fmac_f64_e32 v[22:23], v[10:11], v[2:3]
	v_fmac_f64_e32 v[24:25], v[12:13], v[2:3]
	s_branch .LBB155_16
.LBB155_14:                             ;   in Loop: Header=BB155_16 Depth=2
	s_or_b64 exec, exec, s[24:25]
.LBB155_15:                             ;   in Loop: Header=BB155_16 Depth=2
	s_or_b64 exec, exec, s[22:23]
	s_waitcnt vmcnt(0)
	v_mul_f64 v[28:29], v[4:5], -v[24:25]
	v_mul_f64 v[4:5], v[22:23], v[4:5]
	v_fmac_f64_e32 v[28:29], v[22:23], v[2:3]
	v_fmac_f64_e32 v[4:5], v[24:25], v[2:3]
	v_lshl_add_u32 v2, v26, 4, 0
	v_add_u32_e32 v2, 0x20000, v2
	ds_add_f64 v2, v[28:29]
	ds_add_f64 v2, v[4:5] offset:8
	v_lshl_add_u64 v[20:21], v[20:21], 0, 64
	v_cmp_ge_i64_e32 vcc, v[20:21], v[18:19]
	s_or_b64 s[20:21], vcc, s[20:21]
	s_andn2_b64 exec, exec, s[20:21]
	s_cbranch_execz .LBB155_11
.LBB155_16:                             ;   Parent Loop BB155_12 Depth=1
                                        ; =>  This Loop Header: Depth=2
                                        ;       Child Loop BB155_19 Depth 3
	v_lshl_add_u64 v[2:3], v[20:21], 3, s[16:17]
	global_load_dwordx2 v[26:27], v[2:3], off
	v_lshl_add_u64 v[2:3], v[20:21], 4, s[18:19]
	global_load_dwordx4 v[2:5], v[2:3], off
	s_waitcnt vmcnt(1)
	v_subrev_co_u32_e32 v28, vcc, s33, v26
	v_mul_lo_u32 v26, v28, s45
	v_and_b32_e32 v26, 0x3fff, v26
	v_lshl_add_u32 v37, v26, 3, 0
	ds_read_b64 v[32:33], v37
	v_subbrev_co_u32_e32 v29, vcc, 0, v27, vcc
	s_waitcnt lgkmcnt(0)
	v_cmp_ne_u64_e32 vcc, v[32:33], v[28:29]
	s_and_saveexec_b64 s[22:23], vcc
	s_cbranch_execz .LBB155_15
; %bb.17:                               ;   in Loop: Header=BB155_16 Depth=2
	s_mov_b64 s[24:25], 0
                                        ; implicit-def: $sgpr26_sgpr27
                                        ; implicit-def: $sgpr28_sgpr29
	s_branch .LBB155_19
.LBB155_18:                             ;   in Loop: Header=BB155_19 Depth=3
	s_or_b64 exec, exec, s[54:55]
	s_and_b64 s[30:31], exec, s[52:53]
	s_or_b64 s[24:25], s[30:31], s[24:25]
	s_andn2_b64 s[26:27], s[26:27], exec
	s_and_b64 s[30:31], s[28:29], exec
	s_or_b64 s[26:27], s[26:27], s[30:31]
	s_andn2_b64 exec, exec, s[24:25]
	s_cbranch_execz .LBB155_25
.LBB155_19:                             ;   Parent Loop BB155_12 Depth=1
                                        ;     Parent Loop BB155_16 Depth=2
                                        ; =>    This Inner Loop Header: Depth=3
	v_mov_b64_e32 v[30:31], v[26:27]
	v_cmp_ne_u64_e32 vcc, s[48:49], v[32:33]
	s_mov_b64 s[30:31], 0
                                        ; implicit-def: $vgpr26_vgpr27
	s_and_saveexec_b64 s[52:53], vcc
	s_xor_b64 s[52:53], exec, s[52:53]
; %bb.20:                               ;   in Loop: Header=BB155_19 Depth=3
	v_add_u32_e32 v26, 1, v30
	s_mov_b64 s[30:31], exec
	v_and_b32_e32 v26, 0x3fff, v26
                                        ; implicit-def: $vgpr37
; %bb.21:                               ;   in Loop: Header=BB155_19 Depth=3
	s_andn2_saveexec_b64 s[52:53], s[52:53]
	s_cbranch_execz .LBB155_23
; %bb.22:                               ;   in Loop: Header=BB155_19 Depth=3
	v_mov_b64_e32 v[26:27], s[48:49]
	ds_cmpst_rtn_b64 v[26:27], v37, v[26:27], v[28:29]
	s_andn2_b64 s[30:31], s[30:31], exec
	s_waitcnt lgkmcnt(0)
	v_cmp_ne_u64_e32 vcc, s[48:49], v[26:27]
	s_and_b64 s[54:55], vcc, exec
	s_or_b64 s[30:31], s[30:31], s[54:55]
	v_mov_b64_e32 v[26:27], v[30:31]
.LBB155_23:                             ;   in Loop: Header=BB155_19 Depth=3
	s_or_b64 exec, exec, s[52:53]
	s_mov_b64 s[52:53], -1
	s_or_b64 s[28:29], s[28:29], exec
                                        ; implicit-def: $vgpr37
                                        ; implicit-def: $vgpr32_vgpr33
	s_and_saveexec_b64 s[54:55], s[30:31]
	s_cbranch_execz .LBB155_18
; %bb.24:                               ;   in Loop: Header=BB155_19 Depth=3
	v_lshl_add_u32 v37, v26, 3, 0
	ds_read_b64 v[32:33], v37
	s_andn2_b64 s[28:29], s[28:29], exec
	s_waitcnt lgkmcnt(0)
	v_cmp_eq_u64_e32 vcc, v[32:33], v[28:29]
	s_orn2_b64 s[52:53], vcc, exec
	s_branch .LBB155_18
.LBB155_25:                             ;   in Loop: Header=BB155_16 Depth=2
	s_or_b64 exec, exec, s[24:25]
	s_and_saveexec_b64 s[24:25], s[26:27]
	s_xor_b64 s[24:25], exec, s[24:25]
	s_cbranch_execz .LBB155_14
; %bb.26:                               ;   in Loop: Header=BB155_16 Depth=2
	v_mov_b32_e32 v26, v30
	s_branch .LBB155_14
.LBB155_27:
	s_or_b64 exec, exec, s[2:3]
.LBB155_28:
	s_andn2_b64 vcc, exec, s[6:7]
	s_cbranch_vccnz .LBB155_45
; %bb.29:
	s_waitcnt lgkmcnt(0)
	s_lshl_b64 s[0:1], s[50:51], 3
	s_add_u32 s0, s36, s0
	s_addc_u32 s1, s37, s1
	s_load_dwordx4 s[4:7], s[0:1], 0x0
	v_subrev_co_u32_e32 v2, vcc, s47, v0
	s_waitcnt lgkmcnt(0)
	s_sub_u32 s0, s6, s47
	v_subb_co_u32_e64 v3, s[2:3], 0, 0, vcc
	s_subb_u32 s1, s7, 0
	s_waitcnt vmcnt(0)
	v_lshl_add_u64 v[10:11], s[4:5], 0, v[2:3]
	v_cmp_gt_i64_e32 vcc, s[0:1], v[10:11]
	s_and_saveexec_b64 s[2:3], vcc
	s_cbranch_execz .LBB155_44
; %bb.30:
	s_mov_b32 s22, s47
	s_mov_b64 s[4:5], 0
	s_movk_i32 s23, 0x89
	s_mov_b64 s[6:7], 0x400
	s_branch .LBB155_33
.LBB155_31:                             ;   in Loop: Header=BB155_33 Depth=1
	s_or_b64 exec, exec, s[10:11]
.LBB155_32:                             ;   in Loop: Header=BB155_33 Depth=1
	s_or_b64 exec, exec, s[8:9]
	s_waitcnt vmcnt(0)
	v_mul_f64 v[14:15], v[4:5], -v[6:7]
	v_mul_f64 v[4:5], v[8:9], v[4:5]
	v_fmac_f64_e32 v[14:15], v[8:9], v[2:3]
	v_fmac_f64_e32 v[4:5], v[6:7], v[2:3]
	v_lshl_add_u32 v2, v12, 4, 0
	v_add_u32_e32 v2, 0x20000, v2
	ds_add_f64 v2, v[14:15]
	ds_add_f64 v2, v[4:5] offset:8
	v_lshl_add_u64 v[10:11], v[10:11], 0, s[6:7]
	v_cmp_le_i64_e32 vcc, s[0:1], v[10:11]
	s_or_b64 s[4:5], vcc, s[4:5]
	s_andn2_b64 exec, exec, s[4:5]
	s_cbranch_execz .LBB155_44
.LBB155_33:                             ; =>This Loop Header: Depth=1
                                        ;     Child Loop BB155_36 Depth 2
	v_lshl_add_u64 v[2:3], v[10:11], 3, s[38:39]
	global_load_dwordx2 v[12:13], v[2:3], off
	v_lshl_add_u64 v[2:3], v[10:11], 4, s[40:41]
	global_load_dwordx4 v[2:5], v[2:3], off
	s_waitcnt vmcnt(1)
	v_subrev_co_u32_e32 v14, vcc, s22, v12
	v_mul_lo_u32 v12, v14, s23
	v_and_b32_e32 v12, 0x3fff, v12
	v_lshl_add_u32 v20, v12, 3, 0
	ds_read_b64 v[18:19], v20
	v_subbrev_co_u32_e32 v15, vcc, 0, v13, vcc
	s_waitcnt lgkmcnt(0)
	v_cmp_ne_u64_e32 vcc, v[18:19], v[14:15]
	s_and_saveexec_b64 s[8:9], vcc
	s_cbranch_execz .LBB155_32
; %bb.34:                               ;   in Loop: Header=BB155_33 Depth=1
	s_mov_b64 s[10:11], 0
                                        ; implicit-def: $sgpr12_sgpr13
                                        ; implicit-def: $sgpr14_sgpr15
	s_branch .LBB155_36
.LBB155_35:                             ;   in Loop: Header=BB155_36 Depth=2
	s_or_b64 exec, exec, s[20:21]
	s_and_b64 s[16:17], exec, s[18:19]
	s_or_b64 s[10:11], s[16:17], s[10:11]
	s_andn2_b64 s[12:13], s[12:13], exec
	s_and_b64 s[16:17], s[14:15], exec
	s_or_b64 s[12:13], s[12:13], s[16:17]
	s_andn2_b64 exec, exec, s[10:11]
	s_cbranch_execz .LBB155_42
.LBB155_36:                             ;   Parent Loop BB155_33 Depth=1
                                        ; =>  This Inner Loop Header: Depth=2
	v_mov_b64_e32 v[16:17], v[12:13]
	v_cmp_ne_u64_e32 vcc, s[48:49], v[18:19]
	s_mov_b64 s[16:17], 0
                                        ; implicit-def: $vgpr12_vgpr13
	s_and_saveexec_b64 s[18:19], vcc
	s_xor_b64 s[18:19], exec, s[18:19]
; %bb.37:                               ;   in Loop: Header=BB155_36 Depth=2
	v_add_u32_e32 v12, 1, v16
	s_mov_b64 s[16:17], exec
	v_and_b32_e32 v12, 0x3fff, v12
                                        ; implicit-def: $vgpr20
; %bb.38:                               ;   in Loop: Header=BB155_36 Depth=2
	s_andn2_saveexec_b64 s[18:19], s[18:19]
	s_cbranch_execz .LBB155_40
; %bb.39:                               ;   in Loop: Header=BB155_36 Depth=2
	v_mov_b64_e32 v[12:13], s[48:49]
	ds_cmpst_rtn_b64 v[12:13], v20, v[12:13], v[14:15]
	s_andn2_b64 s[16:17], s[16:17], exec
	s_waitcnt lgkmcnt(0)
	v_cmp_ne_u64_e32 vcc, s[48:49], v[12:13]
	s_and_b64 s[20:21], vcc, exec
	s_or_b64 s[16:17], s[16:17], s[20:21]
	v_mov_b64_e32 v[12:13], v[16:17]
.LBB155_40:                             ;   in Loop: Header=BB155_36 Depth=2
	s_or_b64 exec, exec, s[18:19]
	s_mov_b64 s[18:19], -1
	s_or_b64 s[14:15], s[14:15], exec
                                        ; implicit-def: $vgpr20
                                        ; implicit-def: $vgpr18_vgpr19
	s_and_saveexec_b64 s[20:21], s[16:17]
	s_cbranch_execz .LBB155_35
; %bb.41:                               ;   in Loop: Header=BB155_36 Depth=2
	v_lshl_add_u32 v20, v12, 3, 0
	ds_read_b64 v[18:19], v20
	s_andn2_b64 s[14:15], s[14:15], exec
	s_waitcnt lgkmcnt(0)
	v_cmp_eq_u64_e32 vcc, v[18:19], v[14:15]
	s_orn2_b64 s[18:19], vcc, exec
	s_branch .LBB155_35
.LBB155_42:                             ;   in Loop: Header=BB155_33 Depth=1
	s_or_b64 exec, exec, s[10:11]
	s_and_saveexec_b64 s[10:11], s[12:13]
	s_xor_b64 s[10:11], exec, s[10:11]
	s_cbranch_execz .LBB155_31
; %bb.43:                               ;   in Loop: Header=BB155_33 Depth=1
	v_mov_b32_e32 v12, v16
	s_branch .LBB155_31
.LBB155_44:
	s_or_b64 exec, exec, s[2:3]
.LBB155_45:
	v_mbcnt_lo_u32_b32 v2, -1, 0
	v_mbcnt_hi_u32_b32 v2, -1, v2
	v_sub_u32_e32 v2, 63, v2
	s_add_i32 s33, 0, 0x60000
	s_movk_i32 s0, 0x3ff
	s_movk_i32 s2, 0x7f
	;; [unrolled: 1-line block ×15, first 2 shown]
	s_add_i32 s61, 0, 0x60078
	v_mov_b32_e32 v3, 0
	v_lshrrev_b64 v[4:5], v2, -1
	s_waitcnt vmcnt(0)
	v_lshl_add_u32 v12, v36, 3, s33
	v_cmp_eq_u32_e32 vcc, s0, v0
	v_cmp_lt_u32_e64 s[0:1], 63, v0
	v_cmp_lt_u32_e64 s[2:3], s2, v0
	;; [unrolled: 1-line block ×15, first 2 shown]
	v_add_u32_e32 v13, 0x20000, v35
	s_mov_b64 s[36:37], 0
	v_mov_b64_e32 v[6:7], 0
	s_add_i32 s40, 0, 0x60008
	s_add_i32 s41, 0, 0x60010
	;; [unrolled: 1-line block ×14, first 2 shown]
	v_mov_b32_e32 v14, s61
	s_movk_i32 s62, 0x3bff
	s_waitcnt lgkmcnt(0)
	s_barrier
	s_branch .LBB155_47
.LBB155_46:                             ;   in Loop: Header=BB155_47 Depth=1
	s_or_b64 exec, exec, s[30:31]
	s_waitcnt lgkmcnt(0)
	s_barrier
	ds_read_b64 v[8:9], v14
	v_add_u32_e32 v1, 0x400, v1
	v_cmp_lt_u32_e64 s[30:31], s62, v1
	v_add_u32_e32 v13, 0x4000, v13
	s_or_b64 s[36:37], s[30:31], s[36:37]
	s_waitcnt lgkmcnt(0)
	v_lshl_add_u64 v[6:7], v[8:9], 0, v[6:7]
	v_add_u32_e32 v34, 0x2000, v34
	s_andn2_b64 exec, exec, s[36:37]
	s_cbranch_execz .LBB155_81
.LBB155_47:                             ; =>This Inner Loop Header: Depth=1
	ds_read2_b64 v[16:19], v13 offset1:1
	ds_read_b64 v[8:9], v34
	s_waitcnt lgkmcnt(1)
	scratch_store_dwordx4 off, v[16:19], off
	s_waitcnt lgkmcnt(0)
	v_cmp_gt_i64_e64 s[30:31], s[48:49], v[8:9]
	s_bcnt1_i32_b64 s38, s[30:31]
	v_mov_b32_e32 v2, s38
	v_and_b32_e32 v11, s30, v4
	v_and_b32_e32 v10, s31, v5
	v_bcnt_u32_b32 v11, v11, 0
	v_bcnt_u32_b32 v10, v10, v11
	s_barrier
	ds_write_b64 v12, v[2:3]
	s_waitcnt lgkmcnt(0)
	s_barrier
	s_and_saveexec_b64 s[38:39], s[0:1]
	s_cbranch_execnz .LBB155_64
; %bb.48:                               ;   in Loop: Header=BB155_47 Depth=1
	s_or_b64 exec, exec, s[38:39]
	s_and_saveexec_b64 s[38:39], s[2:3]
	s_cbranch_execnz .LBB155_65
.LBB155_49:                             ;   in Loop: Header=BB155_47 Depth=1
	s_or_b64 exec, exec, s[38:39]
	s_and_saveexec_b64 s[38:39], s[4:5]
	s_cbranch_execnz .LBB155_66
.LBB155_50:                             ;   in Loop: Header=BB155_47 Depth=1
	s_or_b64 exec, exec, s[38:39]
	s_and_saveexec_b64 s[38:39], s[6:7]
	s_cbranch_execnz .LBB155_67
.LBB155_51:                             ;   in Loop: Header=BB155_47 Depth=1
	s_or_b64 exec, exec, s[38:39]
	s_and_saveexec_b64 s[38:39], s[8:9]
	s_cbranch_execnz .LBB155_68
.LBB155_52:                             ;   in Loop: Header=BB155_47 Depth=1
	s_or_b64 exec, exec, s[38:39]
	s_and_saveexec_b64 s[38:39], s[10:11]
	s_cbranch_execnz .LBB155_69
.LBB155_53:                             ;   in Loop: Header=BB155_47 Depth=1
	s_or_b64 exec, exec, s[38:39]
	s_and_saveexec_b64 s[38:39], s[12:13]
	s_cbranch_execnz .LBB155_70
.LBB155_54:                             ;   in Loop: Header=BB155_47 Depth=1
	s_or_b64 exec, exec, s[38:39]
	s_and_saveexec_b64 s[38:39], s[14:15]
	s_cbranch_execnz .LBB155_71
.LBB155_55:                             ;   in Loop: Header=BB155_47 Depth=1
	s_or_b64 exec, exec, s[38:39]
	s_and_saveexec_b64 s[38:39], s[16:17]
	s_cbranch_execnz .LBB155_72
.LBB155_56:                             ;   in Loop: Header=BB155_47 Depth=1
	s_or_b64 exec, exec, s[38:39]
	s_and_saveexec_b64 s[38:39], s[18:19]
	s_cbranch_execnz .LBB155_73
.LBB155_57:                             ;   in Loop: Header=BB155_47 Depth=1
	s_or_b64 exec, exec, s[38:39]
	s_and_saveexec_b64 s[38:39], s[20:21]
	s_cbranch_execnz .LBB155_74
.LBB155_58:                             ;   in Loop: Header=BB155_47 Depth=1
	s_or_b64 exec, exec, s[38:39]
	s_and_saveexec_b64 s[38:39], s[22:23]
	s_cbranch_execnz .LBB155_75
.LBB155_59:                             ;   in Loop: Header=BB155_47 Depth=1
	s_or_b64 exec, exec, s[38:39]
	s_and_saveexec_b64 s[38:39], s[24:25]
	s_cbranch_execnz .LBB155_76
.LBB155_60:                             ;   in Loop: Header=BB155_47 Depth=1
	s_or_b64 exec, exec, s[38:39]
	s_and_saveexec_b64 s[38:39], s[26:27]
	s_cbranch_execnz .LBB155_77
.LBB155_61:                             ;   in Loop: Header=BB155_47 Depth=1
	s_or_b64 exec, exec, s[38:39]
	s_and_saveexec_b64 s[38:39], s[28:29]
	s_cbranch_execnz .LBB155_78
.LBB155_62:                             ;   in Loop: Header=BB155_47 Depth=1
	s_or_b64 exec, exec, s[38:39]
	v_ashrrev_i32_e32 v11, 31, v10
	s_and_saveexec_b64 s[38:39], s[30:31]
	s_cbranch_execnz .LBB155_79
.LBB155_63:                             ;   in Loop: Header=BB155_47 Depth=1
	s_or_b64 exec, exec, s[38:39]
	s_and_saveexec_b64 s[30:31], vcc
	s_cbranch_execz .LBB155_46
	s_branch .LBB155_80
.LBB155_64:                             ;   in Loop: Header=BB155_47 Depth=1
	v_mov_b32_e32 v2, s33
	ds_read_b32 v2, v2
	s_waitcnt lgkmcnt(0)
	v_add_u32_e32 v10, v2, v10
	s_or_b64 exec, exec, s[38:39]
	s_and_saveexec_b64 s[38:39], s[2:3]
	s_cbranch_execz .LBB155_49
.LBB155_65:                             ;   in Loop: Header=BB155_47 Depth=1
	v_mov_b32_e32 v2, s40
	ds_read_b32 v2, v2
	s_waitcnt lgkmcnt(0)
	v_add_u32_e32 v10, v10, v2
	s_or_b64 exec, exec, s[38:39]
	s_and_saveexec_b64 s[38:39], s[4:5]
	s_cbranch_execz .LBB155_50
.LBB155_66:                             ;   in Loop: Header=BB155_47 Depth=1
	v_mov_b32_e32 v2, s41
	ds_read_b32 v2, v2
	s_waitcnt lgkmcnt(0)
	v_add_u32_e32 v10, v10, v2
	s_or_b64 exec, exec, s[38:39]
	s_and_saveexec_b64 s[38:39], s[6:7]
	s_cbranch_execz .LBB155_51
.LBB155_67:                             ;   in Loop: Header=BB155_47 Depth=1
	v_mov_b32_e32 v2, s44
	ds_read_b32 v2, v2
	s_waitcnt lgkmcnt(0)
	v_add_u32_e32 v10, v10, v2
	s_or_b64 exec, exec, s[38:39]
	s_and_saveexec_b64 s[38:39], s[8:9]
	s_cbranch_execz .LBB155_52
.LBB155_68:                             ;   in Loop: Header=BB155_47 Depth=1
	v_mov_b32_e32 v2, s45
	ds_read_b32 v2, v2
	s_waitcnt lgkmcnt(0)
	v_add_u32_e32 v10, v10, v2
	s_or_b64 exec, exec, s[38:39]
	s_and_saveexec_b64 s[38:39], s[10:11]
	s_cbranch_execz .LBB155_53
.LBB155_69:                             ;   in Loop: Header=BB155_47 Depth=1
	v_mov_b32_e32 v2, s47
	ds_read_b32 v2, v2
	s_waitcnt lgkmcnt(0)
	v_add_u32_e32 v10, v10, v2
	s_or_b64 exec, exec, s[38:39]
	s_and_saveexec_b64 s[38:39], s[12:13]
	s_cbranch_execz .LBB155_54
.LBB155_70:                             ;   in Loop: Header=BB155_47 Depth=1
	v_mov_b32_e32 v2, s52
	ds_read_b32 v2, v2
	s_waitcnt lgkmcnt(0)
	v_add_u32_e32 v10, v10, v2
	s_or_b64 exec, exec, s[38:39]
	s_and_saveexec_b64 s[38:39], s[14:15]
	s_cbranch_execz .LBB155_55
.LBB155_71:                             ;   in Loop: Header=BB155_47 Depth=1
	v_mov_b32_e32 v2, s53
	ds_read_b32 v2, v2
	s_waitcnt lgkmcnt(0)
	v_add_u32_e32 v10, v10, v2
	s_or_b64 exec, exec, s[38:39]
	s_and_saveexec_b64 s[38:39], s[16:17]
	s_cbranch_execz .LBB155_56
.LBB155_72:                             ;   in Loop: Header=BB155_47 Depth=1
	v_mov_b32_e32 v2, s54
	ds_read_b32 v2, v2
	s_waitcnt lgkmcnt(0)
	v_add_u32_e32 v10, v10, v2
	s_or_b64 exec, exec, s[38:39]
	s_and_saveexec_b64 s[38:39], s[18:19]
	s_cbranch_execz .LBB155_57
.LBB155_73:                             ;   in Loop: Header=BB155_47 Depth=1
	v_mov_b32_e32 v2, s55
	ds_read_b32 v2, v2
	s_waitcnt lgkmcnt(0)
	v_add_u32_e32 v10, v10, v2
	s_or_b64 exec, exec, s[38:39]
	s_and_saveexec_b64 s[38:39], s[20:21]
	s_cbranch_execz .LBB155_58
.LBB155_74:                             ;   in Loop: Header=BB155_47 Depth=1
	v_mov_b32_e32 v2, s56
	ds_read_b32 v2, v2
	s_waitcnt lgkmcnt(0)
	v_add_u32_e32 v10, v10, v2
	s_or_b64 exec, exec, s[38:39]
	s_and_saveexec_b64 s[38:39], s[22:23]
	s_cbranch_execz .LBB155_59
.LBB155_75:                             ;   in Loop: Header=BB155_47 Depth=1
	v_mov_b32_e32 v2, s57
	ds_read_b32 v2, v2
	s_waitcnt lgkmcnt(0)
	v_add_u32_e32 v10, v10, v2
	s_or_b64 exec, exec, s[38:39]
	s_and_saveexec_b64 s[38:39], s[24:25]
	s_cbranch_execz .LBB155_60
.LBB155_76:                             ;   in Loop: Header=BB155_47 Depth=1
	v_mov_b32_e32 v2, s58
	ds_read_b32 v2, v2
	s_waitcnt lgkmcnt(0)
	v_add_u32_e32 v10, v10, v2
	s_or_b64 exec, exec, s[38:39]
	s_and_saveexec_b64 s[38:39], s[26:27]
	s_cbranch_execz .LBB155_61
.LBB155_77:                             ;   in Loop: Header=BB155_47 Depth=1
	v_mov_b32_e32 v2, s59
	ds_read_b32 v2, v2
	s_waitcnt lgkmcnt(0)
	v_add_u32_e32 v10, v10, v2
	s_or_b64 exec, exec, s[38:39]
	s_and_saveexec_b64 s[38:39], s[28:29]
	s_cbranch_execz .LBB155_62
.LBB155_78:                             ;   in Loop: Header=BB155_47 Depth=1
	v_mov_b32_e32 v2, s60
	ds_read_b32 v2, v2
	s_waitcnt lgkmcnt(0)
	v_add_u32_e32 v10, v10, v2
	s_or_b64 exec, exec, s[38:39]
	v_ashrrev_i32_e32 v11, 31, v10
	s_and_saveexec_b64 s[38:39], s[30:31]
	s_cbranch_execz .LBB155_63
.LBB155_79:                             ;   in Loop: Header=BB155_47 Depth=1
	scratch_load_dwordx4 v[16:19], off, off
	v_add3_u32 v2, v6, -1, v10
	v_lshl_add_u32 v15, v2, 3, 0
	v_lshl_add_u32 v2, v2, 4, 0
	v_add_u32_e32 v2, 0x20000, v2
	ds_write_b64 v15, v[8:9]
	s_waitcnt vmcnt(0)
	ds_write2_b64 v2, v[16:17], v[18:19] offset1:1
	s_or_b64 exec, exec, s[38:39]
	s_and_saveexec_b64 s[30:31], vcc
	s_cbranch_execz .LBB155_46
.LBB155_80:                             ;   in Loop: Header=BB155_47 Depth=1
	v_mov_b32_e32 v2, s61
	ds_write_b64 v2, v[10:11]
	s_branch .LBB155_46
.LBB155_81:
	s_or_b64 exec, exec, s[36:37]
	s_lshl_b64 s[0:1], s[50:51], 3
	s_add_u32 s4, s42, s0
	s_addc_u32 s5, s43, s1
	s_load_dwordx4 s[0:3], s[4:5], 0x0
	v_mov_b32_e32 v1, 0
	s_waitcnt lgkmcnt(0)
	s_sub_u32 s4, s2, s0
	s_subb_u32 s5, s3, s1
	v_cmp_gt_i64_e32 vcc, s[4:5], v[0:1]
	s_and_saveexec_b64 s[6:7], vcc
	s_cbranch_execz .LBB155_91
; %bb.82:
	s_sub_u32 s8, s0, s46
	s_subb_u32 s9, s1, 0
	s_and_b32 s6, s4, 7
	s_sub_u32 s0, s0, s2
	s_mov_b32 s7, 0
	s_subb_u32 s1, s1, s3
	s_and_b32 s10, s4, -8
	s_cmp_lg_u64 s[6:7], 0
	v_cmp_lt_u64_e64 s[0:1], s[0:1], -7
	s_cselect_b64 s[2:3], -1, 0
	s_mov_b32 s11, s5
	v_cndmask_b32_e64 v2, 0, 1, s[0:1]
	v_cmp_ne_u32_e64 s[0:1], 1, v2
	v_cndmask_b32_e64 v2, 0, 1, s[2:3]
	s_mov_b64 s[12:13], 0
	v_cmp_ne_u32_e64 s[2:3], 1, v2
	s_mov_b64 s[14:15], 0x400
	s_branch .LBB155_84
.LBB155_83:                             ;   in Loop: Header=BB155_84 Depth=1
	s_waitcnt lgkmcnt(0)
	v_lshl_add_u32 v2, v0, 4, 0
	v_add_u32_e32 v2, 0x20000, v2
	ds_read2_b64 v[6:9], v2 offset1:1
	v_lshl_add_u64 v[0:1], v[0:1], 0, s[14:15]
	v_cmp_le_i64_e32 vcc, s[4:5], v[0:1]
	v_lshl_add_u64 v[2:3], v[4:5], 4, s[34:35]
	s_or_b64 s[12:13], vcc, s[12:13]
	s_waitcnt lgkmcnt(0)
	global_store_dwordx4 v[2:3], v[6:9], off
	s_andn2_b64 exec, exec, s[12:13]
	s_cbranch_execz .LBB155_91
.LBB155_84:                             ; =>This Loop Header: Depth=1
                                        ;     Child Loop BB155_86 Depth 2
                                        ;     Child Loop BB155_90 Depth 2
	v_lshl_add_u32 v2, v0, 3, 0
	ds_read_b64 v[2:3], v2
	s_and_b64 vcc, exec, s[0:1]
	v_mov_b64_e32 v[4:5], s[8:9]
	s_mov_b64 s[16:17], 0
	s_cbranch_vccnz .LBB155_88
; %bb.85:                               ;   in Loop: Header=BB155_84 Depth=1
	s_mov_b32 s18, 0
	v_mov_b64_e32 v[4:5], s[8:9]
.LBB155_86:                             ;   Parent Loop BB155_84 Depth=1
                                        ; =>  This Inner Loop Header: Depth=2
	v_mov_b32_e32 v18, s18
	ds_read2_b64 v[6:9], v18 offset1:1
	ds_read2_b64 v[10:13], v18 offset0:2 offset1:3
	ds_read2_b64 v[14:17], v18 offset0:4 offset1:5
	;; [unrolled: 1-line block ×3, first 2 shown]
	v_mov_b32_e32 v23, s7
	s_waitcnt lgkmcnt(3)
	v_cmp_gt_i64_e32 vcc, v[2:3], v[6:7]
	v_mov_b32_e32 v25, s7
	v_mov_b32_e32 v27, s7
	v_cndmask_b32_e64 v22, 0, 1, vcc
	v_cmp_gt_i64_e32 vcc, v[2:3], v[8:9]
	v_lshl_add_u64 v[4:5], v[4:5], 0, v[22:23]
	v_mov_b32_e32 v29, s7
	v_cndmask_b32_e64 v24, 0, 1, vcc
	s_waitcnt lgkmcnt(2)
	v_cmp_gt_i64_e32 vcc, v[2:3], v[10:11]
	v_lshl_add_u64 v[4:5], v[4:5], 0, v[24:25]
	v_mov_b32_e32 v31, s7
	v_cndmask_b32_e64 v26, 0, 1, vcc
	v_cmp_gt_i64_e32 vcc, v[2:3], v[12:13]
	v_lshl_add_u64 v[4:5], v[4:5], 0, v[26:27]
	v_mov_b32_e32 v33, s7
	v_cndmask_b32_e64 v28, 0, 1, vcc
	s_waitcnt lgkmcnt(1)
	v_cmp_gt_i64_e32 vcc, v[2:3], v[14:15]
	v_lshl_add_u64 v[4:5], v[4:5], 0, v[28:29]
	v_mov_b32_e32 v35, s7
	v_cndmask_b32_e64 v30, 0, 1, vcc
	v_cmp_gt_i64_e32 vcc, v[2:3], v[16:17]
	v_lshl_add_u64 v[4:5], v[4:5], 0, v[30:31]
	s_add_u32 s16, s16, 8
	v_cndmask_b32_e64 v32, 0, 1, vcc
	s_waitcnt lgkmcnt(0)
	v_cmp_gt_i64_e32 vcc, v[2:3], v[18:19]
	v_lshl_add_u64 v[4:5], v[4:5], 0, v[32:33]
	v_mov_b32_e32 v37, s7
	v_cndmask_b32_e64 v34, 0, 1, vcc
	v_cmp_gt_i64_e32 vcc, v[2:3], v[20:21]
	s_addc_u32 s17, s17, 0
	s_add_i32 s18, s18, 64
	v_cndmask_b32_e64 v36, 0, 1, vcc
	v_lshl_add_u64 v[4:5], v[4:5], 0, v[34:35]
	s_cmp_eq_u64 s[10:11], s[16:17]
	v_lshl_add_u64 v[4:5], v[4:5], 0, v[36:37]
	s_cbranch_scc0 .LBB155_86
; %bb.87:                               ;   in Loop: Header=BB155_84 Depth=1
	s_mov_b64 s[16:17], s[10:11]
.LBB155_88:                             ;   in Loop: Header=BB155_84 Depth=1
	s_and_b64 vcc, exec, s[2:3]
	s_cbranch_vccnz .LBB155_83
; %bb.89:                               ;   in Loop: Header=BB155_84 Depth=1
	s_lshl_b32 s16, s16, 3
	s_add_i32 s18, s16, 0
	s_mov_b64 s[16:17], s[6:7]
.LBB155_90:                             ;   Parent Loop BB155_84 Depth=1
                                        ; =>  This Inner Loop Header: Depth=2
	v_mov_b32_e32 v6, s18
	ds_read_b64 v[8:9], v6
	s_add_i32 s18, s18, 8
	s_add_u32 s16, s16, -1
	v_mov_b32_e32 v7, s7
	s_addc_u32 s17, s17, -1
	s_waitcnt lgkmcnt(0)
	v_cmp_gt_i64_e32 vcc, v[2:3], v[8:9]
	s_cmp_lg_u64 s[16:17], 0
	s_nop 0
	v_cndmask_b32_e64 v6, 0, 1, vcc
	v_lshl_add_u64 v[4:5], v[4:5], 0, v[6:7]
	s_cbranch_scc1 .LBB155_90
	s_branch .LBB155_83
.LBB155_91:
	s_endpgm
	.section	.rodata,"a",@progbits
	.p2align	6, 0x0
	.amdhsa_kernel _ZN9rocsparseL41csrgemm_numeric_fill_block_per_row_kernelILj1024ELj64ELj16384ELj137ELj64Ell21rocsparse_complex_numIdEEEvT5_PKS3_S5_NS_24const_host_device_scalarIT6_EEPKT4_S5_PKS7_SB_S5_SD_S8_SB_S5_SD_SB_S5_PS7_21rocsparse_index_base_SF_SF_SF_bbb
		.amdhsa_group_segment_fixed_size 0
		.amdhsa_private_segment_fixed_size 40
		.amdhsa_kernarg_size 172
		.amdhsa_user_sgpr_count 2
		.amdhsa_user_sgpr_dispatch_ptr 0
		.amdhsa_user_sgpr_queue_ptr 0
		.amdhsa_user_sgpr_kernarg_segment_ptr 1
		.amdhsa_user_sgpr_dispatch_id 0
		.amdhsa_user_sgpr_kernarg_preload_length 0
		.amdhsa_user_sgpr_kernarg_preload_offset 0
		.amdhsa_user_sgpr_private_segment_size 0
		.amdhsa_uses_dynamic_stack 0
		.amdhsa_enable_private_segment 1
		.amdhsa_system_sgpr_workgroup_id_x 1
		.amdhsa_system_sgpr_workgroup_id_y 0
		.amdhsa_system_sgpr_workgroup_id_z 0
		.amdhsa_system_sgpr_workgroup_info 0
		.amdhsa_system_vgpr_workitem_id 0
		.amdhsa_next_free_vgpr 38
		.amdhsa_next_free_sgpr 63
		.amdhsa_accum_offset 40
		.amdhsa_reserve_vcc 1
		.amdhsa_float_round_mode_32 0
		.amdhsa_float_round_mode_16_64 0
		.amdhsa_float_denorm_mode_32 3
		.amdhsa_float_denorm_mode_16_64 3
		.amdhsa_dx10_clamp 1
		.amdhsa_ieee_mode 1
		.amdhsa_fp16_overflow 0
		.amdhsa_tg_split 0
		.amdhsa_exception_fp_ieee_invalid_op 0
		.amdhsa_exception_fp_denorm_src 0
		.amdhsa_exception_fp_ieee_div_zero 0
		.amdhsa_exception_fp_ieee_overflow 0
		.amdhsa_exception_fp_ieee_underflow 0
		.amdhsa_exception_fp_ieee_inexact 0
		.amdhsa_exception_int_div_zero 0
	.end_amdhsa_kernel
	.section	.text._ZN9rocsparseL41csrgemm_numeric_fill_block_per_row_kernelILj1024ELj64ELj16384ELj137ELj64Ell21rocsparse_complex_numIdEEEvT5_PKS3_S5_NS_24const_host_device_scalarIT6_EEPKT4_S5_PKS7_SB_S5_SD_S8_SB_S5_SD_SB_S5_PS7_21rocsparse_index_base_SF_SF_SF_bbb,"axG",@progbits,_ZN9rocsparseL41csrgemm_numeric_fill_block_per_row_kernelILj1024ELj64ELj16384ELj137ELj64Ell21rocsparse_complex_numIdEEEvT5_PKS3_S5_NS_24const_host_device_scalarIT6_EEPKT4_S5_PKS7_SB_S5_SD_S8_SB_S5_SD_SB_S5_PS7_21rocsparse_index_base_SF_SF_SF_bbb,comdat
.Lfunc_end155:
	.size	_ZN9rocsparseL41csrgemm_numeric_fill_block_per_row_kernelILj1024ELj64ELj16384ELj137ELj64Ell21rocsparse_complex_numIdEEEvT5_PKS3_S5_NS_24const_host_device_scalarIT6_EEPKT4_S5_PKS7_SB_S5_SD_S8_SB_S5_SD_SB_S5_PS7_21rocsparse_index_base_SF_SF_SF_bbb, .Lfunc_end155-_ZN9rocsparseL41csrgemm_numeric_fill_block_per_row_kernelILj1024ELj64ELj16384ELj137ELj64Ell21rocsparse_complex_numIdEEEvT5_PKS3_S5_NS_24const_host_device_scalarIT6_EEPKT4_S5_PKS7_SB_S5_SD_S8_SB_S5_SD_SB_S5_PS7_21rocsparse_index_base_SF_SF_SF_bbb
                                        ; -- End function
	.set _ZN9rocsparseL41csrgemm_numeric_fill_block_per_row_kernelILj1024ELj64ELj16384ELj137ELj64Ell21rocsparse_complex_numIdEEEvT5_PKS3_S5_NS_24const_host_device_scalarIT6_EEPKT4_S5_PKS7_SB_S5_SD_S8_SB_S5_SD_SB_S5_PS7_21rocsparse_index_base_SF_SF_SF_bbb.num_vgpr, 38
	.set _ZN9rocsparseL41csrgemm_numeric_fill_block_per_row_kernelILj1024ELj64ELj16384ELj137ELj64Ell21rocsparse_complex_numIdEEEvT5_PKS3_S5_NS_24const_host_device_scalarIT6_EEPKT4_S5_PKS7_SB_S5_SD_S8_SB_S5_SD_SB_S5_PS7_21rocsparse_index_base_SF_SF_SF_bbb.num_agpr, 0
	.set _ZN9rocsparseL41csrgemm_numeric_fill_block_per_row_kernelILj1024ELj64ELj16384ELj137ELj64Ell21rocsparse_complex_numIdEEEvT5_PKS3_S5_NS_24const_host_device_scalarIT6_EEPKT4_S5_PKS7_SB_S5_SD_S8_SB_S5_SD_SB_S5_PS7_21rocsparse_index_base_SF_SF_SF_bbb.numbered_sgpr, 63
	.set _ZN9rocsparseL41csrgemm_numeric_fill_block_per_row_kernelILj1024ELj64ELj16384ELj137ELj64Ell21rocsparse_complex_numIdEEEvT5_PKS3_S5_NS_24const_host_device_scalarIT6_EEPKT4_S5_PKS7_SB_S5_SD_S8_SB_S5_SD_SB_S5_PS7_21rocsparse_index_base_SF_SF_SF_bbb.num_named_barrier, 0
	.set _ZN9rocsparseL41csrgemm_numeric_fill_block_per_row_kernelILj1024ELj64ELj16384ELj137ELj64Ell21rocsparse_complex_numIdEEEvT5_PKS3_S5_NS_24const_host_device_scalarIT6_EEPKT4_S5_PKS7_SB_S5_SD_S8_SB_S5_SD_SB_S5_PS7_21rocsparse_index_base_SF_SF_SF_bbb.private_seg_size, 40
	.set _ZN9rocsparseL41csrgemm_numeric_fill_block_per_row_kernelILj1024ELj64ELj16384ELj137ELj64Ell21rocsparse_complex_numIdEEEvT5_PKS3_S5_NS_24const_host_device_scalarIT6_EEPKT4_S5_PKS7_SB_S5_SD_S8_SB_S5_SD_SB_S5_PS7_21rocsparse_index_base_SF_SF_SF_bbb.uses_vcc, 1
	.set _ZN9rocsparseL41csrgemm_numeric_fill_block_per_row_kernelILj1024ELj64ELj16384ELj137ELj64Ell21rocsparse_complex_numIdEEEvT5_PKS3_S5_NS_24const_host_device_scalarIT6_EEPKT4_S5_PKS7_SB_S5_SD_S8_SB_S5_SD_SB_S5_PS7_21rocsparse_index_base_SF_SF_SF_bbb.uses_flat_scratch, 0
	.set _ZN9rocsparseL41csrgemm_numeric_fill_block_per_row_kernelILj1024ELj64ELj16384ELj137ELj64Ell21rocsparse_complex_numIdEEEvT5_PKS3_S5_NS_24const_host_device_scalarIT6_EEPKT4_S5_PKS7_SB_S5_SD_S8_SB_S5_SD_SB_S5_PS7_21rocsparse_index_base_SF_SF_SF_bbb.has_dyn_sized_stack, 0
	.set _ZN9rocsparseL41csrgemm_numeric_fill_block_per_row_kernelILj1024ELj64ELj16384ELj137ELj64Ell21rocsparse_complex_numIdEEEvT5_PKS3_S5_NS_24const_host_device_scalarIT6_EEPKT4_S5_PKS7_SB_S5_SD_S8_SB_S5_SD_SB_S5_PS7_21rocsparse_index_base_SF_SF_SF_bbb.has_recursion, 0
	.set _ZN9rocsparseL41csrgemm_numeric_fill_block_per_row_kernelILj1024ELj64ELj16384ELj137ELj64Ell21rocsparse_complex_numIdEEEvT5_PKS3_S5_NS_24const_host_device_scalarIT6_EEPKT4_S5_PKS7_SB_S5_SD_S8_SB_S5_SD_SB_S5_PS7_21rocsparse_index_base_SF_SF_SF_bbb.has_indirect_call, 0
	.section	.AMDGPU.csdata,"",@progbits
; Kernel info:
; codeLenInByte = 3628
; TotalNumSgprs: 69
; NumVgprs: 38
; NumAgprs: 0
; TotalNumVgprs: 38
; ScratchSize: 40
; MemoryBound: 0
; FloatMode: 240
; IeeeMode: 1
; LDSByteSize: 0 bytes/workgroup (compile time only)
; SGPRBlocks: 8
; VGPRBlocks: 4
; NumSGPRsForWavesPerEU: 69
; NumVGPRsForWavesPerEU: 38
; AccumOffset: 40
; Occupancy: 8
; WaveLimiterHint : 1
; COMPUTE_PGM_RSRC2:SCRATCH_EN: 1
; COMPUTE_PGM_RSRC2:USER_SGPR: 2
; COMPUTE_PGM_RSRC2:TRAP_HANDLER: 0
; COMPUTE_PGM_RSRC2:TGID_X_EN: 1
; COMPUTE_PGM_RSRC2:TGID_Y_EN: 0
; COMPUTE_PGM_RSRC2:TGID_Z_EN: 0
; COMPUTE_PGM_RSRC2:TIDIG_COMP_CNT: 0
; COMPUTE_PGM_RSRC3_GFX90A:ACCUM_OFFSET: 9
; COMPUTE_PGM_RSRC3_GFX90A:TG_SPLIT: 0
	.section	.text._ZN9rocsparseL41csrgemm_numeric_fill_block_per_row_kernelILj1024ELj64ELj32768ELj137ELj32Ell21rocsparse_complex_numIdEEEvT5_PKS3_S5_NS_24const_host_device_scalarIT6_EEPKT4_S5_PKS7_SB_S5_SD_S8_SB_S5_SD_SB_S5_PS7_21rocsparse_index_base_SF_SF_SF_bbb,"axG",@progbits,_ZN9rocsparseL41csrgemm_numeric_fill_block_per_row_kernelILj1024ELj64ELj32768ELj137ELj32Ell21rocsparse_complex_numIdEEEvT5_PKS3_S5_NS_24const_host_device_scalarIT6_EEPKT4_S5_PKS7_SB_S5_SD_S8_SB_S5_SD_SB_S5_PS7_21rocsparse_index_base_SF_SF_SF_bbb,comdat
	.globl	_ZN9rocsparseL41csrgemm_numeric_fill_block_per_row_kernelILj1024ELj64ELj32768ELj137ELj32Ell21rocsparse_complex_numIdEEEvT5_PKS3_S5_NS_24const_host_device_scalarIT6_EEPKT4_S5_PKS7_SB_S5_SD_S8_SB_S5_SD_SB_S5_PS7_21rocsparse_index_base_SF_SF_SF_bbb ; -- Begin function _ZN9rocsparseL41csrgemm_numeric_fill_block_per_row_kernelILj1024ELj64ELj32768ELj137ELj32Ell21rocsparse_complex_numIdEEEvT5_PKS3_S5_NS_24const_host_device_scalarIT6_EEPKT4_S5_PKS7_SB_S5_SD_S8_SB_S5_SD_SB_S5_PS7_21rocsparse_index_base_SF_SF_SF_bbb
	.p2align	8
	.type	_ZN9rocsparseL41csrgemm_numeric_fill_block_per_row_kernelILj1024ELj64ELj32768ELj137ELj32Ell21rocsparse_complex_numIdEEEvT5_PKS3_S5_NS_24const_host_device_scalarIT6_EEPKT4_S5_PKS7_SB_S5_SD_S8_SB_S5_SD_SB_S5_PS7_21rocsparse_index_base_SF_SF_SF_bbb,@function
_ZN9rocsparseL41csrgemm_numeric_fill_block_per_row_kernelILj1024ELj64ELj32768ELj137ELj32Ell21rocsparse_complex_numIdEEEvT5_PKS3_S5_NS_24const_host_device_scalarIT6_EEPKT4_S5_PKS7_SB_S5_SD_S8_SB_S5_SD_SB_S5_PS7_21rocsparse_index_base_SF_SF_SF_bbb: ; @_ZN9rocsparseL41csrgemm_numeric_fill_block_per_row_kernelILj1024ELj64ELj32768ELj137ELj32Ell21rocsparse_complex_numIdEEEvT5_PKS3_S5_NS_24const_host_device_scalarIT6_EEPKT4_S5_PKS7_SB_S5_SD_S8_SB_S5_SD_SB_S5_PS7_21rocsparse_index_base_SF_SF_SF_bbb
; %bb.0:
	s_load_dword s3, s[0:1], 0xa8
	s_load_dwordx4 s[40:43], s[0:1], 0x98
	s_load_dwordx4 s[8:11], s[0:1], 0x18
	;; [unrolled: 1-line block ×3, first 2 shown]
	v_mov_b64_e32 v[6:7], 0
	s_waitcnt lgkmcnt(0)
	s_bitcmp1_b32 s3, 0
	s_cselect_b64 s[28:29], -1, 0
	s_bitcmp1_b32 s3, 16
	s_cselect_b64 s[30:31], -1, 0
	s_xor_b64 s[4:5], s[30:31], -1
	v_mov_b64_e32 v[2:3], s[8:9]
	v_cndmask_b32_e64 v1, 0, 1, s[4:5]
	scratch_store_dwordx2 off, v[2:3], off offset:16
	v_mov_b64_e32 v[2:3], s[24:25]
	s_bitcmp0_b32 s3, 0
	v_cmp_ne_u32_e64 s[4:5], 1, v1
	v_mov_b64_e32 v[10:11], 0
	v_mov_b64_e32 v[12:13], 0
	scratch_store_dwordx2 off, v[2:3], off offset:24
	s_cbranch_scc1 .LBB156_3
; %bb.1:
	s_mov_b64 s[6:7], src_private_base
	s_and_b64 s[12:13], s[30:31], exec
	s_cselect_b32 s6, s7, s9
	s_cselect_b32 s7, 16, s8
	v_mov_b32_e32 v2, s7
	v_mov_b32_e32 v3, s6
	flat_load_dwordx2 v[10:11], v[2:3]
	s_and_b64 vcc, exec, s[4:5]
	v_mov_b64_e32 v[12:13], s[10:11]
	s_cbranch_vccnz .LBB156_3
; %bb.2:
	v_mov_b64_e32 v[2:3], s[8:9]
	flat_load_dwordx2 v[12:13], v[2:3] offset:8
.LBB156_3:
	s_load_dwordx2 s[6:7], s[0:1], 0x90
	s_load_dwordx8 s[44:51], s[0:1], 0x68
	s_load_dwordx4 s[16:19], s[0:1], 0x48
	s_load_dwordx4 s[20:23], s[0:1], 0x8
	s_load_dwordx8 s[8:15], s[0:1], 0x28
                                        ; implicit-def: $vgpr38 : SGPR spill to VGPR lane
	s_bitcmp1_b32 s3, 8
	v_mov_b64_e32 v[8:9], 0
	s_waitcnt lgkmcnt(0)
	v_writelane_b32 v38, s6, 0
	s_nop 1
	v_writelane_b32 v38, s7, 1
	s_cselect_b64 s[6:7], -1, 0
	s_bfe_u32 s3, s3, 0x10008
	s_cmp_eq_u32 s3, 0
	s_cbranch_scc1 .LBB156_6
; %bb.4:
	s_mov_b64 s[34:35], src_private_base
	s_and_b64 s[30:31], s[30:31], exec
	s_cselect_b32 s3, s35, s25
	s_cselect_b32 s30, 24, s24
	v_mov_b32_e32 v2, s30
	v_mov_b32_e32 v3, s3
	flat_load_dwordx2 v[8:9], v[2:3]
	s_and_b64 vcc, exec, s[4:5]
	v_mov_b64_e32 v[6:7], s[26:27]
	s_cbranch_vccnz .LBB156_6
; %bb.5:
	v_mov_b64_e32 v[2:3], s[24:25]
	flat_load_dwordx2 v[6:7], v[2:3] offset:8
.LBB156_6:
	s_load_dwordx2 s[74:75], s[0:1], 0x0
	v_lshlrev_b32_e32 v2, 4, v0
	s_mov_b32 s4, 0
	v_or_b32_e32 v1, 0xfffffc00, v0
	v_add_u32_e32 v35, 0, v2
	v_lshl_add_u32 v34, v0, 3, 0
	s_mov_b32 s5, s4
	s_mov_b32 s24, s4
	;; [unrolled: 1-line block ×3, first 2 shown]
	v_add_u32_e32 v14, 0x40008, v35
	s_mov_b64 s[0:1], 0
	s_waitcnt lgkmcnt(0)
	v_mov_b64_e32 v[18:19], s[74:75]
	v_mov_b64_e32 v[2:3], s[4:5]
	v_mov_b64_e32 v[4:5], s[24:25]
	s_movk_i32 s3, 0x7bff
	v_mov_b32_e32 v15, v34
	v_mov_b32_e32 v16, v1
.LBB156_7:                              ; =>This Inner Loop Header: Depth=1
	v_add_u32_e32 v16, 0x400, v16
	v_cmp_lt_u32_e32 vcc, s3, v16
	ds_write_b64 v15, v[18:19]
	v_add_u32_e32 v17, -8, v14
	v_add_u32_e32 v14, 0x4000, v14
	v_add_u32_e32 v15, 0x2000, v15
	s_or_b64 s[0:1], vcc, s[0:1]
	ds_write2_b64 v17, v[2:3], v[4:5] offset1:1
	s_andn2_b64 exec, exec, s[0:1]
	s_cbranch_execnz .LBB156_7
; %bb.8:
	s_or_b64 exec, exec, s[0:1]
	s_waitcnt lgkmcnt(0)
	s_barrier
	s_load_dwordx2 s[0:1], s[20:21], 0x0
	s_mov_b32 s3, 0
	s_waitcnt lgkmcnt(0)
	s_lshl_b64 s[0:1], s[0:1], 3
	s_add_u32 s4, s22, s0
	s_addc_u32 s5, s23, s1
	s_lshl_b64 s[0:1], s[2:3], 3
	s_add_u32 s0, s4, s0
	s_addc_u32 s1, s5, s1
	s_load_dwordx2 s[52:53], s[0:1], 0x0
	s_and_b64 vcc, exec, s[28:29]
	s_cbranch_vccz .LBB156_28
; %bb.9:
	s_waitcnt lgkmcnt(0)
	s_lshl_b64 s[0:1], s[52:53], 3
	s_add_u32 s0, s8, s0
	s_addc_u32 s1, s9, s1
	s_load_dwordx4 s[20:23], s[0:1], 0x0
	v_lshrrev_b32_e32 v2, 6, v0
	v_subrev_co_u32_e32 v2, vcc, s40, v2
	s_waitcnt lgkmcnt(0)
	s_sub_u32 s0, s22, s40
	v_subb_co_u32_e64 v3, s[2:3], 0, 0, vcc
	s_subb_u32 s1, s23, 0
	v_lshl_add_u64 v[14:15], s[20:21], 0, v[2:3]
	v_cmp_gt_i64_e32 vcc, s[0:1], v[14:15]
	s_and_saveexec_b64 s[2:3], vcc
	s_cbranch_execz .LBB156_27
; %bb.10:
	v_and_b32_e32 v2, 63, v0
	v_subrev_co_u32_e32 v16, vcc, s41, v2
	s_mov_b32 s33, s41
	s_nop 0
	v_subb_co_u32_e64 v17, s[4:5], 0, 0, vcc
	s_mov_b64 s[4:5], 0
	s_movk_i32 s38, 0x89
	s_branch .LBB156_12
.LBB156_11:                             ;   in Loop: Header=BB156_12 Depth=1
	s_or_b64 exec, exec, s[8:9]
	v_lshl_add_u64 v[14:15], v[14:15], 0, 16
	v_cmp_le_i64_e32 vcc, s[0:1], v[14:15]
	s_or_b64 s[4:5], vcc, s[4:5]
	s_andn2_b64 exec, exec, s[4:5]
	s_cbranch_execz .LBB156_27
.LBB156_12:                             ; =>This Loop Header: Depth=1
                                        ;     Child Loop BB156_16 Depth 2
                                        ;       Child Loop BB156_19 Depth 3
	v_lshl_add_u64 v[2:3], v[14:15], 3, s[10:11]
	global_load_dwordx2 v[2:3], v[2:3], off
	s_waitcnt vmcnt(0)
	v_subrev_co_u32_e32 v2, vcc, s40, v2
	s_nop 1
	v_subbrev_co_u32_e32 v3, vcc, 0, v3, vcc
	v_lshl_add_u64 v[2:3], v[2:3], 3, s[14:15]
	global_load_dwordx4 v[2:5], v[2:3], off
	s_waitcnt vmcnt(0)
	v_subrev_co_u32_e32 v18, vcc, s33, v4
	s_nop 1
	v_subbrev_co_u32_e32 v19, vcc, 0, v5, vcc
	v_lshl_add_u64 v[20:21], v[2:3], 0, v[16:17]
	v_cmp_lt_i64_e32 vcc, v[20:21], v[18:19]
	s_and_saveexec_b64 s[8:9], vcc
	s_cbranch_execz .LBB156_11
; %bb.13:                               ;   in Loop: Header=BB156_12 Depth=1
	v_lshl_add_u64 v[2:3], v[14:15], 4, s[12:13]
	global_load_dwordx4 v[2:5], v[2:3], off
	s_mov_b64 s[20:21], 0
	s_waitcnt vmcnt(0)
	v_mul_f64 v[22:23], v[4:5], -v[12:13]
	v_mul_f64 v[24:25], v[10:11], v[4:5]
	v_fmac_f64_e32 v[22:23], v[10:11], v[2:3]
	v_fmac_f64_e32 v[24:25], v[12:13], v[2:3]
	s_branch .LBB156_16
.LBB156_14:                             ;   in Loop: Header=BB156_16 Depth=2
	s_or_b64 exec, exec, s[24:25]
.LBB156_15:                             ;   in Loop: Header=BB156_16 Depth=2
	s_or_b64 exec, exec, s[22:23]
	s_waitcnt vmcnt(0)
	v_mul_f64 v[28:29], v[4:5], -v[24:25]
	v_mul_f64 v[4:5], v[22:23], v[4:5]
	v_fmac_f64_e32 v[28:29], v[22:23], v[2:3]
	v_fmac_f64_e32 v[4:5], v[24:25], v[2:3]
	v_lshl_add_u32 v2, v26, 4, 0
	v_add_u32_e32 v2, 0x40000, v2
	ds_add_f64 v2, v[28:29]
	ds_add_f64 v2, v[4:5] offset:8
	v_lshl_add_u64 v[20:21], v[20:21], 0, 64
	v_cmp_ge_i64_e32 vcc, v[20:21], v[18:19]
	s_or_b64 s[20:21], vcc, s[20:21]
	s_andn2_b64 exec, exec, s[20:21]
	s_cbranch_execz .LBB156_11
.LBB156_16:                             ;   Parent Loop BB156_12 Depth=1
                                        ; =>  This Loop Header: Depth=2
                                        ;       Child Loop BB156_19 Depth 3
	v_lshl_add_u64 v[2:3], v[20:21], 3, s[16:17]
	global_load_dwordx2 v[26:27], v[2:3], off
	v_lshl_add_u64 v[2:3], v[20:21], 4, s[18:19]
	global_load_dwordx4 v[2:5], v[2:3], off
	s_waitcnt vmcnt(1)
	v_subrev_co_u32_e32 v28, vcc, s33, v26
	v_mul_lo_u32 v26, v28, s38
	v_and_b32_e32 v26, 0x7fff, v26
	v_lshl_add_u32 v36, v26, 3, 0
	ds_read_b64 v[32:33], v36
	v_subbrev_co_u32_e32 v29, vcc, 0, v27, vcc
	s_waitcnt lgkmcnt(0)
	v_cmp_ne_u64_e32 vcc, v[32:33], v[28:29]
	s_and_saveexec_b64 s[22:23], vcc
	s_cbranch_execz .LBB156_15
; %bb.17:                               ;   in Loop: Header=BB156_16 Depth=2
	s_mov_b64 s[24:25], 0
                                        ; implicit-def: $sgpr26_sgpr27
                                        ; implicit-def: $sgpr28_sgpr29
	s_branch .LBB156_19
.LBB156_18:                             ;   in Loop: Header=BB156_19 Depth=3
	s_or_b64 exec, exec, s[36:37]
	s_and_b64 s[30:31], exec, s[34:35]
	s_or_b64 s[24:25], s[30:31], s[24:25]
	s_andn2_b64 s[26:27], s[26:27], exec
	s_and_b64 s[30:31], s[28:29], exec
	s_or_b64 s[26:27], s[26:27], s[30:31]
	s_andn2_b64 exec, exec, s[24:25]
	s_cbranch_execz .LBB156_25
.LBB156_19:                             ;   Parent Loop BB156_12 Depth=1
                                        ;     Parent Loop BB156_16 Depth=2
                                        ; =>    This Inner Loop Header: Depth=3
	v_mov_b64_e32 v[30:31], v[26:27]
	v_cmp_ne_u64_e32 vcc, s[74:75], v[32:33]
	s_mov_b64 s[30:31], 0
                                        ; implicit-def: $vgpr26_vgpr27
	s_and_saveexec_b64 s[34:35], vcc
	s_xor_b64 s[34:35], exec, s[34:35]
; %bb.20:                               ;   in Loop: Header=BB156_19 Depth=3
	v_add_u32_e32 v26, 1, v30
	s_mov_b64 s[30:31], exec
	v_and_b32_e32 v26, 0x7fff, v26
                                        ; implicit-def: $vgpr36
; %bb.21:                               ;   in Loop: Header=BB156_19 Depth=3
	s_andn2_saveexec_b64 s[34:35], s[34:35]
	s_cbranch_execz .LBB156_23
; %bb.22:                               ;   in Loop: Header=BB156_19 Depth=3
	v_mov_b64_e32 v[26:27], s[74:75]
	ds_cmpst_rtn_b64 v[26:27], v36, v[26:27], v[28:29]
	s_andn2_b64 s[30:31], s[30:31], exec
	s_waitcnt lgkmcnt(0)
	v_cmp_ne_u64_e32 vcc, s[74:75], v[26:27]
	s_and_b64 s[36:37], vcc, exec
	s_or_b64 s[30:31], s[30:31], s[36:37]
	v_mov_b64_e32 v[26:27], v[30:31]
.LBB156_23:                             ;   in Loop: Header=BB156_19 Depth=3
	s_or_b64 exec, exec, s[34:35]
	s_mov_b64 s[34:35], -1
	s_or_b64 s[28:29], s[28:29], exec
                                        ; implicit-def: $vgpr36
                                        ; implicit-def: $vgpr32_vgpr33
	s_and_saveexec_b64 s[36:37], s[30:31]
	s_cbranch_execz .LBB156_18
; %bb.24:                               ;   in Loop: Header=BB156_19 Depth=3
	v_lshl_add_u32 v36, v26, 3, 0
	ds_read_b64 v[32:33], v36
	s_andn2_b64 s[28:29], s[28:29], exec
	s_waitcnt lgkmcnt(0)
	v_cmp_eq_u64_e32 vcc, v[32:33], v[28:29]
	s_orn2_b64 s[34:35], vcc, exec
	s_branch .LBB156_18
.LBB156_25:                             ;   in Loop: Header=BB156_16 Depth=2
	s_or_b64 exec, exec, s[24:25]
	s_and_saveexec_b64 s[24:25], s[26:27]
	s_xor_b64 s[24:25], exec, s[24:25]
	s_cbranch_execz .LBB156_14
; %bb.26:                               ;   in Loop: Header=BB156_16 Depth=2
	v_mov_b32_e32 v26, v30
	s_branch .LBB156_14
.LBB156_27:
	s_or_b64 exec, exec, s[2:3]
.LBB156_28:
	s_andn2_b64 vcc, exec, s[6:7]
	s_cbranch_vccnz .LBB156_45
; %bb.29:
	s_waitcnt lgkmcnt(0)
	s_lshl_b64 s[0:1], s[52:53], 3
	s_add_u32 s0, s44, s0
	s_addc_u32 s1, s45, s1
	s_load_dwordx4 s[4:7], s[0:1], 0x0
	v_subrev_co_u32_e32 v2, vcc, s43, v0
	s_waitcnt lgkmcnt(0)
	s_sub_u32 s0, s6, s43
	v_subb_co_u32_e64 v3, s[2:3], 0, 0, vcc
	s_subb_u32 s1, s7, 0
	s_waitcnt vmcnt(0)
	v_lshl_add_u64 v[10:11], s[4:5], 0, v[2:3]
	v_cmp_gt_i64_e32 vcc, s[0:1], v[10:11]
	s_and_saveexec_b64 s[2:3], vcc
	s_cbranch_execz .LBB156_44
; %bb.30:
	s_mov_b32 s22, s43
	s_mov_b64 s[4:5], 0
	s_movk_i32 s23, 0x89
	s_mov_b64 s[6:7], 0x400
	s_branch .LBB156_33
.LBB156_31:                             ;   in Loop: Header=BB156_33 Depth=1
	s_or_b64 exec, exec, s[10:11]
.LBB156_32:                             ;   in Loop: Header=BB156_33 Depth=1
	s_or_b64 exec, exec, s[8:9]
	s_waitcnt vmcnt(0)
	v_mul_f64 v[14:15], v[4:5], -v[6:7]
	v_mul_f64 v[4:5], v[8:9], v[4:5]
	v_fmac_f64_e32 v[14:15], v[8:9], v[2:3]
	v_fmac_f64_e32 v[4:5], v[6:7], v[2:3]
	v_lshl_add_u32 v2, v12, 4, 0
	v_add_u32_e32 v2, 0x40000, v2
	ds_add_f64 v2, v[14:15]
	ds_add_f64 v2, v[4:5] offset:8
	v_lshl_add_u64 v[10:11], v[10:11], 0, s[6:7]
	v_cmp_le_i64_e32 vcc, s[0:1], v[10:11]
	s_or_b64 s[4:5], vcc, s[4:5]
	s_andn2_b64 exec, exec, s[4:5]
	s_cbranch_execz .LBB156_44
.LBB156_33:                             ; =>This Loop Header: Depth=1
                                        ;     Child Loop BB156_36 Depth 2
	v_lshl_add_u64 v[2:3], v[10:11], 3, s[46:47]
	global_load_dwordx2 v[12:13], v[2:3], off
	v_lshl_add_u64 v[2:3], v[10:11], 4, s[48:49]
	global_load_dwordx4 v[2:5], v[2:3], off
	s_waitcnt vmcnt(1)
	v_subrev_co_u32_e32 v14, vcc, s22, v12
	v_mul_lo_u32 v12, v14, s23
	v_and_b32_e32 v12, 0x7fff, v12
	v_lshl_add_u32 v20, v12, 3, 0
	ds_read_b64 v[18:19], v20
	v_subbrev_co_u32_e32 v15, vcc, 0, v13, vcc
	s_waitcnt lgkmcnt(0)
	v_cmp_ne_u64_e32 vcc, v[18:19], v[14:15]
	s_and_saveexec_b64 s[8:9], vcc
	s_cbranch_execz .LBB156_32
; %bb.34:                               ;   in Loop: Header=BB156_33 Depth=1
	s_mov_b64 s[10:11], 0
                                        ; implicit-def: $sgpr12_sgpr13
                                        ; implicit-def: $sgpr14_sgpr15
	s_branch .LBB156_36
.LBB156_35:                             ;   in Loop: Header=BB156_36 Depth=2
	s_or_b64 exec, exec, s[20:21]
	s_and_b64 s[16:17], exec, s[18:19]
	s_or_b64 s[10:11], s[16:17], s[10:11]
	s_andn2_b64 s[12:13], s[12:13], exec
	s_and_b64 s[16:17], s[14:15], exec
	s_or_b64 s[12:13], s[12:13], s[16:17]
	s_andn2_b64 exec, exec, s[10:11]
	s_cbranch_execz .LBB156_42
.LBB156_36:                             ;   Parent Loop BB156_33 Depth=1
                                        ; =>  This Inner Loop Header: Depth=2
	v_mov_b64_e32 v[16:17], v[12:13]
	v_cmp_ne_u64_e32 vcc, s[74:75], v[18:19]
	s_mov_b64 s[16:17], 0
                                        ; implicit-def: $vgpr12_vgpr13
	s_and_saveexec_b64 s[18:19], vcc
	s_xor_b64 s[18:19], exec, s[18:19]
; %bb.37:                               ;   in Loop: Header=BB156_36 Depth=2
	v_add_u32_e32 v12, 1, v16
	s_mov_b64 s[16:17], exec
	v_and_b32_e32 v12, 0x7fff, v12
                                        ; implicit-def: $vgpr20
; %bb.38:                               ;   in Loop: Header=BB156_36 Depth=2
	s_andn2_saveexec_b64 s[18:19], s[18:19]
	s_cbranch_execz .LBB156_40
; %bb.39:                               ;   in Loop: Header=BB156_36 Depth=2
	v_mov_b64_e32 v[12:13], s[74:75]
	ds_cmpst_rtn_b64 v[12:13], v20, v[12:13], v[14:15]
	s_andn2_b64 s[16:17], s[16:17], exec
	s_waitcnt lgkmcnt(0)
	v_cmp_ne_u64_e32 vcc, s[74:75], v[12:13]
	s_and_b64 s[20:21], vcc, exec
	s_or_b64 s[16:17], s[16:17], s[20:21]
	v_mov_b64_e32 v[12:13], v[16:17]
.LBB156_40:                             ;   in Loop: Header=BB156_36 Depth=2
	s_or_b64 exec, exec, s[18:19]
	s_mov_b64 s[18:19], -1
	s_or_b64 s[14:15], s[14:15], exec
                                        ; implicit-def: $vgpr20
                                        ; implicit-def: $vgpr18_vgpr19
	s_and_saveexec_b64 s[20:21], s[16:17]
	s_cbranch_execz .LBB156_35
; %bb.41:                               ;   in Loop: Header=BB156_36 Depth=2
	v_lshl_add_u32 v20, v12, 3, 0
	ds_read_b64 v[18:19], v20
	s_andn2_b64 s[14:15], s[14:15], exec
	s_waitcnt lgkmcnt(0)
	v_cmp_eq_u64_e32 vcc, v[18:19], v[14:15]
	s_orn2_b64 s[18:19], vcc, exec
	s_branch .LBB156_35
.LBB156_42:                             ;   in Loop: Header=BB156_33 Depth=1
	s_or_b64 exec, exec, s[10:11]
	s_and_saveexec_b64 s[10:11], s[12:13]
	s_xor_b64 s[10:11], exec, s[10:11]
	s_cbranch_execz .LBB156_31
; %bb.43:                               ;   in Loop: Header=BB156_33 Depth=1
	v_mov_b32_e32 v12, v16
	s_branch .LBB156_31
.LBB156_44:
	s_or_b64 exec, exec, s[2:3]
.LBB156_45:
	s_waitcnt lgkmcnt(0)
	v_writelane_b32 v38, s52, 2
	s_movk_i32 s33, 0x25f
	v_cmp_lt_u32_e64 s[34:35], s33, v0
	v_writelane_b32 v38, s53, 3
	v_writelane_b32 v38, s44, 4
	s_movk_i32 s33, 0x27f
	v_cmp_lt_u32_e64 s[36:37], s33, v0
	v_writelane_b32 v38, s45, 5
	v_writelane_b32 v38, s46, 6
	;; [unrolled: 1-line block ×8, first 2 shown]
	s_movk_i32 s33, 0x29f
	v_cmp_lt_u32_e64 s[38:39], s33, v0
	v_writelane_b32 v38, s41, 13
	v_writelane_b32 v38, s42, 14
	s_movk_i32 s33, 0x2bf
	v_writelane_b32 v38, s43, 15
	v_cmp_lt_u32_e64 s[40:41], s33, v0
	s_movk_i32 s33, 0x2df
	v_cmp_lt_u32_e64 s[42:43], s33, v0
	s_movk_i32 s33, 0x2ff
	;; [unrolled: 2-line block ×6, first 2 shown]
	v_mbcnt_lo_u32_b32 v2, -1, 0
	v_cmp_lt_u32_e64 s[52:53], s33, v0
	s_movk_i32 s33, 0x39f
	v_mbcnt_hi_u32_b32 v2, -1, v2
	v_cmp_lt_u32_e64 s[54:55], s33, v0
	s_movk_i32 s33, 0x3bf
	v_sub_u32_e32 v2, 63, v2
	s_add_i32 s0, 0, 0xc0000
	v_cmp_lt_u32_e64 s[56:57], s33, v0
	s_movk_i32 s33, 0x3df
	v_lshrrev_b64 v[4:5], v2, -1
	v_lshrrev_b32_e32 v2, 2, v0
	v_writelane_b32 v38, s0, 16
	v_cmp_lt_u32_e64 s[58:59], s33, v0
	s_add_i32 s33, 0, 0xc0008
	v_and_b32_e32 v2, 0xf8, v2
	v_writelane_b32 v38, s33, 17
	s_add_i32 s33, 0, 0xc0010
	s_waitcnt vmcnt(0)
	v_add_u32_e32 v12, s0, v2
	s_movk_i32 s0, 0x3ff
	v_writelane_b32 v38, s33, 18
	s_add_i32 s33, 0, 0xc0018
	v_cmp_eq_u32_e32 vcc, s0, v0
	s_movk_i32 s0, 0x5f
	s_movk_i32 s2, 0x7f
	;; [unrolled: 1-line block ×16, first 2 shown]
	v_writelane_b32 v38, s33, 19
	s_add_i32 s33, 0, 0xc0028
	v_mov_b32_e32 v3, 0
	v_cmp_lt_u32_e64 s[0:1], s0, v0
	v_cmp_lt_u32_e64 s[2:3], s2, v0
	;; [unrolled: 1-line block ×16, first 2 shown]
	v_add_u32_e32 v13, 0x40000, v35
	v_mov_b64_e32 v[6:7], 0
	s_add_i32 s81, 0, 0xc0020
	v_writelane_b32 v38, s33, 20
	s_add_i32 s84, 0, 0xc0030
	s_add_i32 s85, 0, 0xc0038
	;; [unrolled: 1-line block ×26, first 2 shown]
	v_cmp_lt_u32_e64 s[60:61], 31, v0
	v_cmp_lt_u32_e64 s[62:63], 63, v0
	s_mov_b64 s[68:69], 0
	s_barrier
	s_branch .LBB156_47
.LBB156_46:                             ;   in Loop: Header=BB156_47 Depth=1
	s_or_b64 exec, exec, s[64:65]
	v_mov_b32_e32 v2, s80
	s_waitcnt lgkmcnt(0)
	s_barrier
	ds_read_b64 v[8:9], v2
	v_add_u32_e32 v1, 0x400, v1
	s_movk_i32 s64, 0x7bff
	v_cmp_lt_u32_e64 s[64:65], s64, v1
	v_add_u32_e32 v13, 0x4000, v13
	s_waitcnt lgkmcnt(0)
	v_lshl_add_u64 v[6:7], v[8:9], 0, v[6:7]
	s_or_b64 s[68:69], s[64:65], s[68:69]
	v_add_u32_e32 v34, 0x2000, v34
	s_andn2_b64 exec, exec, s[68:69]
	s_cbranch_execz .LBB156_113
.LBB156_47:                             ; =>This Inner Loop Header: Depth=1
	ds_read2_b64 v[14:17], v13 offset1:1
	ds_read_b64 v[8:9], v34
	s_waitcnt lgkmcnt(1)
	scratch_store_dwordx4 off, v[14:17], off
	s_waitcnt lgkmcnt(0)
	v_cmp_gt_i64_e64 s[64:65], s[74:75], v[8:9]
	s_bcnt1_i32_b64 s78, s[64:65]
	v_mov_b32_e32 v2, s78
	v_and_b32_e32 v11, s64, v4
	v_and_b32_e32 v10, s65, v5
	v_bcnt_u32_b32 v11, v11, 0
	v_bcnt_u32_b32 v10, v10, v11
	s_barrier
	ds_write_b64 v12, v[2:3]
	s_waitcnt lgkmcnt(0)
	s_barrier
	s_and_saveexec_b64 s[78:79], s[60:61]
	s_cbranch_execnz .LBB156_80
; %bb.48:                               ;   in Loop: Header=BB156_47 Depth=1
	s_or_b64 exec, exec, s[78:79]
	s_and_saveexec_b64 s[78:79], s[62:63]
	s_cbranch_execnz .LBB156_81
.LBB156_49:                             ;   in Loop: Header=BB156_47 Depth=1
	s_or_b64 exec, exec, s[78:79]
	s_and_saveexec_b64 s[78:79], s[0:1]
	s_cbranch_execnz .LBB156_82
.LBB156_50:                             ;   in Loop: Header=BB156_47 Depth=1
	s_or_b64 exec, exec, s[78:79]
	s_and_saveexec_b64 s[78:79], s[2:3]
	s_cbranch_execnz .LBB156_83
.LBB156_51:                             ;   in Loop: Header=BB156_47 Depth=1
	s_or_b64 exec, exec, s[78:79]
	s_and_saveexec_b64 s[78:79], s[4:5]
	s_cbranch_execnz .LBB156_84
.LBB156_52:                             ;   in Loop: Header=BB156_47 Depth=1
	s_or_b64 exec, exec, s[78:79]
	s_and_saveexec_b64 s[78:79], s[6:7]
	s_cbranch_execnz .LBB156_85
.LBB156_53:                             ;   in Loop: Header=BB156_47 Depth=1
	s_or_b64 exec, exec, s[78:79]
	s_and_saveexec_b64 s[78:79], s[8:9]
	s_cbranch_execnz .LBB156_86
.LBB156_54:                             ;   in Loop: Header=BB156_47 Depth=1
	s_or_b64 exec, exec, s[78:79]
	s_and_saveexec_b64 s[78:79], s[10:11]
	s_cbranch_execnz .LBB156_87
.LBB156_55:                             ;   in Loop: Header=BB156_47 Depth=1
	s_or_b64 exec, exec, s[78:79]
	s_and_saveexec_b64 s[78:79], s[12:13]
	s_cbranch_execnz .LBB156_88
.LBB156_56:                             ;   in Loop: Header=BB156_47 Depth=1
	s_or_b64 exec, exec, s[78:79]
	s_and_saveexec_b64 s[78:79], s[14:15]
	s_cbranch_execnz .LBB156_89
.LBB156_57:                             ;   in Loop: Header=BB156_47 Depth=1
	s_or_b64 exec, exec, s[78:79]
	s_and_saveexec_b64 s[78:79], s[16:17]
	s_cbranch_execnz .LBB156_90
.LBB156_58:                             ;   in Loop: Header=BB156_47 Depth=1
	s_or_b64 exec, exec, s[78:79]
	s_and_saveexec_b64 s[78:79], s[18:19]
	s_cbranch_execnz .LBB156_91
.LBB156_59:                             ;   in Loop: Header=BB156_47 Depth=1
	s_or_b64 exec, exec, s[78:79]
	s_and_saveexec_b64 s[78:79], s[20:21]
	s_cbranch_execnz .LBB156_92
.LBB156_60:                             ;   in Loop: Header=BB156_47 Depth=1
	s_or_b64 exec, exec, s[78:79]
	s_and_saveexec_b64 s[78:79], s[22:23]
	s_cbranch_execnz .LBB156_93
.LBB156_61:                             ;   in Loop: Header=BB156_47 Depth=1
	s_or_b64 exec, exec, s[78:79]
	s_and_saveexec_b64 s[78:79], s[24:25]
	s_cbranch_execnz .LBB156_94
.LBB156_62:                             ;   in Loop: Header=BB156_47 Depth=1
	s_or_b64 exec, exec, s[78:79]
	s_and_saveexec_b64 s[78:79], s[26:27]
	s_cbranch_execnz .LBB156_95
.LBB156_63:                             ;   in Loop: Header=BB156_47 Depth=1
	s_or_b64 exec, exec, s[78:79]
	s_and_saveexec_b64 s[78:79], s[28:29]
	s_cbranch_execnz .LBB156_96
.LBB156_64:                             ;   in Loop: Header=BB156_47 Depth=1
	s_or_b64 exec, exec, s[78:79]
	s_and_saveexec_b64 s[78:79], s[30:31]
	s_cbranch_execnz .LBB156_97
.LBB156_65:                             ;   in Loop: Header=BB156_47 Depth=1
	s_or_b64 exec, exec, s[78:79]
	s_and_saveexec_b64 s[78:79], s[34:35]
	s_cbranch_execnz .LBB156_98
.LBB156_66:                             ;   in Loop: Header=BB156_47 Depth=1
	s_or_b64 exec, exec, s[78:79]
	s_and_saveexec_b64 s[78:79], s[36:37]
	s_cbranch_execnz .LBB156_99
.LBB156_67:                             ;   in Loop: Header=BB156_47 Depth=1
	s_or_b64 exec, exec, s[78:79]
	s_and_saveexec_b64 s[78:79], s[38:39]
	s_cbranch_execnz .LBB156_100
.LBB156_68:                             ;   in Loop: Header=BB156_47 Depth=1
	s_or_b64 exec, exec, s[78:79]
	s_and_saveexec_b64 s[78:79], s[40:41]
	s_cbranch_execnz .LBB156_101
.LBB156_69:                             ;   in Loop: Header=BB156_47 Depth=1
	s_or_b64 exec, exec, s[78:79]
	s_and_saveexec_b64 s[78:79], s[42:43]
	s_cbranch_execnz .LBB156_102
.LBB156_70:                             ;   in Loop: Header=BB156_47 Depth=1
	s_or_b64 exec, exec, s[78:79]
	s_and_saveexec_b64 s[78:79], s[44:45]
	s_cbranch_execnz .LBB156_103
.LBB156_71:                             ;   in Loop: Header=BB156_47 Depth=1
	s_or_b64 exec, exec, s[78:79]
	s_and_saveexec_b64 s[78:79], s[46:47]
	s_cbranch_execnz .LBB156_104
.LBB156_72:                             ;   in Loop: Header=BB156_47 Depth=1
	s_or_b64 exec, exec, s[78:79]
	s_and_saveexec_b64 s[78:79], s[48:49]
	s_cbranch_execnz .LBB156_105
.LBB156_73:                             ;   in Loop: Header=BB156_47 Depth=1
	s_or_b64 exec, exec, s[78:79]
	s_and_saveexec_b64 s[78:79], s[50:51]
	s_cbranch_execnz .LBB156_106
.LBB156_74:                             ;   in Loop: Header=BB156_47 Depth=1
	s_or_b64 exec, exec, s[78:79]
	s_and_saveexec_b64 s[78:79], s[52:53]
	s_cbranch_execnz .LBB156_107
.LBB156_75:                             ;   in Loop: Header=BB156_47 Depth=1
	s_or_b64 exec, exec, s[78:79]
	s_and_saveexec_b64 s[78:79], s[54:55]
	s_cbranch_execnz .LBB156_108
.LBB156_76:                             ;   in Loop: Header=BB156_47 Depth=1
	s_or_b64 exec, exec, s[78:79]
	s_and_saveexec_b64 s[78:79], s[56:57]
	s_cbranch_execnz .LBB156_109
.LBB156_77:                             ;   in Loop: Header=BB156_47 Depth=1
	s_or_b64 exec, exec, s[78:79]
	s_and_saveexec_b64 s[78:79], s[58:59]
	s_cbranch_execnz .LBB156_110
.LBB156_78:                             ;   in Loop: Header=BB156_47 Depth=1
	s_or_b64 exec, exec, s[78:79]
	v_ashrrev_i32_e32 v11, 31, v10
	s_and_saveexec_b64 s[78:79], s[64:65]
	s_cbranch_execnz .LBB156_111
.LBB156_79:                             ;   in Loop: Header=BB156_47 Depth=1
	s_or_b64 exec, exec, s[78:79]
	s_and_saveexec_b64 s[64:65], vcc
	s_cbranch_execz .LBB156_46
	s_branch .LBB156_112
.LBB156_80:                             ;   in Loop: Header=BB156_47 Depth=1
	v_readlane_b32 s82, v38, 16
	s_nop 1
	v_mov_b32_e32 v2, s82
	ds_read_b32 v2, v2
	s_waitcnt lgkmcnt(0)
	v_add_u32_e32 v10, v2, v10
	s_or_b64 exec, exec, s[78:79]
	s_and_saveexec_b64 s[78:79], s[62:63]
	s_cbranch_execz .LBB156_49
.LBB156_81:                             ;   in Loop: Header=BB156_47 Depth=1
	v_readlane_b32 s82, v38, 17
	s_nop 1
	v_mov_b32_e32 v2, s82
	ds_read_b32 v2, v2
	s_waitcnt lgkmcnt(0)
	v_add_u32_e32 v10, v10, v2
	s_or_b64 exec, exec, s[78:79]
	s_and_saveexec_b64 s[78:79], s[0:1]
	s_cbranch_execz .LBB156_50
.LBB156_82:                             ;   in Loop: Header=BB156_47 Depth=1
	v_readlane_b32 s82, v38, 18
	s_nop 1
	v_mov_b32_e32 v2, s82
	ds_read_b32 v2, v2
	s_waitcnt lgkmcnt(0)
	v_add_u32_e32 v10, v10, v2
	s_or_b64 exec, exec, s[78:79]
	s_and_saveexec_b64 s[78:79], s[2:3]
	s_cbranch_execz .LBB156_51
.LBB156_83:                             ;   in Loop: Header=BB156_47 Depth=1
	v_readlane_b32 s82, v38, 19
	s_nop 1
	v_mov_b32_e32 v2, s82
	ds_read_b32 v2, v2
	s_waitcnt lgkmcnt(0)
	v_add_u32_e32 v10, v10, v2
	s_or_b64 exec, exec, s[78:79]
	s_and_saveexec_b64 s[78:79], s[4:5]
	s_cbranch_execz .LBB156_52
.LBB156_84:                             ;   in Loop: Header=BB156_47 Depth=1
	v_mov_b32_e32 v2, s81
	ds_read_b32 v2, v2
	s_waitcnt lgkmcnt(0)
	v_add_u32_e32 v10, v10, v2
	s_or_b64 exec, exec, s[78:79]
	s_and_saveexec_b64 s[78:79], s[6:7]
	s_cbranch_execz .LBB156_53
.LBB156_85:                             ;   in Loop: Header=BB156_47 Depth=1
	v_readlane_b32 s82, v38, 20
	s_nop 1
	v_mov_b32_e32 v2, s82
	ds_read_b32 v2, v2
	s_waitcnt lgkmcnt(0)
	v_add_u32_e32 v10, v10, v2
	s_or_b64 exec, exec, s[78:79]
	s_and_saveexec_b64 s[78:79], s[8:9]
	s_cbranch_execz .LBB156_54
.LBB156_86:                             ;   in Loop: Header=BB156_47 Depth=1
	v_mov_b32_e32 v2, s84
	ds_read_b32 v2, v2
	s_waitcnt lgkmcnt(0)
	v_add_u32_e32 v10, v10, v2
	s_or_b64 exec, exec, s[78:79]
	s_and_saveexec_b64 s[78:79], s[10:11]
	s_cbranch_execz .LBB156_55
.LBB156_87:                             ;   in Loop: Header=BB156_47 Depth=1
	v_mov_b32_e32 v2, s85
	ds_read_b32 v2, v2
	s_waitcnt lgkmcnt(0)
	v_add_u32_e32 v10, v10, v2
	s_or_b64 exec, exec, s[78:79]
	s_and_saveexec_b64 s[78:79], s[12:13]
	s_cbranch_execz .LBB156_56
.LBB156_88:                             ;   in Loop: Header=BB156_47 Depth=1
	v_mov_b32_e32 v2, s86
	ds_read_b32 v2, v2
	s_waitcnt lgkmcnt(0)
	v_add_u32_e32 v10, v10, v2
	s_or_b64 exec, exec, s[78:79]
	s_and_saveexec_b64 s[78:79], s[14:15]
	s_cbranch_execz .LBB156_57
.LBB156_89:                             ;   in Loop: Header=BB156_47 Depth=1
	v_mov_b32_e32 v2, s87
	ds_read_b32 v2, v2
	s_waitcnt lgkmcnt(0)
	v_add_u32_e32 v10, v10, v2
	s_or_b64 exec, exec, s[78:79]
	s_and_saveexec_b64 s[78:79], s[16:17]
	s_cbranch_execz .LBB156_58
.LBB156_90:                             ;   in Loop: Header=BB156_47 Depth=1
	v_mov_b32_e32 v2, s88
	ds_read_b32 v2, v2
	s_waitcnt lgkmcnt(0)
	v_add_u32_e32 v10, v10, v2
	s_or_b64 exec, exec, s[78:79]
	s_and_saveexec_b64 s[78:79], s[18:19]
	s_cbranch_execz .LBB156_59
.LBB156_91:                             ;   in Loop: Header=BB156_47 Depth=1
	v_mov_b32_e32 v2, s89
	ds_read_b32 v2, v2
	s_waitcnt lgkmcnt(0)
	v_add_u32_e32 v10, v10, v2
	s_or_b64 exec, exec, s[78:79]
	s_and_saveexec_b64 s[78:79], s[20:21]
	s_cbranch_execz .LBB156_60
.LBB156_92:                             ;   in Loop: Header=BB156_47 Depth=1
	v_mov_b32_e32 v2, s90
	ds_read_b32 v2, v2
	s_waitcnt lgkmcnt(0)
	v_add_u32_e32 v10, v10, v2
	s_or_b64 exec, exec, s[78:79]
	s_and_saveexec_b64 s[78:79], s[22:23]
	s_cbranch_execz .LBB156_61
.LBB156_93:                             ;   in Loop: Header=BB156_47 Depth=1
	v_mov_b32_e32 v2, s91
	ds_read_b32 v2, v2
	s_waitcnt lgkmcnt(0)
	v_add_u32_e32 v10, v10, v2
	s_or_b64 exec, exec, s[78:79]
	s_and_saveexec_b64 s[78:79], s[24:25]
	s_cbranch_execz .LBB156_62
.LBB156_94:                             ;   in Loop: Header=BB156_47 Depth=1
	v_mov_b32_e32 v2, s92
	ds_read_b32 v2, v2
	s_waitcnt lgkmcnt(0)
	v_add_u32_e32 v10, v10, v2
	s_or_b64 exec, exec, s[78:79]
	s_and_saveexec_b64 s[78:79], s[26:27]
	s_cbranch_execz .LBB156_63
.LBB156_95:                             ;   in Loop: Header=BB156_47 Depth=1
	v_mov_b32_e32 v2, s93
	ds_read_b32 v2, v2
	s_waitcnt lgkmcnt(0)
	v_add_u32_e32 v10, v10, v2
	s_or_b64 exec, exec, s[78:79]
	s_and_saveexec_b64 s[78:79], s[28:29]
	s_cbranch_execz .LBB156_64
.LBB156_96:                             ;   in Loop: Header=BB156_47 Depth=1
	v_mov_b32_e32 v2, s94
	ds_read_b32 v2, v2
	s_waitcnt lgkmcnt(0)
	v_add_u32_e32 v10, v10, v2
	s_or_b64 exec, exec, s[78:79]
	s_and_saveexec_b64 s[78:79], s[30:31]
	s_cbranch_execz .LBB156_65
.LBB156_97:                             ;   in Loop: Header=BB156_47 Depth=1
	v_mov_b32_e32 v2, s95
	ds_read_b32 v2, v2
	s_waitcnt lgkmcnt(0)
	v_add_u32_e32 v10, v10, v2
	s_or_b64 exec, exec, s[78:79]
	s_and_saveexec_b64 s[78:79], s[34:35]
	s_cbranch_execz .LBB156_66
.LBB156_98:                             ;   in Loop: Header=BB156_47 Depth=1
	v_mov_b32_e32 v2, s96
	ds_read_b32 v2, v2
	s_waitcnt lgkmcnt(0)
	v_add_u32_e32 v10, v10, v2
	s_or_b64 exec, exec, s[78:79]
	s_and_saveexec_b64 s[78:79], s[36:37]
	s_cbranch_execz .LBB156_67
.LBB156_99:                             ;   in Loop: Header=BB156_47 Depth=1
	v_mov_b32_e32 v2, s97
	ds_read_b32 v2, v2
	s_waitcnt lgkmcnt(0)
	v_add_u32_e32 v10, v10, v2
	s_or_b64 exec, exec, s[78:79]
	s_and_saveexec_b64 s[78:79], s[38:39]
	s_cbranch_execz .LBB156_68
.LBB156_100:                            ;   in Loop: Header=BB156_47 Depth=1
	v_mov_b32_e32 v2, s98
	ds_read_b32 v2, v2
	s_waitcnt lgkmcnt(0)
	v_add_u32_e32 v10, v10, v2
	s_or_b64 exec, exec, s[78:79]
	s_and_saveexec_b64 s[78:79], s[40:41]
	s_cbranch_execz .LBB156_69
.LBB156_101:                            ;   in Loop: Header=BB156_47 Depth=1
	v_mov_b32_e32 v2, s99
	ds_read_b32 v2, v2
	s_waitcnt lgkmcnt(0)
	v_add_u32_e32 v10, v10, v2
	s_or_b64 exec, exec, s[78:79]
	s_and_saveexec_b64 s[78:79], s[42:43]
	s_cbranch_execz .LBB156_70
.LBB156_102:                            ;   in Loop: Header=BB156_47 Depth=1
	v_mov_b32_e32 v2, s76
	ds_read_b32 v2, v2
	s_waitcnt lgkmcnt(0)
	v_add_u32_e32 v10, v10, v2
	s_or_b64 exec, exec, s[78:79]
	s_and_saveexec_b64 s[78:79], s[44:45]
	s_cbranch_execz .LBB156_71
.LBB156_103:                            ;   in Loop: Header=BB156_47 Depth=1
	v_mov_b32_e32 v2, s77
	ds_read_b32 v2, v2
	s_waitcnt lgkmcnt(0)
	v_add_u32_e32 v10, v10, v2
	s_or_b64 exec, exec, s[78:79]
	s_and_saveexec_b64 s[78:79], s[46:47]
	s_cbranch_execz .LBB156_72
.LBB156_104:                            ;   in Loop: Header=BB156_47 Depth=1
	v_mov_b32_e32 v2, s70
	ds_read_b32 v2, v2
	s_waitcnt lgkmcnt(0)
	v_add_u32_e32 v10, v10, v2
	s_or_b64 exec, exec, s[78:79]
	s_and_saveexec_b64 s[78:79], s[48:49]
	s_cbranch_execz .LBB156_73
.LBB156_105:                            ;   in Loop: Header=BB156_47 Depth=1
	v_mov_b32_e32 v2, s72
	ds_read_b32 v2, v2
	s_waitcnt lgkmcnt(0)
	v_add_u32_e32 v10, v10, v2
	s_or_b64 exec, exec, s[78:79]
	s_and_saveexec_b64 s[78:79], s[50:51]
	s_cbranch_execz .LBB156_74
.LBB156_106:                            ;   in Loop: Header=BB156_47 Depth=1
	v_mov_b32_e32 v2, s73
	ds_read_b32 v2, v2
	s_waitcnt lgkmcnt(0)
	v_add_u32_e32 v10, v10, v2
	s_or_b64 exec, exec, s[78:79]
	s_and_saveexec_b64 s[78:79], s[52:53]
	s_cbranch_execz .LBB156_75
.LBB156_107:                            ;   in Loop: Header=BB156_47 Depth=1
	v_mov_b32_e32 v2, s66
	ds_read_b32 v2, v2
	s_waitcnt lgkmcnt(0)
	v_add_u32_e32 v10, v10, v2
	s_or_b64 exec, exec, s[78:79]
	s_and_saveexec_b64 s[78:79], s[54:55]
	s_cbranch_execz .LBB156_76
.LBB156_108:                            ;   in Loop: Header=BB156_47 Depth=1
	v_mov_b32_e32 v2, s67
	ds_read_b32 v2, v2
	s_waitcnt lgkmcnt(0)
	v_add_u32_e32 v10, v10, v2
	s_or_b64 exec, exec, s[78:79]
	s_and_saveexec_b64 s[78:79], s[56:57]
	s_cbranch_execz .LBB156_77
.LBB156_109:                            ;   in Loop: Header=BB156_47 Depth=1
	v_mov_b32_e32 v2, s33
	ds_read_b32 v2, v2
	s_waitcnt lgkmcnt(0)
	v_add_u32_e32 v10, v10, v2
	s_or_b64 exec, exec, s[78:79]
	s_and_saveexec_b64 s[78:79], s[58:59]
	s_cbranch_execz .LBB156_78
.LBB156_110:                            ;   in Loop: Header=BB156_47 Depth=1
	v_mov_b32_e32 v2, s71
	ds_read_b32 v2, v2
	s_waitcnt lgkmcnt(0)
	v_add_u32_e32 v10, v10, v2
	s_or_b64 exec, exec, s[78:79]
	v_ashrrev_i32_e32 v11, 31, v10
	s_and_saveexec_b64 s[78:79], s[64:65]
	s_cbranch_execz .LBB156_79
.LBB156_111:                            ;   in Loop: Header=BB156_47 Depth=1
	scratch_load_dwordx4 v[14:17], off, off
	v_add3_u32 v2, v6, -1, v10
	v_lshl_add_u32 v18, v2, 3, 0
	v_lshl_add_u32 v2, v2, 4, 0
	v_add_u32_e32 v2, 0x40000, v2
	ds_write_b64 v18, v[8:9]
	s_waitcnt vmcnt(0)
	ds_write2_b64 v2, v[14:15], v[16:17] offset1:1
	s_or_b64 exec, exec, s[78:79]
	s_and_saveexec_b64 s[64:65], vcc
	s_cbranch_execz .LBB156_46
.LBB156_112:                            ;   in Loop: Header=BB156_47 Depth=1
	v_mov_b32_e32 v2, s80
	ds_write_b64 v2, v[10:11]
	s_branch .LBB156_46
.LBB156_113:
	s_or_b64 exec, exec, s[68:69]
	v_readlane_b32 s0, v38, 2
	v_readlane_b32 s4, v38, 4
	v_readlane_b32 s1, v38, 3
	v_readlane_b32 s6, v38, 6
	v_readlane_b32 s7, v38, 7
	v_readlane_b32 s10, v38, 10
	v_readlane_b32 s11, v38, 11
	s_lshl_b64 s[0:1], s[0:1], 3
	s_mov_b64 s[6:7], s[10:11]
	v_readlane_b32 s5, v38, 5
	s_add_u32 s4, s6, s0
	s_addc_u32 s5, s7, s1
	s_load_dwordx4 s[0:3], s[4:5], 0x0
	v_mov_b32_e32 v1, 0
	v_readlane_b32 s8, v38, 8
	v_readlane_b32 s9, v38, 9
	s_waitcnt lgkmcnt(0)
	s_sub_u32 s4, s2, s0
	s_subb_u32 s5, s3, s1
	v_cmp_gt_i64_e32 vcc, s[4:5], v[0:1]
	s_and_saveexec_b64 s[6:7], vcc
	s_cbranch_execz .LBB156_123
; %bb.114:
	v_readlane_b32 s8, v38, 12
	v_readlane_b32 s10, v38, 14
	;; [unrolled: 1-line block ×3, first 2 shown]
	s_sub_u32 s8, s0, s10
	s_subb_u32 s9, s1, 0
	s_and_b32 s6, s4, 7
	s_sub_u32 s0, s0, s2
	s_mov_b32 s7, 0
	s_subb_u32 s1, s1, s3
	s_and_b32 s10, s4, -8
	s_cmp_lg_u64 s[6:7], 0
	v_cmp_lt_u64_e64 s[0:1], s[0:1], -7
	s_cselect_b64 s[2:3], -1, 0
	v_readlane_b32 s11, v38, 15
	v_cndmask_b32_e64 v2, 0, 1, s[0:1]
	v_cmp_ne_u32_e64 s[0:1], 1, v2
	v_cndmask_b32_e64 v2, 0, 1, s[2:3]
	s_mov_b32 s11, s5
	s_mov_b64 s[12:13], 0
	v_cmp_ne_u32_e64 s[2:3], 1, v2
	s_mov_b64 s[14:15], 0x400
	s_branch .LBB156_116
.LBB156_115:                            ;   in Loop: Header=BB156_116 Depth=1
	s_waitcnt lgkmcnt(0)
	v_lshl_add_u32 v4, v0, 4, 0
	v_add_u32_e32 v4, 0x40000, v4
	ds_read2_b64 v[4:7], v4 offset1:1
	v_readlane_b32 s16, v38, 0
	v_lshl_add_u64 v[0:1], v[0:1], 0, s[14:15]
	v_readlane_b32 s17, v38, 1
	v_cmp_le_i64_e32 vcc, s[4:5], v[0:1]
	s_or_b64 s[12:13], vcc, s[12:13]
	v_lshl_add_u64 v[2:3], v[2:3], 4, s[16:17]
	s_waitcnt lgkmcnt(0)
	global_store_dwordx4 v[2:3], v[4:7], off
	s_andn2_b64 exec, exec, s[12:13]
	s_cbranch_execz .LBB156_123
.LBB156_116:                            ; =>This Loop Header: Depth=1
                                        ;     Child Loop BB156_118 Depth 2
                                        ;     Child Loop BB156_122 Depth 2
	v_lshl_add_u32 v2, v0, 3, 0
	ds_read_b64 v[4:5], v2
	s_and_b64 vcc, exec, s[0:1]
	v_mov_b64_e32 v[2:3], s[8:9]
	s_mov_b64 s[16:17], 0
	s_cbranch_vccnz .LBB156_120
; %bb.117:                              ;   in Loop: Header=BB156_116 Depth=1
	s_mov_b32 s18, 0
	v_mov_b64_e32 v[2:3], s[8:9]
.LBB156_118:                            ;   Parent Loop BB156_116 Depth=1
                                        ; =>  This Inner Loop Header: Depth=2
	v_mov_b32_e32 v18, s18
	ds_read2_b64 v[6:9], v18 offset1:1
	ds_read2_b64 v[10:13], v18 offset0:2 offset1:3
	ds_read2_b64 v[14:17], v18 offset0:4 offset1:5
	;; [unrolled: 1-line block ×3, first 2 shown]
	v_mov_b32_e32 v23, s7
	s_waitcnt lgkmcnt(3)
	v_cmp_gt_i64_e32 vcc, v[4:5], v[6:7]
	v_mov_b32_e32 v25, s7
	v_mov_b32_e32 v27, s7
	v_cndmask_b32_e64 v22, 0, 1, vcc
	v_cmp_gt_i64_e32 vcc, v[4:5], v[8:9]
	v_lshl_add_u64 v[2:3], v[2:3], 0, v[22:23]
	v_mov_b32_e32 v29, s7
	v_cndmask_b32_e64 v24, 0, 1, vcc
	s_waitcnt lgkmcnt(2)
	v_cmp_gt_i64_e32 vcc, v[4:5], v[10:11]
	v_lshl_add_u64 v[2:3], v[2:3], 0, v[24:25]
	v_mov_b32_e32 v31, s7
	v_cndmask_b32_e64 v26, 0, 1, vcc
	v_cmp_gt_i64_e32 vcc, v[4:5], v[12:13]
	v_lshl_add_u64 v[2:3], v[2:3], 0, v[26:27]
	v_mov_b32_e32 v33, s7
	v_cndmask_b32_e64 v28, 0, 1, vcc
	s_waitcnt lgkmcnt(1)
	v_cmp_gt_i64_e32 vcc, v[4:5], v[14:15]
	v_lshl_add_u64 v[2:3], v[2:3], 0, v[28:29]
	v_mov_b32_e32 v35, s7
	v_cndmask_b32_e64 v30, 0, 1, vcc
	v_cmp_gt_i64_e32 vcc, v[4:5], v[16:17]
	v_lshl_add_u64 v[2:3], v[2:3], 0, v[30:31]
	s_add_u32 s16, s16, 8
	v_cndmask_b32_e64 v32, 0, 1, vcc
	s_waitcnt lgkmcnt(0)
	v_cmp_gt_i64_e32 vcc, v[4:5], v[18:19]
	v_lshl_add_u64 v[2:3], v[2:3], 0, v[32:33]
	v_mov_b32_e32 v37, s7
	v_cndmask_b32_e64 v34, 0, 1, vcc
	v_cmp_gt_i64_e32 vcc, v[4:5], v[20:21]
	s_addc_u32 s17, s17, 0
	s_add_i32 s18, s18, 64
	v_cndmask_b32_e64 v36, 0, 1, vcc
	v_lshl_add_u64 v[2:3], v[2:3], 0, v[34:35]
	s_cmp_eq_u64 s[10:11], s[16:17]
	v_lshl_add_u64 v[2:3], v[2:3], 0, v[36:37]
	s_cbranch_scc0 .LBB156_118
; %bb.119:                              ;   in Loop: Header=BB156_116 Depth=1
	s_mov_b64 s[16:17], s[10:11]
.LBB156_120:                            ;   in Loop: Header=BB156_116 Depth=1
	s_and_b64 vcc, exec, s[2:3]
	s_cbranch_vccnz .LBB156_115
; %bb.121:                              ;   in Loop: Header=BB156_116 Depth=1
	s_lshl_b32 s16, s16, 3
	s_add_i32 s18, s16, 0
	s_mov_b64 s[16:17], s[6:7]
.LBB156_122:                            ;   Parent Loop BB156_116 Depth=1
                                        ; =>  This Inner Loop Header: Depth=2
	v_mov_b32_e32 v6, s18
	ds_read_b64 v[8:9], v6
	s_add_i32 s18, s18, 8
	s_add_u32 s16, s16, -1
	v_mov_b32_e32 v7, s7
	s_addc_u32 s17, s17, -1
	s_waitcnt lgkmcnt(0)
	v_cmp_gt_i64_e32 vcc, v[4:5], v[8:9]
	s_cmp_lg_u64 s[16:17], 0
	s_nop 0
	v_cndmask_b32_e64 v6, 0, 1, vcc
	v_lshl_add_u64 v[2:3], v[2:3], 0, v[6:7]
	s_cbranch_scc1 .LBB156_122
	s_branch .LBB156_115
.LBB156_123:
	s_endpgm
	.section	.rodata,"a",@progbits
	.p2align	6, 0x0
	.amdhsa_kernel _ZN9rocsparseL41csrgemm_numeric_fill_block_per_row_kernelILj1024ELj64ELj32768ELj137ELj32Ell21rocsparse_complex_numIdEEEvT5_PKS3_S5_NS_24const_host_device_scalarIT6_EEPKT4_S5_PKS7_SB_S5_SD_S8_SB_S5_SD_SB_S5_PS7_21rocsparse_index_base_SF_SF_SF_bbb
		.amdhsa_group_segment_fixed_size 0
		.amdhsa_private_segment_fixed_size 40
		.amdhsa_kernarg_size 172
		.amdhsa_user_sgpr_count 2
		.amdhsa_user_sgpr_dispatch_ptr 0
		.amdhsa_user_sgpr_queue_ptr 0
		.amdhsa_user_sgpr_kernarg_segment_ptr 1
		.amdhsa_user_sgpr_dispatch_id 0
		.amdhsa_user_sgpr_kernarg_preload_length 0
		.amdhsa_user_sgpr_kernarg_preload_offset 0
		.amdhsa_user_sgpr_private_segment_size 0
		.amdhsa_uses_dynamic_stack 0
		.amdhsa_enable_private_segment 1
		.amdhsa_system_sgpr_workgroup_id_x 1
		.amdhsa_system_sgpr_workgroup_id_y 0
		.amdhsa_system_sgpr_workgroup_id_z 0
		.amdhsa_system_sgpr_workgroup_info 0
		.amdhsa_system_vgpr_workitem_id 0
		.amdhsa_next_free_vgpr 39
		.amdhsa_next_free_sgpr 100
		.amdhsa_accum_offset 40
		.amdhsa_reserve_vcc 1
		.amdhsa_float_round_mode_32 0
		.amdhsa_float_round_mode_16_64 0
		.amdhsa_float_denorm_mode_32 3
		.amdhsa_float_denorm_mode_16_64 3
		.amdhsa_dx10_clamp 1
		.amdhsa_ieee_mode 1
		.amdhsa_fp16_overflow 0
		.amdhsa_tg_split 0
		.amdhsa_exception_fp_ieee_invalid_op 0
		.amdhsa_exception_fp_denorm_src 0
		.amdhsa_exception_fp_ieee_div_zero 0
		.amdhsa_exception_fp_ieee_overflow 0
		.amdhsa_exception_fp_ieee_underflow 0
		.amdhsa_exception_fp_ieee_inexact 0
		.amdhsa_exception_int_div_zero 0
	.end_amdhsa_kernel
	.section	.text._ZN9rocsparseL41csrgemm_numeric_fill_block_per_row_kernelILj1024ELj64ELj32768ELj137ELj32Ell21rocsparse_complex_numIdEEEvT5_PKS3_S5_NS_24const_host_device_scalarIT6_EEPKT4_S5_PKS7_SB_S5_SD_S8_SB_S5_SD_SB_S5_PS7_21rocsparse_index_base_SF_SF_SF_bbb,"axG",@progbits,_ZN9rocsparseL41csrgemm_numeric_fill_block_per_row_kernelILj1024ELj64ELj32768ELj137ELj32Ell21rocsparse_complex_numIdEEEvT5_PKS3_S5_NS_24const_host_device_scalarIT6_EEPKT4_S5_PKS7_SB_S5_SD_S8_SB_S5_SD_SB_S5_PS7_21rocsparse_index_base_SF_SF_SF_bbb,comdat
.Lfunc_end156:
	.size	_ZN9rocsparseL41csrgemm_numeric_fill_block_per_row_kernelILj1024ELj64ELj32768ELj137ELj32Ell21rocsparse_complex_numIdEEEvT5_PKS3_S5_NS_24const_host_device_scalarIT6_EEPKT4_S5_PKS7_SB_S5_SD_S8_SB_S5_SD_SB_S5_PS7_21rocsparse_index_base_SF_SF_SF_bbb, .Lfunc_end156-_ZN9rocsparseL41csrgemm_numeric_fill_block_per_row_kernelILj1024ELj64ELj32768ELj137ELj32Ell21rocsparse_complex_numIdEEEvT5_PKS3_S5_NS_24const_host_device_scalarIT6_EEPKT4_S5_PKS7_SB_S5_SD_S8_SB_S5_SD_SB_S5_PS7_21rocsparse_index_base_SF_SF_SF_bbb
                                        ; -- End function
	.set _ZN9rocsparseL41csrgemm_numeric_fill_block_per_row_kernelILj1024ELj64ELj32768ELj137ELj32Ell21rocsparse_complex_numIdEEEvT5_PKS3_S5_NS_24const_host_device_scalarIT6_EEPKT4_S5_PKS7_SB_S5_SD_S8_SB_S5_SD_SB_S5_PS7_21rocsparse_index_base_SF_SF_SF_bbb.num_vgpr, 39
	.set _ZN9rocsparseL41csrgemm_numeric_fill_block_per_row_kernelILj1024ELj64ELj32768ELj137ELj32Ell21rocsparse_complex_numIdEEEvT5_PKS3_S5_NS_24const_host_device_scalarIT6_EEPKT4_S5_PKS7_SB_S5_SD_S8_SB_S5_SD_SB_S5_PS7_21rocsparse_index_base_SF_SF_SF_bbb.num_agpr, 0
	.set _ZN9rocsparseL41csrgemm_numeric_fill_block_per_row_kernelILj1024ELj64ELj32768ELj137ELj32Ell21rocsparse_complex_numIdEEEvT5_PKS3_S5_NS_24const_host_device_scalarIT6_EEPKT4_S5_PKS7_SB_S5_SD_S8_SB_S5_SD_SB_S5_PS7_21rocsparse_index_base_SF_SF_SF_bbb.numbered_sgpr, 100
	.set _ZN9rocsparseL41csrgemm_numeric_fill_block_per_row_kernelILj1024ELj64ELj32768ELj137ELj32Ell21rocsparse_complex_numIdEEEvT5_PKS3_S5_NS_24const_host_device_scalarIT6_EEPKT4_S5_PKS7_SB_S5_SD_S8_SB_S5_SD_SB_S5_PS7_21rocsparse_index_base_SF_SF_SF_bbb.num_named_barrier, 0
	.set _ZN9rocsparseL41csrgemm_numeric_fill_block_per_row_kernelILj1024ELj64ELj32768ELj137ELj32Ell21rocsparse_complex_numIdEEEvT5_PKS3_S5_NS_24const_host_device_scalarIT6_EEPKT4_S5_PKS7_SB_S5_SD_S8_SB_S5_SD_SB_S5_PS7_21rocsparse_index_base_SF_SF_SF_bbb.private_seg_size, 40
	.set _ZN9rocsparseL41csrgemm_numeric_fill_block_per_row_kernelILj1024ELj64ELj32768ELj137ELj32Ell21rocsparse_complex_numIdEEEvT5_PKS3_S5_NS_24const_host_device_scalarIT6_EEPKT4_S5_PKS7_SB_S5_SD_S8_SB_S5_SD_SB_S5_PS7_21rocsparse_index_base_SF_SF_SF_bbb.uses_vcc, 1
	.set _ZN9rocsparseL41csrgemm_numeric_fill_block_per_row_kernelILj1024ELj64ELj32768ELj137ELj32Ell21rocsparse_complex_numIdEEEvT5_PKS3_S5_NS_24const_host_device_scalarIT6_EEPKT4_S5_PKS7_SB_S5_SD_S8_SB_S5_SD_SB_S5_PS7_21rocsparse_index_base_SF_SF_SF_bbb.uses_flat_scratch, 0
	.set _ZN9rocsparseL41csrgemm_numeric_fill_block_per_row_kernelILj1024ELj64ELj32768ELj137ELj32Ell21rocsparse_complex_numIdEEEvT5_PKS3_S5_NS_24const_host_device_scalarIT6_EEPKT4_S5_PKS7_SB_S5_SD_S8_SB_S5_SD_SB_S5_PS7_21rocsparse_index_base_SF_SF_SF_bbb.has_dyn_sized_stack, 0
	.set _ZN9rocsparseL41csrgemm_numeric_fill_block_per_row_kernelILj1024ELj64ELj32768ELj137ELj32Ell21rocsparse_complex_numIdEEEvT5_PKS3_S5_NS_24const_host_device_scalarIT6_EEPKT4_S5_PKS7_SB_S5_SD_S8_SB_S5_SD_SB_S5_PS7_21rocsparse_index_base_SF_SF_SF_bbb.has_recursion, 0
	.set _ZN9rocsparseL41csrgemm_numeric_fill_block_per_row_kernelILj1024ELj64ELj32768ELj137ELj32Ell21rocsparse_complex_numIdEEEvT5_PKS3_S5_NS_24const_host_device_scalarIT6_EEPKT4_S5_PKS7_SB_S5_SD_S8_SB_S5_SD_SB_S5_PS7_21rocsparse_index_base_SF_SF_SF_bbb.has_indirect_call, 0
	.section	.AMDGPU.csdata,"",@progbits
; Kernel info:
; codeLenInByte = 5020
; TotalNumSgprs: 106
; NumVgprs: 39
; NumAgprs: 0
; TotalNumVgprs: 39
; ScratchSize: 40
; MemoryBound: 0
; FloatMode: 240
; IeeeMode: 1
; LDSByteSize: 0 bytes/workgroup (compile time only)
; SGPRBlocks: 13
; VGPRBlocks: 4
; NumSGPRsForWavesPerEU: 106
; NumVGPRsForWavesPerEU: 39
; AccumOffset: 40
; Occupancy: 7
; WaveLimiterHint : 1
; COMPUTE_PGM_RSRC2:SCRATCH_EN: 1
; COMPUTE_PGM_RSRC2:USER_SGPR: 2
; COMPUTE_PGM_RSRC2:TRAP_HANDLER: 0
; COMPUTE_PGM_RSRC2:TGID_X_EN: 1
; COMPUTE_PGM_RSRC2:TGID_Y_EN: 0
; COMPUTE_PGM_RSRC2:TGID_Z_EN: 0
; COMPUTE_PGM_RSRC2:TIDIG_COMP_CNT: 0
; COMPUTE_PGM_RSRC3_GFX90A:ACCUM_OFFSET: 9
; COMPUTE_PGM_RSRC3_GFX90A:TG_SPLIT: 0
	.section	.text._ZN9rocsparseL41csrgemm_numeric_fill_block_per_row_kernelILj1024ELj64ELj32768ELj137ELj64Ell21rocsparse_complex_numIdEEEvT5_PKS3_S5_NS_24const_host_device_scalarIT6_EEPKT4_S5_PKS7_SB_S5_SD_S8_SB_S5_SD_SB_S5_PS7_21rocsparse_index_base_SF_SF_SF_bbb,"axG",@progbits,_ZN9rocsparseL41csrgemm_numeric_fill_block_per_row_kernelILj1024ELj64ELj32768ELj137ELj64Ell21rocsparse_complex_numIdEEEvT5_PKS3_S5_NS_24const_host_device_scalarIT6_EEPKT4_S5_PKS7_SB_S5_SD_S8_SB_S5_SD_SB_S5_PS7_21rocsparse_index_base_SF_SF_SF_bbb,comdat
	.globl	_ZN9rocsparseL41csrgemm_numeric_fill_block_per_row_kernelILj1024ELj64ELj32768ELj137ELj64Ell21rocsparse_complex_numIdEEEvT5_PKS3_S5_NS_24const_host_device_scalarIT6_EEPKT4_S5_PKS7_SB_S5_SD_S8_SB_S5_SD_SB_S5_PS7_21rocsparse_index_base_SF_SF_SF_bbb ; -- Begin function _ZN9rocsparseL41csrgemm_numeric_fill_block_per_row_kernelILj1024ELj64ELj32768ELj137ELj64Ell21rocsparse_complex_numIdEEEvT5_PKS3_S5_NS_24const_host_device_scalarIT6_EEPKT4_S5_PKS7_SB_S5_SD_S8_SB_S5_SD_SB_S5_PS7_21rocsparse_index_base_SF_SF_SF_bbb
	.p2align	8
	.type	_ZN9rocsparseL41csrgemm_numeric_fill_block_per_row_kernelILj1024ELj64ELj32768ELj137ELj64Ell21rocsparse_complex_numIdEEEvT5_PKS3_S5_NS_24const_host_device_scalarIT6_EEPKT4_S5_PKS7_SB_S5_SD_S8_SB_S5_SD_SB_S5_PS7_21rocsparse_index_base_SF_SF_SF_bbb,@function
_ZN9rocsparseL41csrgemm_numeric_fill_block_per_row_kernelILj1024ELj64ELj32768ELj137ELj64Ell21rocsparse_complex_numIdEEEvT5_PKS3_S5_NS_24const_host_device_scalarIT6_EEPKT4_S5_PKS7_SB_S5_SD_S8_SB_S5_SD_SB_S5_PS7_21rocsparse_index_base_SF_SF_SF_bbb: ; @_ZN9rocsparseL41csrgemm_numeric_fill_block_per_row_kernelILj1024ELj64ELj32768ELj137ELj64Ell21rocsparse_complex_numIdEEEvT5_PKS3_S5_NS_24const_host_device_scalarIT6_EEPKT4_S5_PKS7_SB_S5_SD_S8_SB_S5_SD_SB_S5_PS7_21rocsparse_index_base_SF_SF_SF_bbb
; %bb.0:
	s_load_dword s3, s[0:1], 0xa8
	s_load_dwordx4 s[44:47], s[0:1], 0x98
	s_load_dwordx4 s[8:11], s[0:1], 0x18
	;; [unrolled: 1-line block ×3, first 2 shown]
	v_mov_b64_e32 v[6:7], 0
	s_waitcnt lgkmcnt(0)
	s_bitcmp1_b32 s3, 0
	s_cselect_b64 s[28:29], -1, 0
	s_bitcmp1_b32 s3, 16
	s_cselect_b64 s[30:31], -1, 0
	s_xor_b64 s[4:5], s[30:31], -1
	v_mov_b64_e32 v[2:3], s[8:9]
	v_cndmask_b32_e64 v1, 0, 1, s[4:5]
	scratch_store_dwordx2 off, v[2:3], off offset:16
	v_mov_b64_e32 v[2:3], s[24:25]
	s_bitcmp0_b32 s3, 0
	v_cmp_ne_u32_e64 s[4:5], 1, v1
	v_mov_b64_e32 v[10:11], 0
	v_mov_b64_e32 v[12:13], 0
	scratch_store_dwordx2 off, v[2:3], off offset:24
	s_cbranch_scc1 .LBB157_3
; %bb.1:
	s_mov_b64 s[6:7], src_private_base
	s_and_b64 s[12:13], s[30:31], exec
	s_cselect_b32 s6, s7, s9
	s_cselect_b32 s7, 16, s8
	v_mov_b32_e32 v2, s7
	v_mov_b32_e32 v3, s6
	flat_load_dwordx2 v[10:11], v[2:3]
	s_and_b64 vcc, exec, s[4:5]
	v_mov_b64_e32 v[12:13], s[10:11]
	s_cbranch_vccnz .LBB157_3
; %bb.2:
	v_mov_b64_e32 v[2:3], s[8:9]
	flat_load_dwordx2 v[12:13], v[2:3] offset:8
.LBB157_3:
	s_load_dwordx2 s[34:35], s[0:1], 0x90
	s_load_dwordx8 s[36:43], s[0:1], 0x68
	s_load_dwordx4 s[16:19], s[0:1], 0x48
	s_load_dwordx4 s[20:23], s[0:1], 0x8
	s_load_dwordx8 s[8:15], s[0:1], 0x28
	s_bitcmp1_b32 s3, 8
	s_cselect_b64 s[6:7], -1, 0
	s_bfe_u32 s3, s3, 0x10008
	s_cmp_eq_u32 s3, 0
	v_mov_b64_e32 v[8:9], 0
	s_cbranch_scc1 .LBB157_6
; %bb.4:
	s_mov_b64 s[48:49], src_private_base
	s_and_b64 s[30:31], s[30:31], exec
	s_cselect_b32 s3, s49, s25
	s_cselect_b32 s30, 24, s24
	v_mov_b32_e32 v2, s30
	v_mov_b32_e32 v3, s3
	flat_load_dwordx2 v[8:9], v[2:3]
	s_and_b64 vcc, exec, s[4:5]
	v_mov_b64_e32 v[6:7], s[26:27]
	s_cbranch_vccnz .LBB157_6
; %bb.5:
	v_mov_b64_e32 v[2:3], s[24:25]
	flat_load_dwordx2 v[6:7], v[2:3] offset:8
.LBB157_6:
	s_load_dwordx2 s[48:49], s[0:1], 0x0
	v_lshlrev_b32_e32 v2, 4, v0
	s_mov_b32 s4, 0
	v_or_b32_e32 v1, 0xfffffc00, v0
	v_add_u32_e32 v35, 0, v2
	v_lshl_add_u32 v34, v0, 3, 0
	s_mov_b32 s5, s4
	s_mov_b32 s24, s4
	;; [unrolled: 1-line block ×3, first 2 shown]
	v_add_u32_e32 v14, 0x40008, v35
	s_mov_b64 s[0:1], 0
	s_waitcnt lgkmcnt(0)
	v_mov_b64_e32 v[18:19], s[48:49]
	v_mov_b64_e32 v[2:3], s[4:5]
	;; [unrolled: 1-line block ×3, first 2 shown]
	s_movk_i32 s3, 0x7bff
	v_mov_b32_e32 v15, v34
	v_mov_b32_e32 v16, v1
.LBB157_7:                              ; =>This Inner Loop Header: Depth=1
	v_add_u32_e32 v16, 0x400, v16
	v_cmp_lt_u32_e32 vcc, s3, v16
	ds_write_b64 v15, v[18:19]
	v_add_u32_e32 v17, -8, v14
	v_add_u32_e32 v14, 0x4000, v14
	v_add_u32_e32 v15, 0x2000, v15
	s_or_b64 s[0:1], vcc, s[0:1]
	ds_write2_b64 v17, v[2:3], v[4:5] offset1:1
	s_andn2_b64 exec, exec, s[0:1]
	s_cbranch_execnz .LBB157_7
; %bb.8:
	s_or_b64 exec, exec, s[0:1]
	s_waitcnt lgkmcnt(0)
	s_barrier
	s_load_dwordx2 s[0:1], s[20:21], 0x0
	s_mov_b32 s3, 0
	v_lshrrev_b32_e32 v36, 6, v0
	s_waitcnt lgkmcnt(0)
	s_lshl_b64 s[0:1], s[0:1], 3
	s_add_u32 s4, s22, s0
	s_addc_u32 s5, s23, s1
	s_lshl_b64 s[0:1], s[2:3], 3
	s_add_u32 s0, s4, s0
	s_addc_u32 s1, s5, s1
	s_load_dwordx2 s[50:51], s[0:1], 0x0
	s_and_b64 vcc, exec, s[28:29]
	s_cbranch_vccz .LBB157_28
; %bb.9:
	s_waitcnt lgkmcnt(0)
	s_lshl_b64 s[0:1], s[50:51], 3
	s_add_u32 s0, s8, s0
	s_addc_u32 s1, s9, s1
	s_load_dwordx4 s[20:23], s[0:1], 0x0
	v_subrev_co_u32_e32 v2, vcc, s44, v36
	s_nop 1
	v_subb_co_u32_e64 v3, s[0:1], 0, 0, vcc
	s_waitcnt lgkmcnt(0)
	s_sub_u32 s0, s22, s44
	s_subb_u32 s1, s23, 0
	v_lshl_add_u64 v[14:15], s[20:21], 0, v[2:3]
	v_cmp_gt_i64_e32 vcc, s[0:1], v[14:15]
	s_and_saveexec_b64 s[2:3], vcc
	s_cbranch_execz .LBB157_27
; %bb.10:
	v_and_b32_e32 v2, 63, v0
	v_subrev_co_u32_e32 v16, vcc, s45, v2
	s_mov_b32 s33, s45
	s_nop 0
	v_subb_co_u32_e64 v17, s[4:5], 0, 0, vcc
	s_mov_b64 s[4:5], 0
	s_movk_i32 s45, 0x89
	s_branch .LBB157_12
.LBB157_11:                             ;   in Loop: Header=BB157_12 Depth=1
	s_or_b64 exec, exec, s[8:9]
	v_lshl_add_u64 v[14:15], v[14:15], 0, 16
	v_cmp_le_i64_e32 vcc, s[0:1], v[14:15]
	s_or_b64 s[4:5], vcc, s[4:5]
	s_andn2_b64 exec, exec, s[4:5]
	s_cbranch_execz .LBB157_27
.LBB157_12:                             ; =>This Loop Header: Depth=1
                                        ;     Child Loop BB157_16 Depth 2
                                        ;       Child Loop BB157_19 Depth 3
	v_lshl_add_u64 v[2:3], v[14:15], 3, s[10:11]
	global_load_dwordx2 v[2:3], v[2:3], off
	s_waitcnt vmcnt(0)
	v_subrev_co_u32_e32 v2, vcc, s44, v2
	s_nop 1
	v_subbrev_co_u32_e32 v3, vcc, 0, v3, vcc
	v_lshl_add_u64 v[2:3], v[2:3], 3, s[14:15]
	global_load_dwordx4 v[2:5], v[2:3], off
	s_waitcnt vmcnt(0)
	v_subrev_co_u32_e32 v18, vcc, s33, v4
	s_nop 1
	v_subbrev_co_u32_e32 v19, vcc, 0, v5, vcc
	v_lshl_add_u64 v[20:21], v[2:3], 0, v[16:17]
	v_cmp_lt_i64_e32 vcc, v[20:21], v[18:19]
	s_and_saveexec_b64 s[8:9], vcc
	s_cbranch_execz .LBB157_11
; %bb.13:                               ;   in Loop: Header=BB157_12 Depth=1
	v_lshl_add_u64 v[2:3], v[14:15], 4, s[12:13]
	global_load_dwordx4 v[2:5], v[2:3], off
	s_mov_b64 s[20:21], 0
	s_waitcnt vmcnt(0)
	v_mul_f64 v[22:23], v[4:5], -v[12:13]
	v_mul_f64 v[24:25], v[10:11], v[4:5]
	v_fmac_f64_e32 v[22:23], v[10:11], v[2:3]
	v_fmac_f64_e32 v[24:25], v[12:13], v[2:3]
	s_branch .LBB157_16
.LBB157_14:                             ;   in Loop: Header=BB157_16 Depth=2
	s_or_b64 exec, exec, s[24:25]
.LBB157_15:                             ;   in Loop: Header=BB157_16 Depth=2
	s_or_b64 exec, exec, s[22:23]
	s_waitcnt vmcnt(0)
	v_mul_f64 v[28:29], v[4:5], -v[24:25]
	v_mul_f64 v[4:5], v[22:23], v[4:5]
	v_fmac_f64_e32 v[28:29], v[22:23], v[2:3]
	v_fmac_f64_e32 v[4:5], v[24:25], v[2:3]
	v_lshl_add_u32 v2, v26, 4, 0
	v_add_u32_e32 v2, 0x40000, v2
	ds_add_f64 v2, v[28:29]
	ds_add_f64 v2, v[4:5] offset:8
	v_lshl_add_u64 v[20:21], v[20:21], 0, 64
	v_cmp_ge_i64_e32 vcc, v[20:21], v[18:19]
	s_or_b64 s[20:21], vcc, s[20:21]
	s_andn2_b64 exec, exec, s[20:21]
	s_cbranch_execz .LBB157_11
.LBB157_16:                             ;   Parent Loop BB157_12 Depth=1
                                        ; =>  This Loop Header: Depth=2
                                        ;       Child Loop BB157_19 Depth 3
	v_lshl_add_u64 v[2:3], v[20:21], 3, s[16:17]
	global_load_dwordx2 v[26:27], v[2:3], off
	v_lshl_add_u64 v[2:3], v[20:21], 4, s[18:19]
	global_load_dwordx4 v[2:5], v[2:3], off
	s_waitcnt vmcnt(1)
	v_subrev_co_u32_e32 v28, vcc, s33, v26
	v_mul_lo_u32 v26, v28, s45
	v_and_b32_e32 v26, 0x7fff, v26
	v_lshl_add_u32 v37, v26, 3, 0
	ds_read_b64 v[32:33], v37
	v_subbrev_co_u32_e32 v29, vcc, 0, v27, vcc
	s_waitcnt lgkmcnt(0)
	v_cmp_ne_u64_e32 vcc, v[32:33], v[28:29]
	s_and_saveexec_b64 s[22:23], vcc
	s_cbranch_execz .LBB157_15
; %bb.17:                               ;   in Loop: Header=BB157_16 Depth=2
	s_mov_b64 s[24:25], 0
                                        ; implicit-def: $sgpr26_sgpr27
                                        ; implicit-def: $sgpr28_sgpr29
	s_branch .LBB157_19
.LBB157_18:                             ;   in Loop: Header=BB157_19 Depth=3
	s_or_b64 exec, exec, s[54:55]
	s_and_b64 s[30:31], exec, s[52:53]
	s_or_b64 s[24:25], s[30:31], s[24:25]
	s_andn2_b64 s[26:27], s[26:27], exec
	s_and_b64 s[30:31], s[28:29], exec
	s_or_b64 s[26:27], s[26:27], s[30:31]
	s_andn2_b64 exec, exec, s[24:25]
	s_cbranch_execz .LBB157_25
.LBB157_19:                             ;   Parent Loop BB157_12 Depth=1
                                        ;     Parent Loop BB157_16 Depth=2
                                        ; =>    This Inner Loop Header: Depth=3
	v_mov_b64_e32 v[30:31], v[26:27]
	v_cmp_ne_u64_e32 vcc, s[48:49], v[32:33]
	s_mov_b64 s[30:31], 0
                                        ; implicit-def: $vgpr26_vgpr27
	s_and_saveexec_b64 s[52:53], vcc
	s_xor_b64 s[52:53], exec, s[52:53]
; %bb.20:                               ;   in Loop: Header=BB157_19 Depth=3
	v_add_u32_e32 v26, 1, v30
	s_mov_b64 s[30:31], exec
	v_and_b32_e32 v26, 0x7fff, v26
                                        ; implicit-def: $vgpr37
; %bb.21:                               ;   in Loop: Header=BB157_19 Depth=3
	s_andn2_saveexec_b64 s[52:53], s[52:53]
	s_cbranch_execz .LBB157_23
; %bb.22:                               ;   in Loop: Header=BB157_19 Depth=3
	v_mov_b64_e32 v[26:27], s[48:49]
	ds_cmpst_rtn_b64 v[26:27], v37, v[26:27], v[28:29]
	s_andn2_b64 s[30:31], s[30:31], exec
	s_waitcnt lgkmcnt(0)
	v_cmp_ne_u64_e32 vcc, s[48:49], v[26:27]
	s_and_b64 s[54:55], vcc, exec
	s_or_b64 s[30:31], s[30:31], s[54:55]
	v_mov_b64_e32 v[26:27], v[30:31]
.LBB157_23:                             ;   in Loop: Header=BB157_19 Depth=3
	s_or_b64 exec, exec, s[52:53]
	s_mov_b64 s[52:53], -1
	s_or_b64 s[28:29], s[28:29], exec
                                        ; implicit-def: $vgpr37
                                        ; implicit-def: $vgpr32_vgpr33
	s_and_saveexec_b64 s[54:55], s[30:31]
	s_cbranch_execz .LBB157_18
; %bb.24:                               ;   in Loop: Header=BB157_19 Depth=3
	v_lshl_add_u32 v37, v26, 3, 0
	ds_read_b64 v[32:33], v37
	s_andn2_b64 s[28:29], s[28:29], exec
	s_waitcnt lgkmcnt(0)
	v_cmp_eq_u64_e32 vcc, v[32:33], v[28:29]
	s_orn2_b64 s[52:53], vcc, exec
	s_branch .LBB157_18
.LBB157_25:                             ;   in Loop: Header=BB157_16 Depth=2
	s_or_b64 exec, exec, s[24:25]
	s_and_saveexec_b64 s[24:25], s[26:27]
	s_xor_b64 s[24:25], exec, s[24:25]
	s_cbranch_execz .LBB157_14
; %bb.26:                               ;   in Loop: Header=BB157_16 Depth=2
	v_mov_b32_e32 v26, v30
	s_branch .LBB157_14
.LBB157_27:
	s_or_b64 exec, exec, s[2:3]
.LBB157_28:
	s_andn2_b64 vcc, exec, s[6:7]
	s_cbranch_vccnz .LBB157_45
; %bb.29:
	s_waitcnt lgkmcnt(0)
	s_lshl_b64 s[0:1], s[50:51], 3
	s_add_u32 s0, s36, s0
	s_addc_u32 s1, s37, s1
	s_load_dwordx4 s[4:7], s[0:1], 0x0
	v_subrev_co_u32_e32 v2, vcc, s47, v0
	s_waitcnt lgkmcnt(0)
	s_sub_u32 s0, s6, s47
	v_subb_co_u32_e64 v3, s[2:3], 0, 0, vcc
	s_subb_u32 s1, s7, 0
	s_waitcnt vmcnt(0)
	v_lshl_add_u64 v[10:11], s[4:5], 0, v[2:3]
	v_cmp_gt_i64_e32 vcc, s[0:1], v[10:11]
	s_and_saveexec_b64 s[2:3], vcc
	s_cbranch_execz .LBB157_44
; %bb.30:
	s_mov_b32 s22, s47
	s_mov_b64 s[4:5], 0
	s_movk_i32 s23, 0x89
	s_mov_b64 s[6:7], 0x400
	s_branch .LBB157_33
.LBB157_31:                             ;   in Loop: Header=BB157_33 Depth=1
	s_or_b64 exec, exec, s[10:11]
.LBB157_32:                             ;   in Loop: Header=BB157_33 Depth=1
	s_or_b64 exec, exec, s[8:9]
	s_waitcnt vmcnt(0)
	v_mul_f64 v[14:15], v[4:5], -v[6:7]
	v_mul_f64 v[4:5], v[8:9], v[4:5]
	v_fmac_f64_e32 v[14:15], v[8:9], v[2:3]
	v_fmac_f64_e32 v[4:5], v[6:7], v[2:3]
	v_lshl_add_u32 v2, v12, 4, 0
	v_add_u32_e32 v2, 0x40000, v2
	ds_add_f64 v2, v[14:15]
	ds_add_f64 v2, v[4:5] offset:8
	v_lshl_add_u64 v[10:11], v[10:11], 0, s[6:7]
	v_cmp_le_i64_e32 vcc, s[0:1], v[10:11]
	s_or_b64 s[4:5], vcc, s[4:5]
	s_andn2_b64 exec, exec, s[4:5]
	s_cbranch_execz .LBB157_44
.LBB157_33:                             ; =>This Loop Header: Depth=1
                                        ;     Child Loop BB157_36 Depth 2
	v_lshl_add_u64 v[2:3], v[10:11], 3, s[38:39]
	global_load_dwordx2 v[12:13], v[2:3], off
	v_lshl_add_u64 v[2:3], v[10:11], 4, s[40:41]
	global_load_dwordx4 v[2:5], v[2:3], off
	s_waitcnt vmcnt(1)
	v_subrev_co_u32_e32 v14, vcc, s22, v12
	v_mul_lo_u32 v12, v14, s23
	v_and_b32_e32 v12, 0x7fff, v12
	v_lshl_add_u32 v20, v12, 3, 0
	ds_read_b64 v[18:19], v20
	v_subbrev_co_u32_e32 v15, vcc, 0, v13, vcc
	s_waitcnt lgkmcnt(0)
	v_cmp_ne_u64_e32 vcc, v[18:19], v[14:15]
	s_and_saveexec_b64 s[8:9], vcc
	s_cbranch_execz .LBB157_32
; %bb.34:                               ;   in Loop: Header=BB157_33 Depth=1
	s_mov_b64 s[10:11], 0
                                        ; implicit-def: $sgpr12_sgpr13
                                        ; implicit-def: $sgpr14_sgpr15
	s_branch .LBB157_36
.LBB157_35:                             ;   in Loop: Header=BB157_36 Depth=2
	s_or_b64 exec, exec, s[20:21]
	s_and_b64 s[16:17], exec, s[18:19]
	s_or_b64 s[10:11], s[16:17], s[10:11]
	s_andn2_b64 s[12:13], s[12:13], exec
	s_and_b64 s[16:17], s[14:15], exec
	s_or_b64 s[12:13], s[12:13], s[16:17]
	s_andn2_b64 exec, exec, s[10:11]
	s_cbranch_execz .LBB157_42
.LBB157_36:                             ;   Parent Loop BB157_33 Depth=1
                                        ; =>  This Inner Loop Header: Depth=2
	v_mov_b64_e32 v[16:17], v[12:13]
	v_cmp_ne_u64_e32 vcc, s[48:49], v[18:19]
	s_mov_b64 s[16:17], 0
                                        ; implicit-def: $vgpr12_vgpr13
	s_and_saveexec_b64 s[18:19], vcc
	s_xor_b64 s[18:19], exec, s[18:19]
; %bb.37:                               ;   in Loop: Header=BB157_36 Depth=2
	v_add_u32_e32 v12, 1, v16
	s_mov_b64 s[16:17], exec
	v_and_b32_e32 v12, 0x7fff, v12
                                        ; implicit-def: $vgpr20
; %bb.38:                               ;   in Loop: Header=BB157_36 Depth=2
	s_andn2_saveexec_b64 s[18:19], s[18:19]
	s_cbranch_execz .LBB157_40
; %bb.39:                               ;   in Loop: Header=BB157_36 Depth=2
	v_mov_b64_e32 v[12:13], s[48:49]
	ds_cmpst_rtn_b64 v[12:13], v20, v[12:13], v[14:15]
	s_andn2_b64 s[16:17], s[16:17], exec
	s_waitcnt lgkmcnt(0)
	v_cmp_ne_u64_e32 vcc, s[48:49], v[12:13]
	s_and_b64 s[20:21], vcc, exec
	s_or_b64 s[16:17], s[16:17], s[20:21]
	v_mov_b64_e32 v[12:13], v[16:17]
.LBB157_40:                             ;   in Loop: Header=BB157_36 Depth=2
	s_or_b64 exec, exec, s[18:19]
	s_mov_b64 s[18:19], -1
	s_or_b64 s[14:15], s[14:15], exec
                                        ; implicit-def: $vgpr20
                                        ; implicit-def: $vgpr18_vgpr19
	s_and_saveexec_b64 s[20:21], s[16:17]
	s_cbranch_execz .LBB157_35
; %bb.41:                               ;   in Loop: Header=BB157_36 Depth=2
	v_lshl_add_u32 v20, v12, 3, 0
	ds_read_b64 v[18:19], v20
	s_andn2_b64 s[14:15], s[14:15], exec
	s_waitcnt lgkmcnt(0)
	v_cmp_eq_u64_e32 vcc, v[18:19], v[14:15]
	s_orn2_b64 s[18:19], vcc, exec
	s_branch .LBB157_35
.LBB157_42:                             ;   in Loop: Header=BB157_33 Depth=1
	s_or_b64 exec, exec, s[10:11]
	s_and_saveexec_b64 s[10:11], s[12:13]
	s_xor_b64 s[10:11], exec, s[10:11]
	s_cbranch_execz .LBB157_31
; %bb.43:                               ;   in Loop: Header=BB157_33 Depth=1
	v_mov_b32_e32 v12, v16
	s_branch .LBB157_31
.LBB157_44:
	s_or_b64 exec, exec, s[2:3]
.LBB157_45:
	v_mbcnt_lo_u32_b32 v2, -1, 0
	v_mbcnt_hi_u32_b32 v2, -1, v2
	v_sub_u32_e32 v2, 63, v2
	s_add_i32 s33, 0, 0xc0000
	s_movk_i32 s0, 0x3ff
	s_movk_i32 s2, 0x7f
	;; [unrolled: 1-line block ×15, first 2 shown]
	s_add_i32 s61, 0, 0xc0078
	v_mov_b32_e32 v3, 0
	v_lshrrev_b64 v[4:5], v2, -1
	s_waitcnt vmcnt(0)
	v_lshl_add_u32 v12, v36, 3, s33
	v_cmp_eq_u32_e32 vcc, s0, v0
	v_cmp_lt_u32_e64 s[0:1], 63, v0
	v_cmp_lt_u32_e64 s[2:3], s2, v0
	;; [unrolled: 1-line block ×15, first 2 shown]
	v_add_u32_e32 v13, 0x40000, v35
	s_mov_b64 s[36:37], 0
	v_mov_b64_e32 v[6:7], 0
	s_add_i32 s40, 0, 0xc0008
	s_add_i32 s41, 0, 0xc0010
	;; [unrolled: 1-line block ×14, first 2 shown]
	v_mov_b32_e32 v14, s61
	s_movk_i32 s62, 0x7bff
	s_waitcnt lgkmcnt(0)
	s_barrier
	s_branch .LBB157_47
.LBB157_46:                             ;   in Loop: Header=BB157_47 Depth=1
	s_or_b64 exec, exec, s[30:31]
	s_waitcnt lgkmcnt(0)
	s_barrier
	ds_read_b64 v[8:9], v14
	v_add_u32_e32 v1, 0x400, v1
	v_cmp_lt_u32_e64 s[30:31], s62, v1
	v_add_u32_e32 v13, 0x4000, v13
	s_or_b64 s[36:37], s[30:31], s[36:37]
	s_waitcnt lgkmcnt(0)
	v_lshl_add_u64 v[6:7], v[8:9], 0, v[6:7]
	v_add_u32_e32 v34, 0x2000, v34
	s_andn2_b64 exec, exec, s[36:37]
	s_cbranch_execz .LBB157_81
.LBB157_47:                             ; =>This Inner Loop Header: Depth=1
	ds_read2_b64 v[16:19], v13 offset1:1
	ds_read_b64 v[8:9], v34
	s_waitcnt lgkmcnt(1)
	scratch_store_dwordx4 off, v[16:19], off
	s_waitcnt lgkmcnt(0)
	v_cmp_gt_i64_e64 s[30:31], s[48:49], v[8:9]
	s_bcnt1_i32_b64 s38, s[30:31]
	v_mov_b32_e32 v2, s38
	v_and_b32_e32 v11, s30, v4
	v_and_b32_e32 v10, s31, v5
	v_bcnt_u32_b32 v11, v11, 0
	v_bcnt_u32_b32 v10, v10, v11
	s_barrier
	ds_write_b64 v12, v[2:3]
	s_waitcnt lgkmcnt(0)
	s_barrier
	s_and_saveexec_b64 s[38:39], s[0:1]
	s_cbranch_execnz .LBB157_64
; %bb.48:                               ;   in Loop: Header=BB157_47 Depth=1
	s_or_b64 exec, exec, s[38:39]
	s_and_saveexec_b64 s[38:39], s[2:3]
	s_cbranch_execnz .LBB157_65
.LBB157_49:                             ;   in Loop: Header=BB157_47 Depth=1
	s_or_b64 exec, exec, s[38:39]
	s_and_saveexec_b64 s[38:39], s[4:5]
	s_cbranch_execnz .LBB157_66
.LBB157_50:                             ;   in Loop: Header=BB157_47 Depth=1
	s_or_b64 exec, exec, s[38:39]
	s_and_saveexec_b64 s[38:39], s[6:7]
	s_cbranch_execnz .LBB157_67
.LBB157_51:                             ;   in Loop: Header=BB157_47 Depth=1
	s_or_b64 exec, exec, s[38:39]
	s_and_saveexec_b64 s[38:39], s[8:9]
	s_cbranch_execnz .LBB157_68
.LBB157_52:                             ;   in Loop: Header=BB157_47 Depth=1
	s_or_b64 exec, exec, s[38:39]
	s_and_saveexec_b64 s[38:39], s[10:11]
	s_cbranch_execnz .LBB157_69
.LBB157_53:                             ;   in Loop: Header=BB157_47 Depth=1
	s_or_b64 exec, exec, s[38:39]
	s_and_saveexec_b64 s[38:39], s[12:13]
	s_cbranch_execnz .LBB157_70
.LBB157_54:                             ;   in Loop: Header=BB157_47 Depth=1
	s_or_b64 exec, exec, s[38:39]
	s_and_saveexec_b64 s[38:39], s[14:15]
	s_cbranch_execnz .LBB157_71
.LBB157_55:                             ;   in Loop: Header=BB157_47 Depth=1
	s_or_b64 exec, exec, s[38:39]
	s_and_saveexec_b64 s[38:39], s[16:17]
	s_cbranch_execnz .LBB157_72
.LBB157_56:                             ;   in Loop: Header=BB157_47 Depth=1
	s_or_b64 exec, exec, s[38:39]
	s_and_saveexec_b64 s[38:39], s[18:19]
	s_cbranch_execnz .LBB157_73
.LBB157_57:                             ;   in Loop: Header=BB157_47 Depth=1
	s_or_b64 exec, exec, s[38:39]
	s_and_saveexec_b64 s[38:39], s[20:21]
	s_cbranch_execnz .LBB157_74
.LBB157_58:                             ;   in Loop: Header=BB157_47 Depth=1
	s_or_b64 exec, exec, s[38:39]
	s_and_saveexec_b64 s[38:39], s[22:23]
	s_cbranch_execnz .LBB157_75
.LBB157_59:                             ;   in Loop: Header=BB157_47 Depth=1
	s_or_b64 exec, exec, s[38:39]
	s_and_saveexec_b64 s[38:39], s[24:25]
	s_cbranch_execnz .LBB157_76
.LBB157_60:                             ;   in Loop: Header=BB157_47 Depth=1
	s_or_b64 exec, exec, s[38:39]
	s_and_saveexec_b64 s[38:39], s[26:27]
	s_cbranch_execnz .LBB157_77
.LBB157_61:                             ;   in Loop: Header=BB157_47 Depth=1
	s_or_b64 exec, exec, s[38:39]
	s_and_saveexec_b64 s[38:39], s[28:29]
	s_cbranch_execnz .LBB157_78
.LBB157_62:                             ;   in Loop: Header=BB157_47 Depth=1
	s_or_b64 exec, exec, s[38:39]
	v_ashrrev_i32_e32 v11, 31, v10
	s_and_saveexec_b64 s[38:39], s[30:31]
	s_cbranch_execnz .LBB157_79
.LBB157_63:                             ;   in Loop: Header=BB157_47 Depth=1
	s_or_b64 exec, exec, s[38:39]
	s_and_saveexec_b64 s[30:31], vcc
	s_cbranch_execz .LBB157_46
	s_branch .LBB157_80
.LBB157_64:                             ;   in Loop: Header=BB157_47 Depth=1
	v_mov_b32_e32 v2, s33
	ds_read_b32 v2, v2
	s_waitcnt lgkmcnt(0)
	v_add_u32_e32 v10, v2, v10
	s_or_b64 exec, exec, s[38:39]
	s_and_saveexec_b64 s[38:39], s[2:3]
	s_cbranch_execz .LBB157_49
.LBB157_65:                             ;   in Loop: Header=BB157_47 Depth=1
	v_mov_b32_e32 v2, s40
	ds_read_b32 v2, v2
	s_waitcnt lgkmcnt(0)
	v_add_u32_e32 v10, v10, v2
	s_or_b64 exec, exec, s[38:39]
	s_and_saveexec_b64 s[38:39], s[4:5]
	s_cbranch_execz .LBB157_50
.LBB157_66:                             ;   in Loop: Header=BB157_47 Depth=1
	v_mov_b32_e32 v2, s41
	ds_read_b32 v2, v2
	s_waitcnt lgkmcnt(0)
	v_add_u32_e32 v10, v10, v2
	s_or_b64 exec, exec, s[38:39]
	s_and_saveexec_b64 s[38:39], s[6:7]
	s_cbranch_execz .LBB157_51
.LBB157_67:                             ;   in Loop: Header=BB157_47 Depth=1
	v_mov_b32_e32 v2, s44
	ds_read_b32 v2, v2
	s_waitcnt lgkmcnt(0)
	v_add_u32_e32 v10, v10, v2
	s_or_b64 exec, exec, s[38:39]
	s_and_saveexec_b64 s[38:39], s[8:9]
	s_cbranch_execz .LBB157_52
.LBB157_68:                             ;   in Loop: Header=BB157_47 Depth=1
	v_mov_b32_e32 v2, s45
	ds_read_b32 v2, v2
	s_waitcnt lgkmcnt(0)
	v_add_u32_e32 v10, v10, v2
	s_or_b64 exec, exec, s[38:39]
	s_and_saveexec_b64 s[38:39], s[10:11]
	s_cbranch_execz .LBB157_53
.LBB157_69:                             ;   in Loop: Header=BB157_47 Depth=1
	v_mov_b32_e32 v2, s47
	ds_read_b32 v2, v2
	s_waitcnt lgkmcnt(0)
	v_add_u32_e32 v10, v10, v2
	s_or_b64 exec, exec, s[38:39]
	s_and_saveexec_b64 s[38:39], s[12:13]
	s_cbranch_execz .LBB157_54
.LBB157_70:                             ;   in Loop: Header=BB157_47 Depth=1
	v_mov_b32_e32 v2, s52
	ds_read_b32 v2, v2
	s_waitcnt lgkmcnt(0)
	v_add_u32_e32 v10, v10, v2
	s_or_b64 exec, exec, s[38:39]
	s_and_saveexec_b64 s[38:39], s[14:15]
	s_cbranch_execz .LBB157_55
.LBB157_71:                             ;   in Loop: Header=BB157_47 Depth=1
	v_mov_b32_e32 v2, s53
	ds_read_b32 v2, v2
	s_waitcnt lgkmcnt(0)
	v_add_u32_e32 v10, v10, v2
	s_or_b64 exec, exec, s[38:39]
	s_and_saveexec_b64 s[38:39], s[16:17]
	s_cbranch_execz .LBB157_56
.LBB157_72:                             ;   in Loop: Header=BB157_47 Depth=1
	v_mov_b32_e32 v2, s54
	ds_read_b32 v2, v2
	s_waitcnt lgkmcnt(0)
	v_add_u32_e32 v10, v10, v2
	s_or_b64 exec, exec, s[38:39]
	s_and_saveexec_b64 s[38:39], s[18:19]
	s_cbranch_execz .LBB157_57
.LBB157_73:                             ;   in Loop: Header=BB157_47 Depth=1
	v_mov_b32_e32 v2, s55
	ds_read_b32 v2, v2
	s_waitcnt lgkmcnt(0)
	v_add_u32_e32 v10, v10, v2
	s_or_b64 exec, exec, s[38:39]
	s_and_saveexec_b64 s[38:39], s[20:21]
	s_cbranch_execz .LBB157_58
.LBB157_74:                             ;   in Loop: Header=BB157_47 Depth=1
	v_mov_b32_e32 v2, s56
	ds_read_b32 v2, v2
	s_waitcnt lgkmcnt(0)
	v_add_u32_e32 v10, v10, v2
	s_or_b64 exec, exec, s[38:39]
	s_and_saveexec_b64 s[38:39], s[22:23]
	s_cbranch_execz .LBB157_59
.LBB157_75:                             ;   in Loop: Header=BB157_47 Depth=1
	v_mov_b32_e32 v2, s57
	ds_read_b32 v2, v2
	s_waitcnt lgkmcnt(0)
	v_add_u32_e32 v10, v10, v2
	s_or_b64 exec, exec, s[38:39]
	s_and_saveexec_b64 s[38:39], s[24:25]
	s_cbranch_execz .LBB157_60
.LBB157_76:                             ;   in Loop: Header=BB157_47 Depth=1
	v_mov_b32_e32 v2, s58
	ds_read_b32 v2, v2
	s_waitcnt lgkmcnt(0)
	v_add_u32_e32 v10, v10, v2
	s_or_b64 exec, exec, s[38:39]
	s_and_saveexec_b64 s[38:39], s[26:27]
	s_cbranch_execz .LBB157_61
.LBB157_77:                             ;   in Loop: Header=BB157_47 Depth=1
	v_mov_b32_e32 v2, s59
	ds_read_b32 v2, v2
	s_waitcnt lgkmcnt(0)
	v_add_u32_e32 v10, v10, v2
	s_or_b64 exec, exec, s[38:39]
	s_and_saveexec_b64 s[38:39], s[28:29]
	s_cbranch_execz .LBB157_62
.LBB157_78:                             ;   in Loop: Header=BB157_47 Depth=1
	v_mov_b32_e32 v2, s60
	ds_read_b32 v2, v2
	s_waitcnt lgkmcnt(0)
	v_add_u32_e32 v10, v10, v2
	s_or_b64 exec, exec, s[38:39]
	v_ashrrev_i32_e32 v11, 31, v10
	s_and_saveexec_b64 s[38:39], s[30:31]
	s_cbranch_execz .LBB157_63
.LBB157_79:                             ;   in Loop: Header=BB157_47 Depth=1
	scratch_load_dwordx4 v[16:19], off, off
	v_add3_u32 v2, v6, -1, v10
	v_lshl_add_u32 v15, v2, 3, 0
	v_lshl_add_u32 v2, v2, 4, 0
	v_add_u32_e32 v2, 0x40000, v2
	ds_write_b64 v15, v[8:9]
	s_waitcnt vmcnt(0)
	ds_write2_b64 v2, v[16:17], v[18:19] offset1:1
	s_or_b64 exec, exec, s[38:39]
	s_and_saveexec_b64 s[30:31], vcc
	s_cbranch_execz .LBB157_46
.LBB157_80:                             ;   in Loop: Header=BB157_47 Depth=1
	v_mov_b32_e32 v2, s61
	ds_write_b64 v2, v[10:11]
	s_branch .LBB157_46
.LBB157_81:
	s_or_b64 exec, exec, s[36:37]
	s_lshl_b64 s[0:1], s[50:51], 3
	s_add_u32 s4, s42, s0
	s_addc_u32 s5, s43, s1
	s_load_dwordx4 s[0:3], s[4:5], 0x0
	v_mov_b32_e32 v1, 0
	s_waitcnt lgkmcnt(0)
	s_sub_u32 s4, s2, s0
	s_subb_u32 s5, s3, s1
	v_cmp_gt_i64_e32 vcc, s[4:5], v[0:1]
	s_and_saveexec_b64 s[6:7], vcc
	s_cbranch_execz .LBB157_91
; %bb.82:
	s_sub_u32 s8, s0, s46
	s_subb_u32 s9, s1, 0
	s_and_b32 s6, s4, 7
	s_sub_u32 s0, s0, s2
	s_mov_b32 s7, 0
	s_subb_u32 s1, s1, s3
	s_and_b32 s10, s4, -8
	s_cmp_lg_u64 s[6:7], 0
	v_cmp_lt_u64_e64 s[0:1], s[0:1], -7
	s_cselect_b64 s[2:3], -1, 0
	s_mov_b32 s11, s5
	v_cndmask_b32_e64 v2, 0, 1, s[0:1]
	v_cmp_ne_u32_e64 s[0:1], 1, v2
	v_cndmask_b32_e64 v2, 0, 1, s[2:3]
	s_mov_b64 s[12:13], 0
	v_cmp_ne_u32_e64 s[2:3], 1, v2
	s_mov_b64 s[14:15], 0x400
	s_branch .LBB157_84
.LBB157_83:                             ;   in Loop: Header=BB157_84 Depth=1
	s_waitcnt lgkmcnt(0)
	v_lshl_add_u32 v2, v0, 4, 0
	v_add_u32_e32 v2, 0x40000, v2
	ds_read2_b64 v[6:9], v2 offset1:1
	v_lshl_add_u64 v[0:1], v[0:1], 0, s[14:15]
	v_cmp_le_i64_e32 vcc, s[4:5], v[0:1]
	v_lshl_add_u64 v[2:3], v[4:5], 4, s[34:35]
	s_or_b64 s[12:13], vcc, s[12:13]
	s_waitcnt lgkmcnt(0)
	global_store_dwordx4 v[2:3], v[6:9], off
	s_andn2_b64 exec, exec, s[12:13]
	s_cbranch_execz .LBB157_91
.LBB157_84:                             ; =>This Loop Header: Depth=1
                                        ;     Child Loop BB157_86 Depth 2
                                        ;     Child Loop BB157_90 Depth 2
	v_lshl_add_u32 v2, v0, 3, 0
	ds_read_b64 v[2:3], v2
	s_and_b64 vcc, exec, s[0:1]
	v_mov_b64_e32 v[4:5], s[8:9]
	s_mov_b64 s[16:17], 0
	s_cbranch_vccnz .LBB157_88
; %bb.85:                               ;   in Loop: Header=BB157_84 Depth=1
	s_mov_b32 s18, 0
	v_mov_b64_e32 v[4:5], s[8:9]
.LBB157_86:                             ;   Parent Loop BB157_84 Depth=1
                                        ; =>  This Inner Loop Header: Depth=2
	v_mov_b32_e32 v18, s18
	ds_read2_b64 v[6:9], v18 offset1:1
	ds_read2_b64 v[10:13], v18 offset0:2 offset1:3
	ds_read2_b64 v[14:17], v18 offset0:4 offset1:5
	;; [unrolled: 1-line block ×3, first 2 shown]
	v_mov_b32_e32 v23, s7
	s_waitcnt lgkmcnt(3)
	v_cmp_gt_i64_e32 vcc, v[2:3], v[6:7]
	v_mov_b32_e32 v25, s7
	v_mov_b32_e32 v27, s7
	v_cndmask_b32_e64 v22, 0, 1, vcc
	v_cmp_gt_i64_e32 vcc, v[2:3], v[8:9]
	v_lshl_add_u64 v[4:5], v[4:5], 0, v[22:23]
	v_mov_b32_e32 v29, s7
	v_cndmask_b32_e64 v24, 0, 1, vcc
	s_waitcnt lgkmcnt(2)
	v_cmp_gt_i64_e32 vcc, v[2:3], v[10:11]
	v_lshl_add_u64 v[4:5], v[4:5], 0, v[24:25]
	v_mov_b32_e32 v31, s7
	v_cndmask_b32_e64 v26, 0, 1, vcc
	v_cmp_gt_i64_e32 vcc, v[2:3], v[12:13]
	v_lshl_add_u64 v[4:5], v[4:5], 0, v[26:27]
	v_mov_b32_e32 v33, s7
	v_cndmask_b32_e64 v28, 0, 1, vcc
	s_waitcnt lgkmcnt(1)
	v_cmp_gt_i64_e32 vcc, v[2:3], v[14:15]
	v_lshl_add_u64 v[4:5], v[4:5], 0, v[28:29]
	v_mov_b32_e32 v35, s7
	v_cndmask_b32_e64 v30, 0, 1, vcc
	v_cmp_gt_i64_e32 vcc, v[2:3], v[16:17]
	v_lshl_add_u64 v[4:5], v[4:5], 0, v[30:31]
	s_add_u32 s16, s16, 8
	v_cndmask_b32_e64 v32, 0, 1, vcc
	s_waitcnt lgkmcnt(0)
	v_cmp_gt_i64_e32 vcc, v[2:3], v[18:19]
	v_lshl_add_u64 v[4:5], v[4:5], 0, v[32:33]
	v_mov_b32_e32 v37, s7
	v_cndmask_b32_e64 v34, 0, 1, vcc
	v_cmp_gt_i64_e32 vcc, v[2:3], v[20:21]
	s_addc_u32 s17, s17, 0
	s_add_i32 s18, s18, 64
	v_cndmask_b32_e64 v36, 0, 1, vcc
	v_lshl_add_u64 v[4:5], v[4:5], 0, v[34:35]
	s_cmp_eq_u64 s[10:11], s[16:17]
	v_lshl_add_u64 v[4:5], v[4:5], 0, v[36:37]
	s_cbranch_scc0 .LBB157_86
; %bb.87:                               ;   in Loop: Header=BB157_84 Depth=1
	s_mov_b64 s[16:17], s[10:11]
.LBB157_88:                             ;   in Loop: Header=BB157_84 Depth=1
	s_and_b64 vcc, exec, s[2:3]
	s_cbranch_vccnz .LBB157_83
; %bb.89:                               ;   in Loop: Header=BB157_84 Depth=1
	s_lshl_b32 s16, s16, 3
	s_add_i32 s18, s16, 0
	s_mov_b64 s[16:17], s[6:7]
.LBB157_90:                             ;   Parent Loop BB157_84 Depth=1
                                        ; =>  This Inner Loop Header: Depth=2
	v_mov_b32_e32 v6, s18
	ds_read_b64 v[8:9], v6
	s_add_i32 s18, s18, 8
	s_add_u32 s16, s16, -1
	v_mov_b32_e32 v7, s7
	s_addc_u32 s17, s17, -1
	s_waitcnt lgkmcnt(0)
	v_cmp_gt_i64_e32 vcc, v[2:3], v[8:9]
	s_cmp_lg_u64 s[16:17], 0
	s_nop 0
	v_cndmask_b32_e64 v6, 0, 1, vcc
	v_lshl_add_u64 v[4:5], v[4:5], 0, v[6:7]
	s_cbranch_scc1 .LBB157_90
	s_branch .LBB157_83
.LBB157_91:
	s_endpgm
	.section	.rodata,"a",@progbits
	.p2align	6, 0x0
	.amdhsa_kernel _ZN9rocsparseL41csrgemm_numeric_fill_block_per_row_kernelILj1024ELj64ELj32768ELj137ELj64Ell21rocsparse_complex_numIdEEEvT5_PKS3_S5_NS_24const_host_device_scalarIT6_EEPKT4_S5_PKS7_SB_S5_SD_S8_SB_S5_SD_SB_S5_PS7_21rocsparse_index_base_SF_SF_SF_bbb
		.amdhsa_group_segment_fixed_size 0
		.amdhsa_private_segment_fixed_size 40
		.amdhsa_kernarg_size 172
		.amdhsa_user_sgpr_count 2
		.amdhsa_user_sgpr_dispatch_ptr 0
		.amdhsa_user_sgpr_queue_ptr 0
		.amdhsa_user_sgpr_kernarg_segment_ptr 1
		.amdhsa_user_sgpr_dispatch_id 0
		.amdhsa_user_sgpr_kernarg_preload_length 0
		.amdhsa_user_sgpr_kernarg_preload_offset 0
		.amdhsa_user_sgpr_private_segment_size 0
		.amdhsa_uses_dynamic_stack 0
		.amdhsa_enable_private_segment 1
		.amdhsa_system_sgpr_workgroup_id_x 1
		.amdhsa_system_sgpr_workgroup_id_y 0
		.amdhsa_system_sgpr_workgroup_id_z 0
		.amdhsa_system_sgpr_workgroup_info 0
		.amdhsa_system_vgpr_workitem_id 0
		.amdhsa_next_free_vgpr 38
		.amdhsa_next_free_sgpr 63
		.amdhsa_accum_offset 40
		.amdhsa_reserve_vcc 1
		.amdhsa_float_round_mode_32 0
		.amdhsa_float_round_mode_16_64 0
		.amdhsa_float_denorm_mode_32 3
		.amdhsa_float_denorm_mode_16_64 3
		.amdhsa_dx10_clamp 1
		.amdhsa_ieee_mode 1
		.amdhsa_fp16_overflow 0
		.amdhsa_tg_split 0
		.amdhsa_exception_fp_ieee_invalid_op 0
		.amdhsa_exception_fp_denorm_src 0
		.amdhsa_exception_fp_ieee_div_zero 0
		.amdhsa_exception_fp_ieee_overflow 0
		.amdhsa_exception_fp_ieee_underflow 0
		.amdhsa_exception_fp_ieee_inexact 0
		.amdhsa_exception_int_div_zero 0
	.end_amdhsa_kernel
	.section	.text._ZN9rocsparseL41csrgemm_numeric_fill_block_per_row_kernelILj1024ELj64ELj32768ELj137ELj64Ell21rocsparse_complex_numIdEEEvT5_PKS3_S5_NS_24const_host_device_scalarIT6_EEPKT4_S5_PKS7_SB_S5_SD_S8_SB_S5_SD_SB_S5_PS7_21rocsparse_index_base_SF_SF_SF_bbb,"axG",@progbits,_ZN9rocsparseL41csrgemm_numeric_fill_block_per_row_kernelILj1024ELj64ELj32768ELj137ELj64Ell21rocsparse_complex_numIdEEEvT5_PKS3_S5_NS_24const_host_device_scalarIT6_EEPKT4_S5_PKS7_SB_S5_SD_S8_SB_S5_SD_SB_S5_PS7_21rocsparse_index_base_SF_SF_SF_bbb,comdat
.Lfunc_end157:
	.size	_ZN9rocsparseL41csrgemm_numeric_fill_block_per_row_kernelILj1024ELj64ELj32768ELj137ELj64Ell21rocsparse_complex_numIdEEEvT5_PKS3_S5_NS_24const_host_device_scalarIT6_EEPKT4_S5_PKS7_SB_S5_SD_S8_SB_S5_SD_SB_S5_PS7_21rocsparse_index_base_SF_SF_SF_bbb, .Lfunc_end157-_ZN9rocsparseL41csrgemm_numeric_fill_block_per_row_kernelILj1024ELj64ELj32768ELj137ELj64Ell21rocsparse_complex_numIdEEEvT5_PKS3_S5_NS_24const_host_device_scalarIT6_EEPKT4_S5_PKS7_SB_S5_SD_S8_SB_S5_SD_SB_S5_PS7_21rocsparse_index_base_SF_SF_SF_bbb
                                        ; -- End function
	.set _ZN9rocsparseL41csrgemm_numeric_fill_block_per_row_kernelILj1024ELj64ELj32768ELj137ELj64Ell21rocsparse_complex_numIdEEEvT5_PKS3_S5_NS_24const_host_device_scalarIT6_EEPKT4_S5_PKS7_SB_S5_SD_S8_SB_S5_SD_SB_S5_PS7_21rocsparse_index_base_SF_SF_SF_bbb.num_vgpr, 38
	.set _ZN9rocsparseL41csrgemm_numeric_fill_block_per_row_kernelILj1024ELj64ELj32768ELj137ELj64Ell21rocsparse_complex_numIdEEEvT5_PKS3_S5_NS_24const_host_device_scalarIT6_EEPKT4_S5_PKS7_SB_S5_SD_S8_SB_S5_SD_SB_S5_PS7_21rocsparse_index_base_SF_SF_SF_bbb.num_agpr, 0
	.set _ZN9rocsparseL41csrgemm_numeric_fill_block_per_row_kernelILj1024ELj64ELj32768ELj137ELj64Ell21rocsparse_complex_numIdEEEvT5_PKS3_S5_NS_24const_host_device_scalarIT6_EEPKT4_S5_PKS7_SB_S5_SD_S8_SB_S5_SD_SB_S5_PS7_21rocsparse_index_base_SF_SF_SF_bbb.numbered_sgpr, 63
	.set _ZN9rocsparseL41csrgemm_numeric_fill_block_per_row_kernelILj1024ELj64ELj32768ELj137ELj64Ell21rocsparse_complex_numIdEEEvT5_PKS3_S5_NS_24const_host_device_scalarIT6_EEPKT4_S5_PKS7_SB_S5_SD_S8_SB_S5_SD_SB_S5_PS7_21rocsparse_index_base_SF_SF_SF_bbb.num_named_barrier, 0
	.set _ZN9rocsparseL41csrgemm_numeric_fill_block_per_row_kernelILj1024ELj64ELj32768ELj137ELj64Ell21rocsparse_complex_numIdEEEvT5_PKS3_S5_NS_24const_host_device_scalarIT6_EEPKT4_S5_PKS7_SB_S5_SD_S8_SB_S5_SD_SB_S5_PS7_21rocsparse_index_base_SF_SF_SF_bbb.private_seg_size, 40
	.set _ZN9rocsparseL41csrgemm_numeric_fill_block_per_row_kernelILj1024ELj64ELj32768ELj137ELj64Ell21rocsparse_complex_numIdEEEvT5_PKS3_S5_NS_24const_host_device_scalarIT6_EEPKT4_S5_PKS7_SB_S5_SD_S8_SB_S5_SD_SB_S5_PS7_21rocsparse_index_base_SF_SF_SF_bbb.uses_vcc, 1
	.set _ZN9rocsparseL41csrgemm_numeric_fill_block_per_row_kernelILj1024ELj64ELj32768ELj137ELj64Ell21rocsparse_complex_numIdEEEvT5_PKS3_S5_NS_24const_host_device_scalarIT6_EEPKT4_S5_PKS7_SB_S5_SD_S8_SB_S5_SD_SB_S5_PS7_21rocsparse_index_base_SF_SF_SF_bbb.uses_flat_scratch, 0
	.set _ZN9rocsparseL41csrgemm_numeric_fill_block_per_row_kernelILj1024ELj64ELj32768ELj137ELj64Ell21rocsparse_complex_numIdEEEvT5_PKS3_S5_NS_24const_host_device_scalarIT6_EEPKT4_S5_PKS7_SB_S5_SD_S8_SB_S5_SD_SB_S5_PS7_21rocsparse_index_base_SF_SF_SF_bbb.has_dyn_sized_stack, 0
	.set _ZN9rocsparseL41csrgemm_numeric_fill_block_per_row_kernelILj1024ELj64ELj32768ELj137ELj64Ell21rocsparse_complex_numIdEEEvT5_PKS3_S5_NS_24const_host_device_scalarIT6_EEPKT4_S5_PKS7_SB_S5_SD_S8_SB_S5_SD_SB_S5_PS7_21rocsparse_index_base_SF_SF_SF_bbb.has_recursion, 0
	.set _ZN9rocsparseL41csrgemm_numeric_fill_block_per_row_kernelILj1024ELj64ELj32768ELj137ELj64Ell21rocsparse_complex_numIdEEEvT5_PKS3_S5_NS_24const_host_device_scalarIT6_EEPKT4_S5_PKS7_SB_S5_SD_S8_SB_S5_SD_SB_S5_PS7_21rocsparse_index_base_SF_SF_SF_bbb.has_indirect_call, 0
	.section	.AMDGPU.csdata,"",@progbits
; Kernel info:
; codeLenInByte = 3628
; TotalNumSgprs: 69
; NumVgprs: 38
; NumAgprs: 0
; TotalNumVgprs: 38
; ScratchSize: 40
; MemoryBound: 0
; FloatMode: 240
; IeeeMode: 1
; LDSByteSize: 0 bytes/workgroup (compile time only)
; SGPRBlocks: 8
; VGPRBlocks: 4
; NumSGPRsForWavesPerEU: 69
; NumVGPRsForWavesPerEU: 38
; AccumOffset: 40
; Occupancy: 8
; WaveLimiterHint : 1
; COMPUTE_PGM_RSRC2:SCRATCH_EN: 1
; COMPUTE_PGM_RSRC2:USER_SGPR: 2
; COMPUTE_PGM_RSRC2:TRAP_HANDLER: 0
; COMPUTE_PGM_RSRC2:TGID_X_EN: 1
; COMPUTE_PGM_RSRC2:TGID_Y_EN: 0
; COMPUTE_PGM_RSRC2:TGID_Z_EN: 0
; COMPUTE_PGM_RSRC2:TIDIG_COMP_CNT: 0
; COMPUTE_PGM_RSRC3_GFX90A:ACCUM_OFFSET: 9
; COMPUTE_PGM_RSRC3_GFX90A:TG_SPLIT: 0
	.section	.text._ZN9rocsparseL51csrgemm_numeric_fill_block_per_row_multipass_kernelILj512ELj16ELj2048ELj32Ell21rocsparse_complex_numIdEEEvT4_PKS3_S5_NS_24const_host_device_scalarIT5_EEPKT3_S5_PKS7_SB_S5_SD_S8_SB_S5_SD_SB_S5_PS7_PS9_21rocsparse_index_base_SG_SG_SG_bbb,"axG",@progbits,_ZN9rocsparseL51csrgemm_numeric_fill_block_per_row_multipass_kernelILj512ELj16ELj2048ELj32Ell21rocsparse_complex_numIdEEEvT4_PKS3_S5_NS_24const_host_device_scalarIT5_EEPKT3_S5_PKS7_SB_S5_SD_S8_SB_S5_SD_SB_S5_PS7_PS9_21rocsparse_index_base_SG_SG_SG_bbb,comdat
	.globl	_ZN9rocsparseL51csrgemm_numeric_fill_block_per_row_multipass_kernelILj512ELj16ELj2048ELj32Ell21rocsparse_complex_numIdEEEvT4_PKS3_S5_NS_24const_host_device_scalarIT5_EEPKT3_S5_PKS7_SB_S5_SD_S8_SB_S5_SD_SB_S5_PS7_PS9_21rocsparse_index_base_SG_SG_SG_bbb ; -- Begin function _ZN9rocsparseL51csrgemm_numeric_fill_block_per_row_multipass_kernelILj512ELj16ELj2048ELj32Ell21rocsparse_complex_numIdEEEvT4_PKS3_S5_NS_24const_host_device_scalarIT5_EEPKT3_S5_PKS7_SB_S5_SD_S8_SB_S5_SD_SB_S5_PS7_PS9_21rocsparse_index_base_SG_SG_SG_bbb
	.p2align	8
	.type	_ZN9rocsparseL51csrgemm_numeric_fill_block_per_row_multipass_kernelILj512ELj16ELj2048ELj32Ell21rocsparse_complex_numIdEEEvT4_PKS3_S5_NS_24const_host_device_scalarIT5_EEPKT3_S5_PKS7_SB_S5_SD_S8_SB_S5_SD_SB_S5_PS7_PS9_21rocsparse_index_base_SG_SG_SG_bbb,@function
_ZN9rocsparseL51csrgemm_numeric_fill_block_per_row_multipass_kernelILj512ELj16ELj2048ELj32Ell21rocsparse_complex_numIdEEEvT4_PKS3_S5_NS_24const_host_device_scalarIT5_EEPKT3_S5_PKS7_SB_S5_SD_S8_SB_S5_SD_SB_S5_PS7_PS9_21rocsparse_index_base_SG_SG_SG_bbb: ; @_ZN9rocsparseL51csrgemm_numeric_fill_block_per_row_multipass_kernelILj512ELj16ELj2048ELj32Ell21rocsparse_complex_numIdEEEvT4_PKS3_S5_NS_24const_host_device_scalarIT5_EEPKT3_S5_PKS7_SB_S5_SD_S8_SB_S5_SD_SB_S5_PS7_PS9_21rocsparse_index_base_SG_SG_SG_bbb
; %bb.0:
	s_load_dword s3, s[0:1], 0xb0
	s_load_dwordx8 s[4:11], s[0:1], 0x8
	s_load_dwordx4 s[56:59], s[0:1], 0xa0
	s_load_dwordx4 s[12:15], s[0:1], 0x58
	v_mov_b64_e32 v[6:7], 0
	v_mov_b64_e32 v[4:5], 0
	s_waitcnt lgkmcnt(0)
	s_bitcmp1_b32 s3, 0
	s_cselect_b64 s[16:17], -1, 0
	s_bitcmp1_b32 s3, 16
	s_cselect_b64 s[20:21], -1, 0
	s_xor_b64 s[18:19], s[20:21], -1
	v_mov_b64_e32 v[2:3], s[8:9]
	scratch_store_dwordx2 off, v[2:3], off offset:16
	v_mov_b64_e32 v[2:3], s[12:13]
	s_bitcmp0_b32 s3, 0
	v_mov_b64_e32 v[8:9], 0
	scratch_store_dwordx2 off, v[2:3], off offset:24
	s_cbranch_scc1 .LBB158_3
; %bb.1:
	s_mov_b64 s[22:23], src_private_base
	s_and_b64 s[24:25], s[20:21], exec
	s_cselect_b32 s22, s23, s9
	s_cselect_b32 s23, 16, s8
	v_mov_b32_e32 v2, s23
	v_mov_b32_e32 v3, s22
	flat_load_dwordx2 v[4:5], v[2:3]
	s_andn2_b64 vcc, exec, s[18:19]
	v_mov_b64_e32 v[8:9], s[10:11]
	s_cbranch_vccnz .LBB158_3
; %bb.2:
	v_mov_b64_e32 v[2:3], s[8:9]
	flat_load_dwordx2 v[8:9], v[2:3] offset:8
.LBB158_3:
	s_load_dwordx2 s[8:9], s[0:1], 0x28
	s_bitcmp1_b32 s3, 8
	s_cselect_b64 s[42:43], -1, 0
	s_bfe_u32 s3, s3, 0x10008
	s_cmp_eq_u32 s3, 0
	v_mov_b64_e32 v[10:11], 0
	s_cbranch_scc1 .LBB158_6
; %bb.4:
	s_mov_b64 s[10:11], src_private_base
	s_and_b64 s[20:21], s[20:21], exec
	s_cselect_b32 s3, s11, s13
	s_cselect_b32 s10, 24, s12
	v_mov_b32_e32 v2, s10
	v_mov_b32_e32 v3, s3
	flat_load_dwordx2 v[10:11], v[2:3]
	s_andn2_b64 vcc, exec, s[18:19]
	v_mov_b64_e32 v[6:7], s[14:15]
	s_cbranch_vccnz .LBB158_6
; %bb.5:
	v_mov_b64_e32 v[2:3], s[12:13]
	flat_load_dwordx2 v[6:7], v[2:3] offset:8
.LBB158_6:
	s_load_dwordx2 s[4:5], s[4:5], 0x0
	s_mov_b32 s3, 0
	v_cndmask_b32_e64 v1, 0, 1, s[16:17]
	s_mov_b64 s[64:65], 0
	s_waitcnt lgkmcnt(0)
	s_lshl_b64 s[4:5], s[4:5], 3
	s_add_u32 s4, s6, s4
	s_addc_u32 s5, s7, s5
	s_lshl_b64 s[2:3], s[2:3], 3
	s_add_u32 s2, s4, s2
	s_addc_u32 s3, s5, s3
	s_load_dwordx2 s[6:7], s[2:3], 0x0
	v_cmp_ne_u32_e64 s[2:3], 1, v1
	s_andn2_b64 vcc, exec, s[16:17]
	s_mov_b64 s[4:5], 0
	s_cbranch_vccz .LBB158_9
; %bb.7:
	s_and_b64 vcc, exec, s[2:3]
	s_cbranch_vccz .LBB158_10
.LBB158_8:
	s_load_dwordx2 s[66:67], s[0:1], 0x0
	s_waitcnt lgkmcnt(0)
	v_cmp_lt_i64_e64 s[2:3], s[66:67], 1
	s_and_b64 vcc, exec, s[2:3]
	s_cbranch_vccz .LBB158_11
	s_branch .LBB158_65
.LBB158_9:
	s_waitcnt lgkmcnt(0)
	s_lshl_b64 s[4:5], s[6:7], 3
	s_add_u32 s4, s8, s4
	s_addc_u32 s5, s9, s5
	s_load_dwordx2 s[4:5], s[4:5], 0x0
	s_waitcnt lgkmcnt(0)
	s_sub_u32 s4, s4, s56
	s_subb_u32 s5, s5, 0
	s_and_b64 vcc, exec, s[2:3]
	s_cbranch_vccnz .LBB158_8
.LBB158_10:
	s_waitcnt lgkmcnt(0)
	s_lshl_b64 s[2:3], s[6:7], 3
	s_add_u32 s2, s8, s2
	s_addc_u32 s3, s9, s3
	s_load_dwordx2 s[2:3], s[2:3], 0x8
	s_waitcnt lgkmcnt(0)
	s_sub_u32 s64, s2, s56
	s_subb_u32 s65, s3, 0
	s_load_dwordx2 s[66:67], s[0:1], 0x0
	s_waitcnt lgkmcnt(0)
	v_cmp_lt_i64_e64 s[2:3], s[66:67], 1
	s_and_b64 vcc, exec, s[2:3]
	s_cbranch_vccnz .LBB158_65
.LBB158_11:
	s_load_dwordx8 s[44:51], s[0:1], 0x68
	s_load_dwordx2 s[38:39], s[0:1], 0x50
	s_lshl_b64 s[6:7], s[6:7], 3
	v_lshrrev_b32_e32 v12, 4, v0
	v_mov_b32_e32 v13, 0
	s_waitcnt lgkmcnt(0)
	s_add_u32 s2, s50, s6
	s_addc_u32 s3, s51, s7
	s_load_dwordx2 s[2:3], s[2:3], 0x0
	v_lshl_add_u64 v[14:15], s[4:5], 0, v[12:13]
	v_cmp_gt_i64_e32 vcc, s[64:65], v[14:15]
	s_mov_b32 s33, s57
	s_mov_b32 s57, s59
	s_waitcnt lgkmcnt(0)
	s_sub_u32 s50, s2, s58
	s_subb_u32 s51, s3, 0
	s_add_u32 s44, s44, s6
	s_addc_u32 s45, s45, s7
	v_subrev_co_u32_e64 v16, s[4:5], s59, v0
	s_and_b64 s[58:59], s[16:17], vcc
	s_add_u32 s68, s38, 8
	s_addc_u32 s69, s39, 0
	v_and_b32_e32 v1, 15, v0
	s_add_u32 s38, s48, 8
	v_mov_b32_e32 v12, v1
	v_cmp_eq_u32_e64 s[2:3], 15, v1
	v_mbcnt_lo_u32_b32 v1, -1, 0
	s_addc_u32 s39, s49, 0
	v_mov_b64_e32 v[20:21], s[50:51]
	s_load_dwordx4 s[60:63], s[0:1], 0x90
	s_load_dwordx8 s[48:55], s[0:1], 0x30
	v_mbcnt_hi_u32_b32 v1, -1, v1
	v_subb_co_u32_e64 v17, s[4:5], 0, 0, s[4:5]
	v_sub_u32_e32 v1, 63, v1
	v_lshrrev_b64 v[18:19], v1, -1
	v_lshrrev_b32_e32 v1, 3, v0
	s_movk_i32 s4, 0x1ff
	s_movk_i32 s10, 0x60
	s_movk_i32 s12, 0x80
	s_movk_i32 s14, 0xa0
	s_movk_i32 s16, 0xc0
	s_movk_i32 s18, 0xe0
	s_movk_i32 s20, 0x100
	s_movk_i32 s22, 0x120
	s_movk_i32 s24, 0x140
	s_movk_i32 s26, 0x160
	s_movk_i32 s28, 0x180
	s_movk_i32 s30, 0x1a0
	s_movk_i32 s34, 0x1c0
	s_movk_i32 s36, 0x1e0
                                        ; implicit-def: $vgpr61 : SGPR spill to VGPR lane
	v_cmp_eq_u32_e64 s[40:41], 0, v0
	v_and_b32_e32 v46, 60, v1
	v_cmp_eq_u32_e64 s[4:5], s4, v0
	v_cmp_gt_u32_e64 s[6:7], 32, v0
	v_cmp_gt_u32_e64 s[8:9], 64, v0
	;; [unrolled: 1-line block ×15, first 2 shown]
	v_or_b32_e32 v47, 0xfffffe00, v0
	v_lshlrev_b32_e32 v48, 4, v0
	v_writelane_b32 v61, s38, 0
	v_mov_b64_e32 v[22:23], 0
	v_mov_b64_e32 v[24:25], 0x800
	v_mov_b32_e32 v50, v13
	v_mov_b32_e32 v51, v13
	v_mov_b32_e32 v52, v13
	v_mov_b32_e32 v53, v13
	s_movk_i32 s70, 0x5ff
	v_mov_b64_e32 v[54:55], s[66:67]
	v_mov_b32_e32 v49, 1
	s_mov_b64 s[72:73], 0x80
	s_mov_b64 s[74:75], 0x100
	;; [unrolled: 1-line block ×6, first 2 shown]
	v_writelane_b32 v61, s39, 1
	s_branch .LBB158_13
.LBB158_12:                             ;   in Loop: Header=BB158_13 Depth=1
	s_or_b64 exec, exec, s[0:1]
	ds_read_b64 v[22:23], v13 offset:34816
	s_waitcnt lgkmcnt(0)
	s_barrier
	v_cmp_le_i64_e32 vcc, s[66:67], v[22:23]
	v_lshl_add_u64 v[24:25], v[22:23], 0, s[82:83]
	s_cbranch_vccnz .LBB158_65
.LBB158_13:                             ; =>This Loop Header: Depth=1
                                        ;     Child Loop BB158_14 Depth 2
                                        ;     Child Loop BB158_20 Depth 2
                                        ;       Child Loop BB158_28 Depth 3
                                        ;     Child Loop BB158_44 Depth 2
                                        ;     Child Loop BB158_56 Depth 2
	;; [unrolled: 1-line block ×3, first 2 shown]
	s_mov_b64 s[0:1], 0
	v_mov_b32_e32 v0, v48
	v_mov_b32_e32 v1, v47
.LBB158_14:                             ;   Parent Loop BB158_13 Depth=1
                                        ; =>  This Inner Loop Header: Depth=2
	ds_write_b8 v1, v13 offset:33280
	ds_write_b128 v0, v[50:53]
	v_add_u32_e32 v1, 0x200, v1
	v_cmp_lt_u32_e32 vcc, s70, v1
	s_or_b64 s[0:1], vcc, s[0:1]
	v_add_u32_e32 v0, 0x2000, v0
	s_andn2_b64 exec, exec, s[0:1]
	s_cbranch_execnz .LBB158_14
; %bb.15:                               ;   in Loop: Header=BB158_13 Depth=1
	s_or_b64 exec, exec, s[0:1]
	s_and_saveexec_b64 s[0:1], s[40:41]
; %bb.16:                               ;   in Loop: Header=BB158_13 Depth=1
	ds_write_b64 v13, v[54:55] offset:34816
; %bb.17:                               ;   in Loop: Header=BB158_13 Depth=1
	s_or_b64 exec, exec, s[0:1]
	v_mov_b64_e32 v[26:27], s[66:67]
	s_waitcnt lgkmcnt(0)
	s_barrier
	s_and_saveexec_b64 s[84:85], s[58:59]
	s_cbranch_execz .LBB158_40
; %bb.18:                               ;   in Loop: Header=BB158_13 Depth=1
	s_mov_b64 s[86:87], 0
	v_cmp_ne_u64_e64 s[38:39], 0, v[22:23]
	v_mov_b64_e32 v[26:27], s[66:67]
	v_mov_b64_e32 v[28:29], v[14:15]
	s_branch .LBB158_20
.LBB158_19:                             ;   in Loop: Header=BB158_20 Depth=2
	s_or_b64 exec, exec, s[0:1]
	v_lshl_add_u64 v[28:29], v[28:29], 0, 32
	v_cmp_le_i64_e32 vcc, s[64:65], v[28:29]
	s_or_b64 s[86:87], vcc, s[86:87]
	s_andn2_b64 exec, exec, s[86:87]
	s_cbranch_execz .LBB158_39
.LBB158_20:                             ;   Parent Loop BB158_13 Depth=1
                                        ; =>  This Loop Header: Depth=2
                                        ;       Child Loop BB158_28 Depth 3
	v_lshl_add_u64 v[0:1], v[28:29], 3, s[48:49]
	global_load_dwordx2 v[34:35], v[0:1], off
	v_lshl_add_u64 v[0:1], v[28:29], 4, s[50:51]
	global_load_dwordx4 v[0:3], v[0:1], off
	s_and_b64 vcc, exec, s[38:39]
	v_lshl_add_u64 v[30:31], v[28:29], 3, s[62:63]
	s_cbranch_vccz .LBB158_22
; %bb.21:                               ;   in Loop: Header=BB158_20 Depth=2
	global_load_dwordx2 v[32:33], v[30:31], off
	s_mov_b64 s[0:1], 0
	s_branch .LBB158_23
.LBB158_22:                             ;   in Loop: Header=BB158_20 Depth=2
	s_mov_b64 s[0:1], -1
                                        ; implicit-def: $vgpr32_vgpr33
.LBB158_23:                             ;   in Loop: Header=BB158_20 Depth=2
	s_waitcnt vmcnt(0)
	v_subrev_co_u32_e32 v34, vcc, s56, v34
	s_nop 1
	v_subbrev_co_u32_e32 v35, vcc, 0, v35, vcc
	s_andn2_b64 vcc, exec, s[0:1]
	v_lshl_add_u64 v[34:35], v[34:35], 3, s[52:53]
	s_cbranch_vccnz .LBB158_25
; %bb.24:                               ;   in Loop: Header=BB158_20 Depth=2
	global_load_dwordx2 v[32:33], v[34:35], off
	s_waitcnt vmcnt(0)
	v_subrev_co_u32_e32 v32, vcc, s33, v32
	s_nop 1
	v_subbrev_co_u32_e32 v33, vcc, 0, v33, vcc
.LBB158_25:                             ;   in Loop: Header=BB158_20 Depth=2
	global_load_dwordx2 v[34:35], v[34:35], off offset:8
	v_lshl_add_u64 v[32:33], v[32:33], 0, v[12:13]
	s_waitcnt vmcnt(0)
	v_subrev_co_u32_e32 v34, vcc, s33, v34
	s_nop 1
	v_subbrev_co_u32_e32 v35, vcc, 0, v35, vcc
	v_cmp_lt_i64_e32 vcc, v[32:33], v[34:35]
	s_and_saveexec_b64 s[88:89], vcc
	s_cbranch_execz .LBB158_37
; %bb.26:                               ;   in Loop: Header=BB158_20 Depth=2
	v_mul_f64 v[36:37], v[2:3], -v[8:9]
	v_mul_f64 v[2:3], v[4:5], v[2:3]
	v_fmac_f64_e32 v[36:37], v[4:5], v[0:1]
	v_fmac_f64_e32 v[2:3], v[8:9], v[0:1]
	v_lshl_add_u64 v[0:1], v[32:33], 3, s[54:55]
	v_lshl_add_u64 v[40:41], v[32:33], 4, s[68:69]
	s_mov_b64 s[92:93], 0
	v_mov_b64_e32 v[44:45], v[32:33]
                                        ; implicit-def: $sgpr90_sgpr91
                                        ; implicit-def: $sgpr94_sgpr95
	s_branch .LBB158_28
.LBB158_27:                             ;   in Loop: Header=BB158_28 Depth=3
	s_or_b64 exec, exec, s[98:99]
	s_and_b64 s[0:1], exec, s[96:97]
	s_or_b64 s[92:93], s[0:1], s[92:93]
	s_andn2_b64 s[0:1], s[90:91], exec
	s_and_b64 s[90:91], s[94:95], exec
	s_or_b64 s[90:91], s[0:1], s[90:91]
	s_andn2_b64 exec, exec, s[92:93]
	s_cbranch_execz .LBB158_34
.LBB158_28:                             ;   Parent Loop BB158_13 Depth=1
                                        ;     Parent Loop BB158_20 Depth=2
                                        ; =>    This Inner Loop Header: Depth=3
	global_load_dwordx2 v[42:43], v[0:1], off
	v_mov_b64_e32 v[38:39], v[44:45]
	s_waitcnt vmcnt(0)
	v_subrev_co_u32_e32 v42, vcc, s33, v42
	s_nop 1
	v_subbrev_co_u32_e32 v43, vcc, 0, v43, vcc
	v_cmp_lt_i64_e32 vcc, v[42:43], v[22:23]
	v_cmp_ge_i64_e64 s[0:1], v[42:43], v[24:25]
	s_or_b64 s[96:97], vcc, s[0:1]
	s_mov_b64 s[0:1], 0
	s_and_saveexec_b64 s[98:99], s[96:97]
	s_xor_b64 s[96:97], exec, s[98:99]
; %bb.29:                               ;   in Loop: Header=BB158_28 Depth=3
	v_cmp_lt_i64_e32 vcc, v[42:43], v[24:25]
	s_and_b64 s[0:1], vcc, exec
; %bb.30:                               ;   in Loop: Header=BB158_28 Depth=3
	s_andn2_saveexec_b64 s[96:97], s[96:97]
	s_cbranch_execz .LBB158_32
; %bb.31:                               ;   in Loop: Header=BB158_28 Depth=3
	global_load_dwordx4 v[56:59], v[40:41], off offset:-8
	v_sub_u32_e32 v44, v42, v22
	ds_write_b8 v44, v49 offset:32768
	v_lshlrev_b32_e32 v60, 4, v44
	s_or_b64 s[0:1], s[0:1], exec
	s_waitcnt vmcnt(0)
	v_mul_f64 v[44:45], v[58:59], -v[2:3]
	v_mul_f64 v[58:59], v[36:37], v[58:59]
	v_fmac_f64_e32 v[44:45], v[36:37], v[56:57]
	v_fmac_f64_e32 v[58:59], v[2:3], v[56:57]
	ds_add_f64 v60, v[44:45]
	ds_add_f64 v60, v[58:59] offset:8
.LBB158_32:                             ;   in Loop: Header=BB158_28 Depth=3
	s_or_b64 exec, exec, s[96:97]
	s_mov_b64 s[96:97], -1
	s_or_b64 s[94:95], s[94:95], exec
                                        ; implicit-def: $vgpr44_vgpr45
	s_and_saveexec_b64 s[98:99], s[0:1]
	s_cbranch_execz .LBB158_27
; %bb.33:                               ;   in Loop: Header=BB158_28 Depth=3
	v_lshl_add_u64 v[44:45], v[38:39], 0, 16
	v_cmp_ge_i64_e32 vcc, v[44:45], v[34:35]
	v_lshl_add_u64 v[0:1], v[0:1], 0, s[72:73]
	v_lshl_add_u64 v[40:41], v[40:41], 0, s[74:75]
	s_andn2_b64 s[94:95], s[94:95], exec
	s_orn2_b64 s[96:97], vcc, exec
	s_branch .LBB158_27
.LBB158_34:                             ;   in Loop: Header=BB158_20 Depth=2
	s_or_b64 exec, exec, s[92:93]
	s_and_saveexec_b64 s[0:1], s[90:91]
	s_xor_b64 s[0:1], exec, s[0:1]
; %bb.35:                               ;   in Loop: Header=BB158_20 Depth=2
	v_cmp_lt_i64_e32 vcc, v[42:43], v[26:27]
	v_mov_b64_e32 v[32:33], v[38:39]
	s_nop 0
	v_cndmask_b32_e32 v27, v27, v43, vcc
	v_cndmask_b32_e32 v26, v26, v42, vcc
; %bb.36:                               ;   in Loop: Header=BB158_20 Depth=2
	s_or_b64 exec, exec, s[0:1]
.LBB158_37:                             ;   in Loop: Header=BB158_20 Depth=2
	s_or_b64 exec, exec, s[88:89]
	v_mov_b32_dpp v0, v32 row_shr:1 row_mask:0xf bank_mask:0xf
	v_mov_b32_dpp v1, v33 row_shr:1 row_mask:0xf bank_mask:0xf
	v_cmp_lt_i64_e32 vcc, v[0:1], v[32:33]
	s_nop 1
	v_cndmask_b32_e32 v1, v33, v1, vcc
	v_cndmask_b32_e32 v0, v32, v0, vcc
	s_nop 0
	v_mov_b32_dpp v3, v1 row_shr:2 row_mask:0xf bank_mask:0xf
	v_mov_b32_dpp v2, v0 row_shr:2 row_mask:0xf bank_mask:0xf
	v_cmp_lt_i64_e32 vcc, v[2:3], v[0:1]
	s_nop 1
	v_cndmask_b32_e32 v1, v1, v3, vcc
	v_cndmask_b32_e32 v0, v0, v2, vcc
	s_nop 0
	;; [unrolled: 7-line block ×3, first 2 shown]
	v_mov_b32_dpp v32, v1 row_shr:8 row_mask:0xf bank_mask:0xc
	v_mov_b32_dpp v2, v0 row_shr:8 row_mask:0xf bank_mask:0xc
	s_and_saveexec_b64 s[0:1], s[2:3]
	s_cbranch_execz .LBB158_19
; %bb.38:                               ;   in Loop: Header=BB158_20 Depth=2
	v_mov_b32_e32 v3, v32
	v_cmp_lt_i64_e32 vcc, v[2:3], v[0:1]
	s_nop 1
	v_cndmask_b32_e32 v1, v1, v32, vcc
	v_cndmask_b32_e32 v0, v0, v2, vcc
	global_store_dwordx2 v[30:31], v[0:1], off
	s_branch .LBB158_19
.LBB158_39:                             ;   in Loop: Header=BB158_13 Depth=1
	s_or_b64 exec, exec, s[86:87]
.LBB158_40:                             ;   in Loop: Header=BB158_13 Depth=1
	s_or_b64 exec, exec, s[84:85]
	s_andn2_b64 vcc, exec, s[42:43]
	s_cbranch_vccnz .LBB158_54
; %bb.41:                               ;   in Loop: Header=BB158_13 Depth=1
	s_load_dwordx4 s[88:91], s[44:45], 0x0
	s_waitcnt lgkmcnt(0)
	s_sub_u32 s84, s90, s57
	s_subb_u32 s85, s91, 0
	v_lshl_add_u64 v[0:1], s[88:89], 0, v[16:17]
	v_cmp_gt_i64_e32 vcc, s[84:85], v[0:1]
	s_and_saveexec_b64 s[38:39], vcc
	s_cbranch_execz .LBB158_53
; %bb.42:                               ;   in Loop: Header=BB158_13 Depth=1
	v_readlane_b32 s0, v61, 0
	v_readlane_b32 s1, v61, 1
	v_lshl_add_u64 v[2:3], v[0:1], 3, s[46:47]
	s_mov_b64 s[86:87], 0
	v_lshl_add_u64 v[28:29], v[0:1], 4, s[0:1]
                                        ; implicit-def: $sgpr88_sgpr89
                                        ; implicit-def: $sgpr90_sgpr91
	s_branch .LBB158_44
.LBB158_43:                             ;   in Loop: Header=BB158_44 Depth=2
	s_or_b64 exec, exec, s[94:95]
	s_and_b64 s[0:1], exec, s[92:93]
	s_or_b64 s[86:87], s[0:1], s[86:87]
	s_andn2_b64 s[0:1], s[88:89], exec
	s_and_b64 s[88:89], s[90:91], exec
	s_or_b64 s[88:89], s[0:1], s[88:89]
	s_andn2_b64 exec, exec, s[86:87]
	s_cbranch_execz .LBB158_50
.LBB158_44:                             ;   Parent Loop BB158_13 Depth=1
                                        ; =>  This Inner Loop Header: Depth=2
	global_load_dwordx2 v[30:31], v[2:3], off
	s_waitcnt vmcnt(0)
	v_subrev_co_u32_e32 v30, vcc, s57, v30
	s_nop 1
	v_subbrev_co_u32_e32 v31, vcc, 0, v31, vcc
	v_cmp_lt_i64_e32 vcc, v[30:31], v[22:23]
	v_cmp_ge_i64_e64 s[0:1], v[30:31], v[24:25]
	s_or_b64 s[92:93], vcc, s[0:1]
	s_mov_b64 s[0:1], 0
	s_and_saveexec_b64 s[94:95], s[92:93]
	s_xor_b64 s[92:93], exec, s[94:95]
; %bb.45:                               ;   in Loop: Header=BB158_44 Depth=2
	v_cmp_lt_i64_e32 vcc, v[30:31], v[24:25]
	s_and_b64 s[0:1], vcc, exec
; %bb.46:                               ;   in Loop: Header=BB158_44 Depth=2
	s_andn2_saveexec_b64 s[92:93], s[92:93]
	s_cbranch_execz .LBB158_48
; %bb.47:                               ;   in Loop: Header=BB158_44 Depth=2
	global_load_dwordx4 v[32:35], v[28:29], off offset:-8
	v_sub_u32_e32 v36, v30, v22
	ds_write_b8 v36, v49 offset:32768
	v_lshlrev_b32_e32 v38, 4, v36
	s_or_b64 s[0:1], s[0:1], exec
	s_waitcnt vmcnt(0)
	v_mul_f64 v[36:37], v[34:35], -v[6:7]
	v_mul_f64 v[34:35], v[10:11], v[34:35]
	v_fmac_f64_e32 v[36:37], v[10:11], v[32:33]
	v_fmac_f64_e32 v[34:35], v[6:7], v[32:33]
	ds_add_f64 v38, v[36:37]
	ds_add_f64 v38, v[34:35] offset:8
.LBB158_48:                             ;   in Loop: Header=BB158_44 Depth=2
	s_or_b64 exec, exec, s[92:93]
	s_mov_b64 s[92:93], -1
	s_or_b64 s[90:91], s[90:91], exec
	s_and_saveexec_b64 s[94:95], s[0:1]
	s_cbranch_execz .LBB158_43
; %bb.49:                               ;   in Loop: Header=BB158_44 Depth=2
	v_lshl_add_u64 v[0:1], v[0:1], 0, s[76:77]
	v_cmp_le_i64_e32 vcc, s[84:85], v[0:1]
	v_lshl_add_u64 v[2:3], v[2:3], 0, s[78:79]
	v_lshl_add_u64 v[28:29], v[28:29], 0, s[80:81]
	s_andn2_b64 s[90:91], s[90:91], exec
	s_orn2_b64 s[92:93], vcc, exec
	s_branch .LBB158_43
.LBB158_50:                             ;   in Loop: Header=BB158_13 Depth=1
	s_or_b64 exec, exec, s[86:87]
	s_and_saveexec_b64 s[0:1], s[88:89]
	s_xor_b64 s[0:1], exec, s[0:1]
; %bb.51:                               ;   in Loop: Header=BB158_13 Depth=1
	v_cmp_lt_i64_e32 vcc, v[30:31], v[26:27]
	s_nop 1
	v_cndmask_b32_e32 v27, v27, v31, vcc
	v_cndmask_b32_e32 v26, v26, v30, vcc
; %bb.52:                               ;   in Loop: Header=BB158_13 Depth=1
	s_or_b64 exec, exec, s[0:1]
.LBB158_53:                             ;   in Loop: Header=BB158_13 Depth=1
	s_or_b64 exec, exec, s[38:39]
.LBB158_54:                             ;   in Loop: Header=BB158_13 Depth=1
	v_mov_b32_dpp v0, v26 row_shr:1 row_mask:0xf bank_mask:0xf
	v_mov_b32_dpp v1, v27 row_shr:1 row_mask:0xf bank_mask:0xf
	v_cmp_lt_i64_e32 vcc, v[0:1], v[26:27]
	s_nop 1
	v_cndmask_b32_e32 v1, v27, v1, vcc
	v_cndmask_b32_e32 v0, v26, v0, vcc
	s_nop 0
	v_mov_b32_dpp v3, v1 row_shr:2 row_mask:0xf bank_mask:0xf
	v_mov_b32_dpp v2, v0 row_shr:2 row_mask:0xf bank_mask:0xf
	v_cmp_lt_i64_e32 vcc, v[2:3], v[0:1]
	s_nop 1
	v_cndmask_b32_e32 v1, v1, v3, vcc
	v_cndmask_b32_e32 v0, v0, v2, vcc
	s_nop 0
	;; [unrolled: 7-line block ×3, first 2 shown]
	v_mov_b32_dpp v22, v1 row_shr:8 row_mask:0xf bank_mask:0xc
	v_mov_b32_dpp v2, v0 row_shr:8 row_mask:0xf bank_mask:0xc
	s_and_saveexec_b64 s[0:1], s[2:3]
	s_cbranch_execz .LBB158_59
; %bb.55:                               ;   in Loop: Header=BB158_13 Depth=1
	v_mov_b32_e32 v3, v22
	v_cmp_lt_i64_e32 vcc, v[2:3], v[0:1]
	s_mov_b64 s[84:85], exec
	s_mov_b64 s[38:39], -1
	v_cndmask_b32_e32 v1, v1, v22, vcc
	v_cndmask_b32_e32 v0, v0, v2, vcc
.LBB158_56:                             ;   Parent Loop BB158_13 Depth=1
                                        ; =>  This Inner Loop Header: Depth=2
	s_ff1_i32_b64 s71, s[84:85]
	v_readlane_b32 s88, v1, s71
	v_readlane_b32 s89, v0, s71
	s_nop 0
	v_mov_b32_e32 v3, s88
	v_mov_b32_e32 v2, s89
	v_cmp_lt_u64_e32 vcc, s[38:39], v[2:3]
	s_and_b64 s[86:87], vcc, exec
	s_cselect_b32 s39, s39, s88
	s_cselect_b32 s38, s38, s89
	s_lshl_b64 s[86:87], 1, s71
	s_andn2_b64 s[84:85], s[84:85], s[86:87]
	s_cmp_lg_u64 s[84:85], 0
	s_cbranch_scc1 .LBB158_56
; %bb.57:                               ;   in Loop: Header=BB158_13 Depth=1
	v_mbcnt_lo_u32_b32 v0, exec_lo, 0
	v_mbcnt_hi_u32_b32 v0, exec_hi, v0
	v_cmp_eq_u32_e32 vcc, 0, v0
	s_and_saveexec_b64 s[84:85], vcc
	s_xor_b64 s[84:85], exec, s[84:85]
; %bb.58:                               ;   in Loop: Header=BB158_13 Depth=1
	v_mov_b64_e32 v[0:1], s[38:39]
	ds_min_u64 v13, v[0:1] offset:34816
.LBB158_59:                             ;   in Loop: Header=BB158_13 Depth=1
	s_or_b64 exec, exec, s[0:1]
	s_mov_b64 s[0:1], 0
	v_mov_b32_e32 v2, v48
	v_mov_b32_e32 v3, v47
	s_waitcnt lgkmcnt(0)
	s_barrier
	s_branch .LBB158_61
.LBB158_60:                             ;   in Loop: Header=BB158_61 Depth=2
	s_or_b64 exec, exec, s[38:39]
	s_waitcnt lgkmcnt(0)
	s_barrier
	ds_read_b32 v0, v13 offset:60
	v_add_u32_e32 v3, 0x200, v3
	v_cmp_lt_u32_e32 vcc, s70, v3
	s_or_b64 s[0:1], vcc, s[0:1]
	v_add_u32_e32 v2, 0x2000, v2
	s_waitcnt lgkmcnt(0)
	v_ashrrev_i32_e32 v1, 31, v0
	v_lshl_add_u64 v[20:21], v[20:21], 0, v[0:1]
	s_andn2_b64 exec, exec, s[0:1]
	s_cbranch_execz .LBB158_12
.LBB158_61:                             ;   Parent Loop BB158_13 Depth=1
                                        ; =>  This Inner Loop Header: Depth=2
	ds_read2_b64 v[22:25], v2 offset1:1
	ds_read_u8 v1, v3 offset:33280
	s_waitcnt lgkmcnt(0)
	scratch_store_dwordx4 off, v[22:25], off
	v_cmp_ne_u16_e32 vcc, 0, v1
	s_bcnt1_i32_b64 s38, vcc
	s_nop 0
	v_and_b32_e32 v22, vcc_lo, v18
	v_bcnt_u32_b32 v26, v22, 0
	v_mov_b32_e32 v22, s38
	s_barrier
	ds_write_b32 v46, v22
	s_waitcnt lgkmcnt(0)
	s_barrier
	ds_read_b128 v[22:25], v13
	v_and_b32_e32 v0, vcc_hi, v19
	v_bcnt_u32_b32 v0, v0, v26
	ds_read_b128 v[26:29], v13 offset:16
	ds_read_b128 v[30:33], v13 offset:32
	ds_read_b96 v[34:36], v13 offset:48
	v_and_b32_e32 v1, 1, v1
	s_waitcnt lgkmcnt(0)
	v_cndmask_b32_e64 v22, v22, 0, s[6:7]
	v_add_u32_e32 v0, v22, v0
	v_cndmask_b32_e64 v22, v23, 0, s[8:9]
	v_cndmask_b32_e64 v23, v24, 0, s[10:11]
	v_add3_u32 v0, v0, v22, v23
	v_cndmask_b32_e64 v22, v25, 0, s[12:13]
	v_cndmask_b32_e64 v23, v26, 0, s[14:15]
	v_add3_u32 v0, v0, v22, v23
	;; [unrolled: 3-line block ×7, first 2 shown]
	v_cmp_eq_u32_e32 vcc, 1, v1
	s_and_saveexec_b64 s[38:39], vcc
	s_cbranch_execz .LBB158_63
; %bb.62:                               ;   in Loop: Header=BB158_61 Depth=2
	scratch_load_dwordx4 v[22:25], off, off
	v_lshl_add_u64 v[26:27], v[20:21], 4, s[60:61]
	v_ashrrev_i32_e32 v1, 31, v0
	v_lshl_add_u64 v[26:27], v[0:1], 4, v[26:27]
	s_waitcnt vmcnt(0)
	global_store_dwordx4 v[26:27], v[22:25], off offset:-16
.LBB158_63:                             ;   in Loop: Header=BB158_61 Depth=2
	s_or_b64 exec, exec, s[38:39]
	s_and_saveexec_b64 s[38:39], s[4:5]
	s_cbranch_execz .LBB158_60
; %bb.64:                               ;   in Loop: Header=BB158_61 Depth=2
	ds_write_b32 v13, v0 offset:60
	s_branch .LBB158_60
.LBB158_65:
	s_endpgm
	.section	.rodata,"a",@progbits
	.p2align	6, 0x0
	.amdhsa_kernel _ZN9rocsparseL51csrgemm_numeric_fill_block_per_row_multipass_kernelILj512ELj16ELj2048ELj32Ell21rocsparse_complex_numIdEEEvT4_PKS3_S5_NS_24const_host_device_scalarIT5_EEPKT3_S5_PKS7_SB_S5_SD_S8_SB_S5_SD_SB_S5_PS7_PS9_21rocsparse_index_base_SG_SG_SG_bbb
		.amdhsa_group_segment_fixed_size 34824
		.amdhsa_private_segment_fixed_size 40
		.amdhsa_kernarg_size 180
		.amdhsa_user_sgpr_count 2
		.amdhsa_user_sgpr_dispatch_ptr 0
		.amdhsa_user_sgpr_queue_ptr 0
		.amdhsa_user_sgpr_kernarg_segment_ptr 1
		.amdhsa_user_sgpr_dispatch_id 0
		.amdhsa_user_sgpr_kernarg_preload_length 0
		.amdhsa_user_sgpr_kernarg_preload_offset 0
		.amdhsa_user_sgpr_private_segment_size 0
		.amdhsa_uses_dynamic_stack 0
		.amdhsa_enable_private_segment 1
		.amdhsa_system_sgpr_workgroup_id_x 1
		.amdhsa_system_sgpr_workgroup_id_y 0
		.amdhsa_system_sgpr_workgroup_id_z 0
		.amdhsa_system_sgpr_workgroup_info 0
		.amdhsa_system_vgpr_workitem_id 0
		.amdhsa_next_free_vgpr 62
		.amdhsa_next_free_sgpr 100
		.amdhsa_accum_offset 64
		.amdhsa_reserve_vcc 1
		.amdhsa_float_round_mode_32 0
		.amdhsa_float_round_mode_16_64 0
		.amdhsa_float_denorm_mode_32 3
		.amdhsa_float_denorm_mode_16_64 3
		.amdhsa_dx10_clamp 1
		.amdhsa_ieee_mode 1
		.amdhsa_fp16_overflow 0
		.amdhsa_tg_split 0
		.amdhsa_exception_fp_ieee_invalid_op 0
		.amdhsa_exception_fp_denorm_src 0
		.amdhsa_exception_fp_ieee_div_zero 0
		.amdhsa_exception_fp_ieee_overflow 0
		.amdhsa_exception_fp_ieee_underflow 0
		.amdhsa_exception_fp_ieee_inexact 0
		.amdhsa_exception_int_div_zero 0
	.end_amdhsa_kernel
	.section	.text._ZN9rocsparseL51csrgemm_numeric_fill_block_per_row_multipass_kernelILj512ELj16ELj2048ELj32Ell21rocsparse_complex_numIdEEEvT4_PKS3_S5_NS_24const_host_device_scalarIT5_EEPKT3_S5_PKS7_SB_S5_SD_S8_SB_S5_SD_SB_S5_PS7_PS9_21rocsparse_index_base_SG_SG_SG_bbb,"axG",@progbits,_ZN9rocsparseL51csrgemm_numeric_fill_block_per_row_multipass_kernelILj512ELj16ELj2048ELj32Ell21rocsparse_complex_numIdEEEvT4_PKS3_S5_NS_24const_host_device_scalarIT5_EEPKT3_S5_PKS7_SB_S5_SD_S8_SB_S5_SD_SB_S5_PS7_PS9_21rocsparse_index_base_SG_SG_SG_bbb,comdat
.Lfunc_end158:
	.size	_ZN9rocsparseL51csrgemm_numeric_fill_block_per_row_multipass_kernelILj512ELj16ELj2048ELj32Ell21rocsparse_complex_numIdEEEvT4_PKS3_S5_NS_24const_host_device_scalarIT5_EEPKT3_S5_PKS7_SB_S5_SD_S8_SB_S5_SD_SB_S5_PS7_PS9_21rocsparse_index_base_SG_SG_SG_bbb, .Lfunc_end158-_ZN9rocsparseL51csrgemm_numeric_fill_block_per_row_multipass_kernelILj512ELj16ELj2048ELj32Ell21rocsparse_complex_numIdEEEvT4_PKS3_S5_NS_24const_host_device_scalarIT5_EEPKT3_S5_PKS7_SB_S5_SD_S8_SB_S5_SD_SB_S5_PS7_PS9_21rocsparse_index_base_SG_SG_SG_bbb
                                        ; -- End function
	.set _ZN9rocsparseL51csrgemm_numeric_fill_block_per_row_multipass_kernelILj512ELj16ELj2048ELj32Ell21rocsparse_complex_numIdEEEvT4_PKS3_S5_NS_24const_host_device_scalarIT5_EEPKT3_S5_PKS7_SB_S5_SD_S8_SB_S5_SD_SB_S5_PS7_PS9_21rocsparse_index_base_SG_SG_SG_bbb.num_vgpr, 62
	.set _ZN9rocsparseL51csrgemm_numeric_fill_block_per_row_multipass_kernelILj512ELj16ELj2048ELj32Ell21rocsparse_complex_numIdEEEvT4_PKS3_S5_NS_24const_host_device_scalarIT5_EEPKT3_S5_PKS7_SB_S5_SD_S8_SB_S5_SD_SB_S5_PS7_PS9_21rocsparse_index_base_SG_SG_SG_bbb.num_agpr, 0
	.set _ZN9rocsparseL51csrgemm_numeric_fill_block_per_row_multipass_kernelILj512ELj16ELj2048ELj32Ell21rocsparse_complex_numIdEEEvT4_PKS3_S5_NS_24const_host_device_scalarIT5_EEPKT3_S5_PKS7_SB_S5_SD_S8_SB_S5_SD_SB_S5_PS7_PS9_21rocsparse_index_base_SG_SG_SG_bbb.numbered_sgpr, 100
	.set _ZN9rocsparseL51csrgemm_numeric_fill_block_per_row_multipass_kernelILj512ELj16ELj2048ELj32Ell21rocsparse_complex_numIdEEEvT4_PKS3_S5_NS_24const_host_device_scalarIT5_EEPKT3_S5_PKS7_SB_S5_SD_S8_SB_S5_SD_SB_S5_PS7_PS9_21rocsparse_index_base_SG_SG_SG_bbb.num_named_barrier, 0
	.set _ZN9rocsparseL51csrgemm_numeric_fill_block_per_row_multipass_kernelILj512ELj16ELj2048ELj32Ell21rocsparse_complex_numIdEEEvT4_PKS3_S5_NS_24const_host_device_scalarIT5_EEPKT3_S5_PKS7_SB_S5_SD_S8_SB_S5_SD_SB_S5_PS7_PS9_21rocsparse_index_base_SG_SG_SG_bbb.private_seg_size, 40
	.set _ZN9rocsparseL51csrgemm_numeric_fill_block_per_row_multipass_kernelILj512ELj16ELj2048ELj32Ell21rocsparse_complex_numIdEEEvT4_PKS3_S5_NS_24const_host_device_scalarIT5_EEPKT3_S5_PKS7_SB_S5_SD_S8_SB_S5_SD_SB_S5_PS7_PS9_21rocsparse_index_base_SG_SG_SG_bbb.uses_vcc, 1
	.set _ZN9rocsparseL51csrgemm_numeric_fill_block_per_row_multipass_kernelILj512ELj16ELj2048ELj32Ell21rocsparse_complex_numIdEEEvT4_PKS3_S5_NS_24const_host_device_scalarIT5_EEPKT3_S5_PKS7_SB_S5_SD_S8_SB_S5_SD_SB_S5_PS7_PS9_21rocsparse_index_base_SG_SG_SG_bbb.uses_flat_scratch, 0
	.set _ZN9rocsparseL51csrgemm_numeric_fill_block_per_row_multipass_kernelILj512ELj16ELj2048ELj32Ell21rocsparse_complex_numIdEEEvT4_PKS3_S5_NS_24const_host_device_scalarIT5_EEPKT3_S5_PKS7_SB_S5_SD_S8_SB_S5_SD_SB_S5_PS7_PS9_21rocsparse_index_base_SG_SG_SG_bbb.has_dyn_sized_stack, 0
	.set _ZN9rocsparseL51csrgemm_numeric_fill_block_per_row_multipass_kernelILj512ELj16ELj2048ELj32Ell21rocsparse_complex_numIdEEEvT4_PKS3_S5_NS_24const_host_device_scalarIT5_EEPKT3_S5_PKS7_SB_S5_SD_S8_SB_S5_SD_SB_S5_PS7_PS9_21rocsparse_index_base_SG_SG_SG_bbb.has_recursion, 0
	.set _ZN9rocsparseL51csrgemm_numeric_fill_block_per_row_multipass_kernelILj512ELj16ELj2048ELj32Ell21rocsparse_complex_numIdEEEvT4_PKS3_S5_NS_24const_host_device_scalarIT5_EEPKT3_S5_PKS7_SB_S5_SD_S8_SB_S5_SD_SB_S5_PS7_PS9_21rocsparse_index_base_SG_SG_SG_bbb.has_indirect_call, 0
	.section	.AMDGPU.csdata,"",@progbits
; Kernel info:
; codeLenInByte = 2940
; TotalNumSgprs: 106
; NumVgprs: 62
; NumAgprs: 0
; TotalNumVgprs: 62
; ScratchSize: 40
; MemoryBound: 0
; FloatMode: 240
; IeeeMode: 1
; LDSByteSize: 34824 bytes/workgroup (compile time only)
; SGPRBlocks: 13
; VGPRBlocks: 7
; NumSGPRsForWavesPerEU: 106
; NumVGPRsForWavesPerEU: 62
; AccumOffset: 64
; Occupancy: 7
; WaveLimiterHint : 1
; COMPUTE_PGM_RSRC2:SCRATCH_EN: 1
; COMPUTE_PGM_RSRC2:USER_SGPR: 2
; COMPUTE_PGM_RSRC2:TRAP_HANDLER: 0
; COMPUTE_PGM_RSRC2:TGID_X_EN: 1
; COMPUTE_PGM_RSRC2:TGID_Y_EN: 0
; COMPUTE_PGM_RSRC2:TGID_Z_EN: 0
; COMPUTE_PGM_RSRC2:TIDIG_COMP_CNT: 0
; COMPUTE_PGM_RSRC3_GFX90A:ACCUM_OFFSET: 15
; COMPUTE_PGM_RSRC3_GFX90A:TG_SPLIT: 0
	.section	.text._ZN9rocsparseL51csrgemm_numeric_fill_block_per_row_multipass_kernelILj512ELj16ELj2048ELj64Ell21rocsparse_complex_numIdEEEvT4_PKS3_S5_NS_24const_host_device_scalarIT5_EEPKT3_S5_PKS7_SB_S5_SD_S8_SB_S5_SD_SB_S5_PS7_PS9_21rocsparse_index_base_SG_SG_SG_bbb,"axG",@progbits,_ZN9rocsparseL51csrgemm_numeric_fill_block_per_row_multipass_kernelILj512ELj16ELj2048ELj64Ell21rocsparse_complex_numIdEEEvT4_PKS3_S5_NS_24const_host_device_scalarIT5_EEPKT3_S5_PKS7_SB_S5_SD_S8_SB_S5_SD_SB_S5_PS7_PS9_21rocsparse_index_base_SG_SG_SG_bbb,comdat
	.globl	_ZN9rocsparseL51csrgemm_numeric_fill_block_per_row_multipass_kernelILj512ELj16ELj2048ELj64Ell21rocsparse_complex_numIdEEEvT4_PKS3_S5_NS_24const_host_device_scalarIT5_EEPKT3_S5_PKS7_SB_S5_SD_S8_SB_S5_SD_SB_S5_PS7_PS9_21rocsparse_index_base_SG_SG_SG_bbb ; -- Begin function _ZN9rocsparseL51csrgemm_numeric_fill_block_per_row_multipass_kernelILj512ELj16ELj2048ELj64Ell21rocsparse_complex_numIdEEEvT4_PKS3_S5_NS_24const_host_device_scalarIT5_EEPKT3_S5_PKS7_SB_S5_SD_S8_SB_S5_SD_SB_S5_PS7_PS9_21rocsparse_index_base_SG_SG_SG_bbb
	.p2align	8
	.type	_ZN9rocsparseL51csrgemm_numeric_fill_block_per_row_multipass_kernelILj512ELj16ELj2048ELj64Ell21rocsparse_complex_numIdEEEvT4_PKS3_S5_NS_24const_host_device_scalarIT5_EEPKT3_S5_PKS7_SB_S5_SD_S8_SB_S5_SD_SB_S5_PS7_PS9_21rocsparse_index_base_SG_SG_SG_bbb,@function
_ZN9rocsparseL51csrgemm_numeric_fill_block_per_row_multipass_kernelILj512ELj16ELj2048ELj64Ell21rocsparse_complex_numIdEEEvT4_PKS3_S5_NS_24const_host_device_scalarIT5_EEPKT3_S5_PKS7_SB_S5_SD_S8_SB_S5_SD_SB_S5_PS7_PS9_21rocsparse_index_base_SG_SG_SG_bbb: ; @_ZN9rocsparseL51csrgemm_numeric_fill_block_per_row_multipass_kernelILj512ELj16ELj2048ELj64Ell21rocsparse_complex_numIdEEEvT4_PKS3_S5_NS_24const_host_device_scalarIT5_EEPKT3_S5_PKS7_SB_S5_SD_S8_SB_S5_SD_SB_S5_PS7_PS9_21rocsparse_index_base_SG_SG_SG_bbb
; %bb.0:
	s_load_dword s3, s[0:1], 0xb0
	s_load_dwordx8 s[4:11], s[0:1], 0x8
	s_load_dwordx4 s[44:47], s[0:1], 0xa0
	s_load_dwordx4 s[12:15], s[0:1], 0x58
	v_mov_b64_e32 v[6:7], 0
	v_mov_b64_e32 v[4:5], 0
	s_waitcnt lgkmcnt(0)
	s_bitcmp1_b32 s3, 0
	s_cselect_b64 s[16:17], -1, 0
	s_bitcmp1_b32 s3, 16
	s_cselect_b64 s[20:21], -1, 0
	s_xor_b64 s[18:19], s[20:21], -1
	v_mov_b64_e32 v[2:3], s[8:9]
	scratch_store_dwordx2 off, v[2:3], off offset:16
	v_mov_b64_e32 v[2:3], s[12:13]
	s_bitcmp0_b32 s3, 0
	v_mov_b64_e32 v[8:9], 0
	scratch_store_dwordx2 off, v[2:3], off offset:24
	s_cbranch_scc1 .LBB159_3
; %bb.1:
	s_mov_b64 s[22:23], src_private_base
	s_and_b64 s[24:25], s[20:21], exec
	s_cselect_b32 s22, s23, s9
	s_cselect_b32 s23, 16, s8
	v_mov_b32_e32 v2, s23
	v_mov_b32_e32 v3, s22
	flat_load_dwordx2 v[4:5], v[2:3]
	s_andn2_b64 vcc, exec, s[18:19]
	v_mov_b64_e32 v[8:9], s[10:11]
	s_cbranch_vccnz .LBB159_3
; %bb.2:
	v_mov_b64_e32 v[2:3], s[8:9]
	flat_load_dwordx2 v[8:9], v[2:3] offset:8
.LBB159_3:
	s_load_dwordx2 s[8:9], s[0:1], 0x28
	s_bitcmp1_b32 s3, 8
	s_cselect_b64 s[34:35], -1, 0
	s_bfe_u32 s3, s3, 0x10008
	s_cmp_eq_u32 s3, 0
	v_mov_b64_e32 v[10:11], 0
	s_cbranch_scc1 .LBB159_6
; %bb.4:
	s_mov_b64 s[10:11], src_private_base
	s_and_b64 s[20:21], s[20:21], exec
	s_cselect_b32 s3, s11, s13
	s_cselect_b32 s10, 24, s12
	v_mov_b32_e32 v2, s10
	v_mov_b32_e32 v3, s3
	flat_load_dwordx2 v[10:11], v[2:3]
	s_andn2_b64 vcc, exec, s[18:19]
	v_mov_b64_e32 v[6:7], s[14:15]
	s_cbranch_vccnz .LBB159_6
; %bb.5:
	v_mov_b64_e32 v[2:3], s[12:13]
	flat_load_dwordx2 v[6:7], v[2:3] offset:8
.LBB159_6:
	s_load_dwordx2 s[4:5], s[4:5], 0x0
	s_mov_b32 s3, 0
	v_cndmask_b32_e64 v1, 0, 1, s[16:17]
	s_mov_b64 s[52:53], 0
	s_waitcnt lgkmcnt(0)
	s_lshl_b64 s[4:5], s[4:5], 3
	s_add_u32 s4, s6, s4
	s_addc_u32 s5, s7, s5
	s_lshl_b64 s[2:3], s[2:3], 3
	s_add_u32 s2, s4, s2
	s_addc_u32 s3, s5, s3
	s_load_dwordx2 s[6:7], s[2:3], 0x0
	v_cmp_ne_u32_e64 s[2:3], 1, v1
	s_andn2_b64 vcc, exec, s[16:17]
	s_mov_b64 s[4:5], 0
	s_cbranch_vccz .LBB159_9
; %bb.7:
	s_and_b64 vcc, exec, s[2:3]
	s_cbranch_vccz .LBB159_10
.LBB159_8:
	s_load_dwordx2 s[54:55], s[0:1], 0x0
	s_waitcnt lgkmcnt(0)
	v_cmp_lt_i64_e64 s[2:3], s[54:55], 1
	s_and_b64 vcc, exec, s[2:3]
	s_cbranch_vccz .LBB159_11
	s_branch .LBB159_65
.LBB159_9:
	s_waitcnt lgkmcnt(0)
	s_lshl_b64 s[4:5], s[6:7], 3
	s_add_u32 s4, s8, s4
	s_addc_u32 s5, s9, s5
	s_load_dwordx2 s[4:5], s[4:5], 0x0
	s_waitcnt lgkmcnt(0)
	s_sub_u32 s4, s4, s44
	s_subb_u32 s5, s5, 0
	s_and_b64 vcc, exec, s[2:3]
	s_cbranch_vccnz .LBB159_8
.LBB159_10:
	s_waitcnt lgkmcnt(0)
	s_lshl_b64 s[2:3], s[6:7], 3
	s_add_u32 s2, s8, s2
	s_addc_u32 s3, s9, s3
	s_load_dwordx2 s[2:3], s[2:3], 0x8
	s_waitcnt lgkmcnt(0)
	s_sub_u32 s52, s2, s44
	s_subb_u32 s53, s3, 0
	s_load_dwordx2 s[54:55], s[0:1], 0x0
	s_waitcnt lgkmcnt(0)
	v_cmp_lt_i64_e64 s[2:3], s[54:55], 1
	s_and_b64 vcc, exec, s[2:3]
	s_cbranch_vccnz .LBB159_65
.LBB159_11:
	s_load_dwordx8 s[24:31], s[0:1], 0x68
	s_load_dwordx4 s[48:51], s[0:1], 0x90
	s_load_dwordx2 s[20:21], s[0:1], 0x50
	s_load_dwordx8 s[36:43], s[0:1], 0x30
	s_lshl_b64 s[6:7], s[6:7], 3
	s_waitcnt lgkmcnt(0)
	s_add_u32 s0, s30, s6
	s_addc_u32 s1, s31, s7
	s_load_dwordx2 s[2:3], s[0:1], 0x0
	v_mov_b32_e32 v13, 0
	v_lshrrev_b32_e32 v2, 4, v0
	v_mov_b32_e32 v3, v13
	v_lshl_add_u64 v[14:15], s[4:5], 0, v[2:3]
	s_waitcnt lgkmcnt(0)
	s_sub_u32 s22, s2, s46
	s_subb_u32 s23, s3, 0
	v_cmp_gt_i64_e32 vcc, s[52:53], v[14:15]
	s_add_u32 s24, s24, s6
	s_addc_u32 s25, s25, s7
	s_and_b64 s[30:31], s[16:17], vcc
	v_subrev_co_u32_e64 v16, s[4:5], s47, v0
	v_mbcnt_lo_u32_b32 v1, -1, 0
	s_add_u32 s46, s20, 8
	s_mov_b32 s33, s45
	s_mov_b32 s45, s47
	v_subb_co_u32_e64 v17, s[4:5], 0, 0, s[4:5]
	v_mbcnt_hi_u32_b32 v1, -1, v1
	s_addc_u32 s47, s21, 0
	v_and_b32_e32 v12, 15, v0
	v_sub_u32_e32 v1, 63, v1
	s_movk_i32 s4, 0x1ff
	s_movk_i32 s8, 0x80
	;; [unrolled: 1-line block ×7, first 2 shown]
	s_add_u32 s28, s28, 8
	v_cmp_eq_u32_e64 s[0:1], 0, v0
	v_cmp_eq_u32_e64 s[2:3], 15, v12
	v_lshrrev_b64 v[18:19], v1, -1
	v_and_b32_e32 v46, 28, v2
	v_cmp_eq_u32_e64 s[4:5], s4, v0
	v_cmp_gt_u32_e64 s[6:7], 64, v0
	v_cmp_gt_u32_e64 s[8:9], s8, v0
	;; [unrolled: 1-line block ×7, first 2 shown]
	v_or_b32_e32 v47, 0xfffffe00, v0
	v_lshlrev_b32_e32 v48, 4, v0
	s_addc_u32 s29, s29, 0
	v_mov_b64_e32 v[22:23], 0
	v_mov_b64_e32 v[24:25], 0x800
	;; [unrolled: 1-line block ×3, first 2 shown]
	v_mov_b32_e32 v50, v13
	v_mov_b32_e32 v51, v13
	;; [unrolled: 1-line block ×4, first 2 shown]
	s_movk_i32 s84, 0x5ff
	v_mov_b64_e32 v[54:55], s[54:55]
	v_mov_b32_e32 v49, 1
	s_mov_b64 s[56:57], 0x80
	s_mov_b64 s[58:59], 0x100
	;; [unrolled: 1-line block ×6, first 2 shown]
	s_branch .LBB159_13
.LBB159_12:                             ;   in Loop: Header=BB159_13 Depth=1
	s_or_b64 exec, exec, s[20:21]
	ds_read_b64 v[22:23], v13 offset:34816
	s_waitcnt lgkmcnt(0)
	s_barrier
	v_cmp_le_i64_e32 vcc, s[54:55], v[22:23]
	v_lshl_add_u64 v[24:25], v[22:23], 0, s[66:67]
	s_cbranch_vccnz .LBB159_65
.LBB159_13:                             ; =>This Loop Header: Depth=1
                                        ;     Child Loop BB159_14 Depth 2
                                        ;     Child Loop BB159_20 Depth 2
                                        ;       Child Loop BB159_28 Depth 3
                                        ;     Child Loop BB159_44 Depth 2
                                        ;     Child Loop BB159_56 Depth 2
	;; [unrolled: 1-line block ×3, first 2 shown]
	s_mov_b64 s[20:21], 0
	v_mov_b32_e32 v0, v48
	v_mov_b32_e32 v1, v47
.LBB159_14:                             ;   Parent Loop BB159_13 Depth=1
                                        ; =>  This Inner Loop Header: Depth=2
	ds_write_b8 v1, v13 offset:33280
	ds_write_b128 v0, v[50:53]
	v_add_u32_e32 v1, 0x200, v1
	v_cmp_lt_u32_e32 vcc, s84, v1
	s_or_b64 s[20:21], vcc, s[20:21]
	v_add_u32_e32 v0, 0x2000, v0
	s_andn2_b64 exec, exec, s[20:21]
	s_cbranch_execnz .LBB159_14
; %bb.15:                               ;   in Loop: Header=BB159_13 Depth=1
	s_or_b64 exec, exec, s[20:21]
	s_and_saveexec_b64 s[20:21], s[0:1]
; %bb.16:                               ;   in Loop: Header=BB159_13 Depth=1
	ds_write_b64 v13, v[54:55] offset:34816
; %bb.17:                               ;   in Loop: Header=BB159_13 Depth=1
	s_or_b64 exec, exec, s[20:21]
	v_mov_b64_e32 v[26:27], s[54:55]
	s_waitcnt lgkmcnt(0)
	s_barrier
	s_and_saveexec_b64 s[68:69], s[30:31]
	s_cbranch_execz .LBB159_40
; %bb.18:                               ;   in Loop: Header=BB159_13 Depth=1
	s_mov_b64 s[70:71], 0
	v_cmp_ne_u64_e64 s[20:21], 0, v[22:23]
	v_mov_b64_e32 v[26:27], s[54:55]
	v_mov_b64_e32 v[28:29], v[14:15]
	s_branch .LBB159_20
.LBB159_19:                             ;   in Loop: Header=BB159_20 Depth=2
	s_or_b64 exec, exec, s[22:23]
	v_lshl_add_u64 v[28:29], v[28:29], 0, 32
	v_cmp_le_i64_e32 vcc, s[52:53], v[28:29]
	s_or_b64 s[70:71], vcc, s[70:71]
	s_andn2_b64 exec, exec, s[70:71]
	s_cbranch_execz .LBB159_39
.LBB159_20:                             ;   Parent Loop BB159_13 Depth=1
                                        ; =>  This Loop Header: Depth=2
                                        ;       Child Loop BB159_28 Depth 3
	v_lshl_add_u64 v[0:1], v[28:29], 3, s[36:37]
	global_load_dwordx2 v[34:35], v[0:1], off
	v_lshl_add_u64 v[0:1], v[28:29], 4, s[38:39]
	global_load_dwordx4 v[0:3], v[0:1], off
	s_and_b64 vcc, exec, s[20:21]
	v_lshl_add_u64 v[30:31], v[28:29], 3, s[50:51]
	s_cbranch_vccz .LBB159_22
; %bb.21:                               ;   in Loop: Header=BB159_20 Depth=2
	global_load_dwordx2 v[32:33], v[30:31], off
	s_mov_b64 s[22:23], 0
	s_branch .LBB159_23
.LBB159_22:                             ;   in Loop: Header=BB159_20 Depth=2
	s_mov_b64 s[22:23], -1
                                        ; implicit-def: $vgpr32_vgpr33
.LBB159_23:                             ;   in Loop: Header=BB159_20 Depth=2
	s_waitcnt vmcnt(0)
	v_subrev_co_u32_e32 v34, vcc, s44, v34
	s_nop 1
	v_subbrev_co_u32_e32 v35, vcc, 0, v35, vcc
	s_andn2_b64 vcc, exec, s[22:23]
	v_lshl_add_u64 v[34:35], v[34:35], 3, s[40:41]
	s_cbranch_vccnz .LBB159_25
; %bb.24:                               ;   in Loop: Header=BB159_20 Depth=2
	global_load_dwordx2 v[32:33], v[34:35], off
	s_waitcnt vmcnt(0)
	v_subrev_co_u32_e32 v32, vcc, s33, v32
	s_nop 1
	v_subbrev_co_u32_e32 v33, vcc, 0, v33, vcc
.LBB159_25:                             ;   in Loop: Header=BB159_20 Depth=2
	global_load_dwordx2 v[34:35], v[34:35], off offset:8
	v_lshl_add_u64 v[32:33], v[32:33], 0, v[12:13]
	s_waitcnt vmcnt(0)
	v_subrev_co_u32_e32 v34, vcc, s33, v34
	s_nop 1
	v_subbrev_co_u32_e32 v35, vcc, 0, v35, vcc
	v_cmp_lt_i64_e32 vcc, v[32:33], v[34:35]
	s_and_saveexec_b64 s[72:73], vcc
	s_cbranch_execz .LBB159_37
; %bb.26:                               ;   in Loop: Header=BB159_20 Depth=2
	v_mul_f64 v[36:37], v[2:3], -v[8:9]
	v_mul_f64 v[2:3], v[4:5], v[2:3]
	v_fmac_f64_e32 v[36:37], v[4:5], v[0:1]
	v_fmac_f64_e32 v[2:3], v[8:9], v[0:1]
	v_lshl_add_u64 v[0:1], v[32:33], 3, s[42:43]
	v_lshl_add_u64 v[40:41], v[32:33], 4, s[46:47]
	s_mov_b64 s[76:77], 0
	v_mov_b64_e32 v[44:45], v[32:33]
                                        ; implicit-def: $sgpr74_sgpr75
                                        ; implicit-def: $sgpr78_sgpr79
	s_branch .LBB159_28
.LBB159_27:                             ;   in Loop: Header=BB159_28 Depth=3
	s_or_b64 exec, exec, s[82:83]
	s_and_b64 s[22:23], exec, s[80:81]
	s_or_b64 s[76:77], s[22:23], s[76:77]
	s_andn2_b64 s[22:23], s[74:75], exec
	s_and_b64 s[74:75], s[78:79], exec
	s_or_b64 s[74:75], s[22:23], s[74:75]
	s_andn2_b64 exec, exec, s[76:77]
	s_cbranch_execz .LBB159_34
.LBB159_28:                             ;   Parent Loop BB159_13 Depth=1
                                        ;     Parent Loop BB159_20 Depth=2
                                        ; =>    This Inner Loop Header: Depth=3
	global_load_dwordx2 v[42:43], v[0:1], off
	v_mov_b64_e32 v[38:39], v[44:45]
	s_waitcnt vmcnt(0)
	v_subrev_co_u32_e32 v42, vcc, s33, v42
	s_nop 1
	v_subbrev_co_u32_e32 v43, vcc, 0, v43, vcc
	v_cmp_lt_i64_e32 vcc, v[42:43], v[22:23]
	v_cmp_ge_i64_e64 s[22:23], v[42:43], v[24:25]
	s_or_b64 s[80:81], vcc, s[22:23]
	s_mov_b64 s[22:23], 0
	s_and_saveexec_b64 s[82:83], s[80:81]
	s_xor_b64 s[80:81], exec, s[82:83]
; %bb.29:                               ;   in Loop: Header=BB159_28 Depth=3
	v_cmp_lt_i64_e32 vcc, v[42:43], v[24:25]
	s_and_b64 s[22:23], vcc, exec
; %bb.30:                               ;   in Loop: Header=BB159_28 Depth=3
	s_andn2_saveexec_b64 s[80:81], s[80:81]
	s_cbranch_execz .LBB159_32
; %bb.31:                               ;   in Loop: Header=BB159_28 Depth=3
	global_load_dwordx4 v[56:59], v[40:41], off offset:-8
	v_sub_u32_e32 v44, v42, v22
	ds_write_b8 v44, v49 offset:32768
	v_lshlrev_b32_e32 v60, 4, v44
	s_or_b64 s[22:23], s[22:23], exec
	s_waitcnt vmcnt(0)
	v_mul_f64 v[44:45], v[58:59], -v[2:3]
	v_mul_f64 v[58:59], v[36:37], v[58:59]
	v_fmac_f64_e32 v[44:45], v[36:37], v[56:57]
	v_fmac_f64_e32 v[58:59], v[2:3], v[56:57]
	ds_add_f64 v60, v[44:45]
	ds_add_f64 v60, v[58:59] offset:8
.LBB159_32:                             ;   in Loop: Header=BB159_28 Depth=3
	s_or_b64 exec, exec, s[80:81]
	s_mov_b64 s[80:81], -1
	s_or_b64 s[78:79], s[78:79], exec
                                        ; implicit-def: $vgpr44_vgpr45
	s_and_saveexec_b64 s[82:83], s[22:23]
	s_cbranch_execz .LBB159_27
; %bb.33:                               ;   in Loop: Header=BB159_28 Depth=3
	v_lshl_add_u64 v[44:45], v[38:39], 0, 16
	v_cmp_ge_i64_e32 vcc, v[44:45], v[34:35]
	v_lshl_add_u64 v[0:1], v[0:1], 0, s[56:57]
	v_lshl_add_u64 v[40:41], v[40:41], 0, s[58:59]
	s_andn2_b64 s[78:79], s[78:79], exec
	s_orn2_b64 s[80:81], vcc, exec
	s_branch .LBB159_27
.LBB159_34:                             ;   in Loop: Header=BB159_20 Depth=2
	s_or_b64 exec, exec, s[76:77]
	s_and_saveexec_b64 s[22:23], s[74:75]
	s_xor_b64 s[22:23], exec, s[22:23]
; %bb.35:                               ;   in Loop: Header=BB159_20 Depth=2
	v_cmp_lt_i64_e32 vcc, v[42:43], v[26:27]
	v_mov_b64_e32 v[32:33], v[38:39]
	s_nop 0
	v_cndmask_b32_e32 v27, v27, v43, vcc
	v_cndmask_b32_e32 v26, v26, v42, vcc
; %bb.36:                               ;   in Loop: Header=BB159_20 Depth=2
	s_or_b64 exec, exec, s[22:23]
.LBB159_37:                             ;   in Loop: Header=BB159_20 Depth=2
	s_or_b64 exec, exec, s[72:73]
	v_mov_b32_dpp v0, v32 row_shr:1 row_mask:0xf bank_mask:0xf
	v_mov_b32_dpp v1, v33 row_shr:1 row_mask:0xf bank_mask:0xf
	v_cmp_lt_i64_e32 vcc, v[0:1], v[32:33]
	s_nop 1
	v_cndmask_b32_e32 v1, v33, v1, vcc
	v_cndmask_b32_e32 v0, v32, v0, vcc
	s_nop 0
	v_mov_b32_dpp v3, v1 row_shr:2 row_mask:0xf bank_mask:0xf
	v_mov_b32_dpp v2, v0 row_shr:2 row_mask:0xf bank_mask:0xf
	v_cmp_lt_i64_e32 vcc, v[2:3], v[0:1]
	s_nop 1
	v_cndmask_b32_e32 v1, v1, v3, vcc
	v_cndmask_b32_e32 v0, v0, v2, vcc
	s_nop 0
	;; [unrolled: 7-line block ×3, first 2 shown]
	v_mov_b32_dpp v32, v1 row_shr:8 row_mask:0xf bank_mask:0xc
	v_mov_b32_dpp v2, v0 row_shr:8 row_mask:0xf bank_mask:0xc
	s_and_saveexec_b64 s[22:23], s[2:3]
	s_cbranch_execz .LBB159_19
; %bb.38:                               ;   in Loop: Header=BB159_20 Depth=2
	v_mov_b32_e32 v3, v32
	v_cmp_lt_i64_e32 vcc, v[2:3], v[0:1]
	s_nop 1
	v_cndmask_b32_e32 v1, v1, v32, vcc
	v_cndmask_b32_e32 v0, v0, v2, vcc
	global_store_dwordx2 v[30:31], v[0:1], off
	s_branch .LBB159_19
.LBB159_39:                             ;   in Loop: Header=BB159_13 Depth=1
	s_or_b64 exec, exec, s[70:71]
.LBB159_40:                             ;   in Loop: Header=BB159_13 Depth=1
	s_or_b64 exec, exec, s[68:69]
	s_andn2_b64 vcc, exec, s[34:35]
	s_cbranch_vccnz .LBB159_54
; %bb.41:                               ;   in Loop: Header=BB159_13 Depth=1
	s_load_dwordx4 s[20:23], s[24:25], 0x0
	s_waitcnt lgkmcnt(0)
	s_sub_u32 s68, s22, s45
	s_subb_u32 s69, s23, 0
	v_lshl_add_u64 v[0:1], s[20:21], 0, v[16:17]
	v_cmp_gt_i64_e32 vcc, s[68:69], v[0:1]
	s_and_saveexec_b64 s[22:23], vcc
	s_cbranch_execz .LBB159_53
; %bb.42:                               ;   in Loop: Header=BB159_13 Depth=1
	v_lshl_add_u64 v[2:3], v[0:1], 3, s[26:27]
	v_lshl_add_u64 v[28:29], v[0:1], 4, s[28:29]
	s_mov_b64 s[70:71], 0
                                        ; implicit-def: $sgpr72_sgpr73
                                        ; implicit-def: $sgpr74_sgpr75
	s_branch .LBB159_44
.LBB159_43:                             ;   in Loop: Header=BB159_44 Depth=2
	s_or_b64 exec, exec, s[78:79]
	s_and_b64 s[20:21], exec, s[76:77]
	s_or_b64 s[70:71], s[20:21], s[70:71]
	s_andn2_b64 s[20:21], s[72:73], exec
	s_and_b64 s[72:73], s[74:75], exec
	s_or_b64 s[72:73], s[20:21], s[72:73]
	s_andn2_b64 exec, exec, s[70:71]
	s_cbranch_execz .LBB159_50
.LBB159_44:                             ;   Parent Loop BB159_13 Depth=1
                                        ; =>  This Inner Loop Header: Depth=2
	global_load_dwordx2 v[30:31], v[2:3], off
	s_waitcnt vmcnt(0)
	v_subrev_co_u32_e32 v30, vcc, s45, v30
	s_nop 1
	v_subbrev_co_u32_e32 v31, vcc, 0, v31, vcc
	v_cmp_lt_i64_e32 vcc, v[30:31], v[22:23]
	v_cmp_ge_i64_e64 s[20:21], v[30:31], v[24:25]
	s_or_b64 s[76:77], vcc, s[20:21]
	s_mov_b64 s[20:21], 0
	s_and_saveexec_b64 s[78:79], s[76:77]
	s_xor_b64 s[76:77], exec, s[78:79]
; %bb.45:                               ;   in Loop: Header=BB159_44 Depth=2
	v_cmp_lt_i64_e32 vcc, v[30:31], v[24:25]
	s_and_b64 s[20:21], vcc, exec
; %bb.46:                               ;   in Loop: Header=BB159_44 Depth=2
	s_andn2_saveexec_b64 s[76:77], s[76:77]
	s_cbranch_execz .LBB159_48
; %bb.47:                               ;   in Loop: Header=BB159_44 Depth=2
	global_load_dwordx4 v[32:35], v[28:29], off offset:-8
	v_sub_u32_e32 v36, v30, v22
	ds_write_b8 v36, v49 offset:32768
	v_lshlrev_b32_e32 v38, 4, v36
	s_or_b64 s[20:21], s[20:21], exec
	s_waitcnt vmcnt(0)
	v_mul_f64 v[36:37], v[34:35], -v[6:7]
	v_mul_f64 v[34:35], v[10:11], v[34:35]
	v_fmac_f64_e32 v[36:37], v[10:11], v[32:33]
	v_fmac_f64_e32 v[34:35], v[6:7], v[32:33]
	ds_add_f64 v38, v[36:37]
	ds_add_f64 v38, v[34:35] offset:8
.LBB159_48:                             ;   in Loop: Header=BB159_44 Depth=2
	s_or_b64 exec, exec, s[76:77]
	s_mov_b64 s[76:77], -1
	s_or_b64 s[74:75], s[74:75], exec
	s_and_saveexec_b64 s[78:79], s[20:21]
	s_cbranch_execz .LBB159_43
; %bb.49:                               ;   in Loop: Header=BB159_44 Depth=2
	v_lshl_add_u64 v[0:1], v[0:1], 0, s[60:61]
	v_cmp_le_i64_e32 vcc, s[68:69], v[0:1]
	v_lshl_add_u64 v[2:3], v[2:3], 0, s[62:63]
	v_lshl_add_u64 v[28:29], v[28:29], 0, s[64:65]
	s_andn2_b64 s[74:75], s[74:75], exec
	s_orn2_b64 s[76:77], vcc, exec
	s_branch .LBB159_43
.LBB159_50:                             ;   in Loop: Header=BB159_13 Depth=1
	s_or_b64 exec, exec, s[70:71]
	s_and_saveexec_b64 s[20:21], s[72:73]
	s_xor_b64 s[20:21], exec, s[20:21]
; %bb.51:                               ;   in Loop: Header=BB159_13 Depth=1
	v_cmp_lt_i64_e32 vcc, v[30:31], v[26:27]
	s_nop 1
	v_cndmask_b32_e32 v27, v27, v31, vcc
	v_cndmask_b32_e32 v26, v26, v30, vcc
; %bb.52:                               ;   in Loop: Header=BB159_13 Depth=1
	s_or_b64 exec, exec, s[20:21]
.LBB159_53:                             ;   in Loop: Header=BB159_13 Depth=1
	s_or_b64 exec, exec, s[22:23]
.LBB159_54:                             ;   in Loop: Header=BB159_13 Depth=1
	v_mov_b32_dpp v0, v26 row_shr:1 row_mask:0xf bank_mask:0xf
	v_mov_b32_dpp v1, v27 row_shr:1 row_mask:0xf bank_mask:0xf
	v_cmp_lt_i64_e32 vcc, v[0:1], v[26:27]
	s_nop 1
	v_cndmask_b32_e32 v1, v27, v1, vcc
	v_cndmask_b32_e32 v0, v26, v0, vcc
	s_nop 0
	v_mov_b32_dpp v3, v1 row_shr:2 row_mask:0xf bank_mask:0xf
	v_mov_b32_dpp v2, v0 row_shr:2 row_mask:0xf bank_mask:0xf
	v_cmp_lt_i64_e32 vcc, v[2:3], v[0:1]
	s_nop 1
	v_cndmask_b32_e32 v1, v1, v3, vcc
	v_cndmask_b32_e32 v0, v0, v2, vcc
	s_nop 0
	;; [unrolled: 7-line block ×3, first 2 shown]
	v_mov_b32_dpp v22, v1 row_shr:8 row_mask:0xf bank_mask:0xc
	v_mov_b32_dpp v2, v0 row_shr:8 row_mask:0xf bank_mask:0xc
	s_and_saveexec_b64 s[20:21], s[2:3]
	s_cbranch_execz .LBB159_59
; %bb.55:                               ;   in Loop: Header=BB159_13 Depth=1
	v_mov_b32_e32 v3, v22
	v_cmp_lt_i64_e32 vcc, v[2:3], v[0:1]
	s_mov_b64 s[68:69], exec
	s_mov_b64 s[22:23], -1
	v_cndmask_b32_e32 v1, v1, v22, vcc
	v_cndmask_b32_e32 v0, v0, v2, vcc
.LBB159_56:                             ;   Parent Loop BB159_13 Depth=1
                                        ; =>  This Inner Loop Header: Depth=2
	s_ff1_i32_b64 s72, s[68:69]
	v_readlane_b32 s73, v1, s72
	v_readlane_b32 s74, v0, s72
	s_nop 0
	v_mov_b32_e32 v3, s73
	v_mov_b32_e32 v2, s74
	v_cmp_lt_u64_e32 vcc, s[22:23], v[2:3]
	s_and_b64 s[70:71], vcc, exec
	s_cselect_b32 s23, s23, s73
	s_cselect_b32 s22, s22, s74
	s_lshl_b64 s[70:71], 1, s72
	s_andn2_b64 s[68:69], s[68:69], s[70:71]
	s_cmp_lg_u64 s[68:69], 0
	s_cbranch_scc1 .LBB159_56
; %bb.57:                               ;   in Loop: Header=BB159_13 Depth=1
	v_mbcnt_lo_u32_b32 v0, exec_lo, 0
	v_mbcnt_hi_u32_b32 v0, exec_hi, v0
	v_cmp_eq_u32_e32 vcc, 0, v0
	s_and_saveexec_b64 s[68:69], vcc
	s_xor_b64 s[68:69], exec, s[68:69]
; %bb.58:                               ;   in Loop: Header=BB159_13 Depth=1
	v_mov_b64_e32 v[0:1], s[22:23]
	ds_min_u64 v13, v[0:1] offset:34816
.LBB159_59:                             ;   in Loop: Header=BB159_13 Depth=1
	s_or_b64 exec, exec, s[20:21]
	s_mov_b64 s[20:21], 0
	v_mov_b32_e32 v2, v48
	v_mov_b32_e32 v3, v47
	s_waitcnt lgkmcnt(0)
	s_barrier
	s_branch .LBB159_61
.LBB159_60:                             ;   in Loop: Header=BB159_61 Depth=2
	s_or_b64 exec, exec, s[22:23]
	s_waitcnt lgkmcnt(0)
	s_barrier
	ds_read_b32 v0, v13 offset:28
	v_add_u32_e32 v3, 0x200, v3
	v_cmp_lt_u32_e32 vcc, s84, v3
	s_or_b64 s[20:21], vcc, s[20:21]
	v_add_u32_e32 v2, 0x2000, v2
	s_waitcnt lgkmcnt(0)
	v_ashrrev_i32_e32 v1, 31, v0
	v_lshl_add_u64 v[20:21], v[20:21], 0, v[0:1]
	s_andn2_b64 exec, exec, s[20:21]
	s_cbranch_execz .LBB159_12
.LBB159_61:                             ;   Parent Loop BB159_13 Depth=1
                                        ; =>  This Inner Loop Header: Depth=2
	ds_read2_b64 v[22:25], v2 offset1:1
	ds_read_u8 v1, v3 offset:33280
	s_waitcnt lgkmcnt(0)
	scratch_store_dwordx4 off, v[22:25], off
	v_cmp_ne_u16_e32 vcc, 0, v1
	s_bcnt1_i32_b64 s22, vcc
	v_mov_b32_e32 v22, s22
	s_barrier
	ds_write_b32 v46, v22
	s_waitcnt lgkmcnt(0)
	s_barrier
	ds_read_b128 v[22:25], v13
	v_and_b32_e32 v26, vcc_lo, v18
	v_and_b32_e32 v0, vcc_hi, v19
	v_bcnt_u32_b32 v26, v26, 0
	v_bcnt_u32_b32 v0, v0, v26
	ds_read_b96 v[26:28], v13 offset:16
	s_waitcnt lgkmcnt(0)
	v_cndmask_b32_e64 v22, v22, 0, s[6:7]
	v_add_u32_e32 v0, v22, v0
	v_cndmask_b32_e64 v22, v23, 0, s[8:9]
	v_cndmask_b32_e64 v23, v24, 0, s[10:11]
	v_add3_u32 v0, v0, v22, v23
	v_cndmask_b32_e64 v22, v25, 0, s[12:13]
	v_cndmask_b32_e64 v23, v26, 0, s[14:15]
	v_add3_u32 v0, v0, v22, v23
	v_cndmask_b32_e64 v22, v27, 0, s[16:17]
	v_cndmask_b32_e64 v23, v28, 0, s[18:19]
	v_and_b32_e32 v1, 1, v1
	v_add3_u32 v0, v0, v22, v23
	v_cmp_eq_u32_e32 vcc, 1, v1
	s_and_saveexec_b64 s[22:23], vcc
	s_cbranch_execz .LBB159_63
; %bb.62:                               ;   in Loop: Header=BB159_61 Depth=2
	scratch_load_dwordx4 v[22:25], off, off
	v_lshl_add_u64 v[26:27], v[20:21], 4, s[48:49]
	v_ashrrev_i32_e32 v1, 31, v0
	v_lshl_add_u64 v[26:27], v[0:1], 4, v[26:27]
	s_waitcnt vmcnt(0)
	global_store_dwordx4 v[26:27], v[22:25], off offset:-16
.LBB159_63:                             ;   in Loop: Header=BB159_61 Depth=2
	s_or_b64 exec, exec, s[22:23]
	s_and_saveexec_b64 s[22:23], s[4:5]
	s_cbranch_execz .LBB159_60
; %bb.64:                               ;   in Loop: Header=BB159_61 Depth=2
	ds_write_b32 v13, v0 offset:28
	s_branch .LBB159_60
.LBB159_65:
	s_endpgm
	.section	.rodata,"a",@progbits
	.p2align	6, 0x0
	.amdhsa_kernel _ZN9rocsparseL51csrgemm_numeric_fill_block_per_row_multipass_kernelILj512ELj16ELj2048ELj64Ell21rocsparse_complex_numIdEEEvT4_PKS3_S5_NS_24const_host_device_scalarIT5_EEPKT3_S5_PKS7_SB_S5_SD_S8_SB_S5_SD_SB_S5_PS7_PS9_21rocsparse_index_base_SG_SG_SG_bbb
		.amdhsa_group_segment_fixed_size 34824
		.amdhsa_private_segment_fixed_size 40
		.amdhsa_kernarg_size 180
		.amdhsa_user_sgpr_count 2
		.amdhsa_user_sgpr_dispatch_ptr 0
		.amdhsa_user_sgpr_queue_ptr 0
		.amdhsa_user_sgpr_kernarg_segment_ptr 1
		.amdhsa_user_sgpr_dispatch_id 0
		.amdhsa_user_sgpr_kernarg_preload_length 0
		.amdhsa_user_sgpr_kernarg_preload_offset 0
		.amdhsa_user_sgpr_private_segment_size 0
		.amdhsa_uses_dynamic_stack 0
		.amdhsa_enable_private_segment 1
		.amdhsa_system_sgpr_workgroup_id_x 1
		.amdhsa_system_sgpr_workgroup_id_y 0
		.amdhsa_system_sgpr_workgroup_id_z 0
		.amdhsa_system_sgpr_workgroup_info 0
		.amdhsa_system_vgpr_workitem_id 0
		.amdhsa_next_free_vgpr 61
		.amdhsa_next_free_sgpr 85
		.amdhsa_accum_offset 64
		.amdhsa_reserve_vcc 1
		.amdhsa_float_round_mode_32 0
		.amdhsa_float_round_mode_16_64 0
		.amdhsa_float_denorm_mode_32 3
		.amdhsa_float_denorm_mode_16_64 3
		.amdhsa_dx10_clamp 1
		.amdhsa_ieee_mode 1
		.amdhsa_fp16_overflow 0
		.amdhsa_tg_split 0
		.amdhsa_exception_fp_ieee_invalid_op 0
		.amdhsa_exception_fp_denorm_src 0
		.amdhsa_exception_fp_ieee_div_zero 0
		.amdhsa_exception_fp_ieee_overflow 0
		.amdhsa_exception_fp_ieee_underflow 0
		.amdhsa_exception_fp_ieee_inexact 0
		.amdhsa_exception_int_div_zero 0
	.end_amdhsa_kernel
	.section	.text._ZN9rocsparseL51csrgemm_numeric_fill_block_per_row_multipass_kernelILj512ELj16ELj2048ELj64Ell21rocsparse_complex_numIdEEEvT4_PKS3_S5_NS_24const_host_device_scalarIT5_EEPKT3_S5_PKS7_SB_S5_SD_S8_SB_S5_SD_SB_S5_PS7_PS9_21rocsparse_index_base_SG_SG_SG_bbb,"axG",@progbits,_ZN9rocsparseL51csrgemm_numeric_fill_block_per_row_multipass_kernelILj512ELj16ELj2048ELj64Ell21rocsparse_complex_numIdEEEvT4_PKS3_S5_NS_24const_host_device_scalarIT5_EEPKT3_S5_PKS7_SB_S5_SD_S8_SB_S5_SD_SB_S5_PS7_PS9_21rocsparse_index_base_SG_SG_SG_bbb,comdat
.Lfunc_end159:
	.size	_ZN9rocsparseL51csrgemm_numeric_fill_block_per_row_multipass_kernelILj512ELj16ELj2048ELj64Ell21rocsparse_complex_numIdEEEvT4_PKS3_S5_NS_24const_host_device_scalarIT5_EEPKT3_S5_PKS7_SB_S5_SD_S8_SB_S5_SD_SB_S5_PS7_PS9_21rocsparse_index_base_SG_SG_SG_bbb, .Lfunc_end159-_ZN9rocsparseL51csrgemm_numeric_fill_block_per_row_multipass_kernelILj512ELj16ELj2048ELj64Ell21rocsparse_complex_numIdEEEvT4_PKS3_S5_NS_24const_host_device_scalarIT5_EEPKT3_S5_PKS7_SB_S5_SD_S8_SB_S5_SD_SB_S5_PS7_PS9_21rocsparse_index_base_SG_SG_SG_bbb
                                        ; -- End function
	.set _ZN9rocsparseL51csrgemm_numeric_fill_block_per_row_multipass_kernelILj512ELj16ELj2048ELj64Ell21rocsparse_complex_numIdEEEvT4_PKS3_S5_NS_24const_host_device_scalarIT5_EEPKT3_S5_PKS7_SB_S5_SD_S8_SB_S5_SD_SB_S5_PS7_PS9_21rocsparse_index_base_SG_SG_SG_bbb.num_vgpr, 61
	.set _ZN9rocsparseL51csrgemm_numeric_fill_block_per_row_multipass_kernelILj512ELj16ELj2048ELj64Ell21rocsparse_complex_numIdEEEvT4_PKS3_S5_NS_24const_host_device_scalarIT5_EEPKT3_S5_PKS7_SB_S5_SD_S8_SB_S5_SD_SB_S5_PS7_PS9_21rocsparse_index_base_SG_SG_SG_bbb.num_agpr, 0
	.set _ZN9rocsparseL51csrgemm_numeric_fill_block_per_row_multipass_kernelILj512ELj16ELj2048ELj64Ell21rocsparse_complex_numIdEEEvT4_PKS3_S5_NS_24const_host_device_scalarIT5_EEPKT3_S5_PKS7_SB_S5_SD_S8_SB_S5_SD_SB_S5_PS7_PS9_21rocsparse_index_base_SG_SG_SG_bbb.numbered_sgpr, 85
	.set _ZN9rocsparseL51csrgemm_numeric_fill_block_per_row_multipass_kernelILj512ELj16ELj2048ELj64Ell21rocsparse_complex_numIdEEEvT4_PKS3_S5_NS_24const_host_device_scalarIT5_EEPKT3_S5_PKS7_SB_S5_SD_S8_SB_S5_SD_SB_S5_PS7_PS9_21rocsparse_index_base_SG_SG_SG_bbb.num_named_barrier, 0
	.set _ZN9rocsparseL51csrgemm_numeric_fill_block_per_row_multipass_kernelILj512ELj16ELj2048ELj64Ell21rocsparse_complex_numIdEEEvT4_PKS3_S5_NS_24const_host_device_scalarIT5_EEPKT3_S5_PKS7_SB_S5_SD_S8_SB_S5_SD_SB_S5_PS7_PS9_21rocsparse_index_base_SG_SG_SG_bbb.private_seg_size, 40
	.set _ZN9rocsparseL51csrgemm_numeric_fill_block_per_row_multipass_kernelILj512ELj16ELj2048ELj64Ell21rocsparse_complex_numIdEEEvT4_PKS3_S5_NS_24const_host_device_scalarIT5_EEPKT3_S5_PKS7_SB_S5_SD_S8_SB_S5_SD_SB_S5_PS7_PS9_21rocsparse_index_base_SG_SG_SG_bbb.uses_vcc, 1
	.set _ZN9rocsparseL51csrgemm_numeric_fill_block_per_row_multipass_kernelILj512ELj16ELj2048ELj64Ell21rocsparse_complex_numIdEEEvT4_PKS3_S5_NS_24const_host_device_scalarIT5_EEPKT3_S5_PKS7_SB_S5_SD_S8_SB_S5_SD_SB_S5_PS7_PS9_21rocsparse_index_base_SG_SG_SG_bbb.uses_flat_scratch, 0
	.set _ZN9rocsparseL51csrgemm_numeric_fill_block_per_row_multipass_kernelILj512ELj16ELj2048ELj64Ell21rocsparse_complex_numIdEEEvT4_PKS3_S5_NS_24const_host_device_scalarIT5_EEPKT3_S5_PKS7_SB_S5_SD_S8_SB_S5_SD_SB_S5_PS7_PS9_21rocsparse_index_base_SG_SG_SG_bbb.has_dyn_sized_stack, 0
	.set _ZN9rocsparseL51csrgemm_numeric_fill_block_per_row_multipass_kernelILj512ELj16ELj2048ELj64Ell21rocsparse_complex_numIdEEEvT4_PKS3_S5_NS_24const_host_device_scalarIT5_EEPKT3_S5_PKS7_SB_S5_SD_S8_SB_S5_SD_SB_S5_PS7_PS9_21rocsparse_index_base_SG_SG_SG_bbb.has_recursion, 0
	.set _ZN9rocsparseL51csrgemm_numeric_fill_block_per_row_multipass_kernelILj512ELj16ELj2048ELj64Ell21rocsparse_complex_numIdEEEvT4_PKS3_S5_NS_24const_host_device_scalarIT5_EEPKT3_S5_PKS7_SB_S5_SD_S8_SB_S5_SD_SB_S5_PS7_PS9_21rocsparse_index_base_SG_SG_SG_bbb.has_indirect_call, 0
	.section	.AMDGPU.csdata,"",@progbits
; Kernel info:
; codeLenInByte = 2696
; TotalNumSgprs: 91
; NumVgprs: 61
; NumAgprs: 0
; TotalNumVgprs: 61
; ScratchSize: 40
; MemoryBound: 0
; FloatMode: 240
; IeeeMode: 1
; LDSByteSize: 34824 bytes/workgroup (compile time only)
; SGPRBlocks: 11
; VGPRBlocks: 7
; NumSGPRsForWavesPerEU: 91
; NumVGPRsForWavesPerEU: 61
; AccumOffset: 64
; Occupancy: 8
; WaveLimiterHint : 1
; COMPUTE_PGM_RSRC2:SCRATCH_EN: 1
; COMPUTE_PGM_RSRC2:USER_SGPR: 2
; COMPUTE_PGM_RSRC2:TRAP_HANDLER: 0
; COMPUTE_PGM_RSRC2:TGID_X_EN: 1
; COMPUTE_PGM_RSRC2:TGID_Y_EN: 0
; COMPUTE_PGM_RSRC2:TGID_Z_EN: 0
; COMPUTE_PGM_RSRC2:TIDIG_COMP_CNT: 0
; COMPUTE_PGM_RSRC3_GFX90A:ACCUM_OFFSET: 15
; COMPUTE_PGM_RSRC3_GFX90A:TG_SPLIT: 0
	.section	.text._ZN9rocsparseL38csrgemm_numeric_fill_wf_per_row_kernelILj256ELj8ELj16ELj137ElifEEvT4_S1_PKS1_S3_NS_24const_host_device_scalarIT5_EEPKT3_S3_PKS5_S9_S3_SB_S6_S9_S3_SB_S9_S3_PS5_21rocsparse_index_base_SD_SD_SD_bbb,"axG",@progbits,_ZN9rocsparseL38csrgemm_numeric_fill_wf_per_row_kernelILj256ELj8ELj16ELj137ElifEEvT4_S1_PKS1_S3_NS_24const_host_device_scalarIT5_EEPKT3_S3_PKS5_S9_S3_SB_S6_S9_S3_SB_S9_S3_PS5_21rocsparse_index_base_SD_SD_SD_bbb,comdat
	.globl	_ZN9rocsparseL38csrgemm_numeric_fill_wf_per_row_kernelILj256ELj8ELj16ELj137ElifEEvT4_S1_PKS1_S3_NS_24const_host_device_scalarIT5_EEPKT3_S3_PKS5_S9_S3_SB_S6_S9_S3_SB_S9_S3_PS5_21rocsparse_index_base_SD_SD_SD_bbb ; -- Begin function _ZN9rocsparseL38csrgemm_numeric_fill_wf_per_row_kernelILj256ELj8ELj16ELj137ElifEEvT4_S1_PKS1_S3_NS_24const_host_device_scalarIT5_EEPKT3_S3_PKS5_S9_S3_SB_S6_S9_S3_SB_S9_S3_PS5_21rocsparse_index_base_SD_SD_SD_bbb
	.p2align	8
	.type	_ZN9rocsparseL38csrgemm_numeric_fill_wf_per_row_kernelILj256ELj8ELj16ELj137ElifEEvT4_S1_PKS1_S3_NS_24const_host_device_scalarIT5_EEPKT3_S3_PKS5_S9_S3_SB_S6_S9_S3_SB_S9_S3_PS5_21rocsparse_index_base_SD_SD_SD_bbb,@function
_ZN9rocsparseL38csrgemm_numeric_fill_wf_per_row_kernelILj256ELj8ELj16ELj137ElifEEvT4_S1_PKS1_S3_NS_24const_host_device_scalarIT5_EEPKT3_S3_PKS5_S9_S3_SB_S6_S9_S3_SB_S9_S3_PS5_21rocsparse_index_base_SD_SD_SD_bbb: ; @_ZN9rocsparseL38csrgemm_numeric_fill_wf_per_row_kernelILj256ELj8ELj16ELj137ElifEEvT4_S1_PKS1_S3_NS_24const_host_device_scalarIT5_EEPKT3_S3_PKS5_S9_S3_SB_S6_S9_S3_SB_S9_S3_PS5_21rocsparse_index_base_SD_SD_SD_bbb
; %bb.0:
	s_load_dword s3, s[0:1], 0x98
	s_load_dwordx4 s[16:19], s[0:1], 0x88
	s_load_dwordx2 s[4:5], s[0:1], 0x18
	s_load_dwordx2 s[20:21], s[0:1], 0x50
	s_waitcnt lgkmcnt(0)
	s_bitcmp1_b32 s3, 0
	s_cselect_b64 s[6:7], -1, 0
	s_bitcmp1_b32 s3, 16
	s_cselect_b64 s[22:23], -1, 0
	s_xor_b64 s[8:9], s[6:7], -1
	s_or_b64 s[8:9], s[22:23], s[8:9]
	s_and_b64 vcc, exec, s[8:9]
	s_cbranch_vccnz .LBB160_2
; %bb.1:
	s_load_dword s4, s[4:5], 0x0
	s_waitcnt lgkmcnt(0)
	v_mov_b32_e32 v15, s4
	s_branch .LBB160_3
.LBB160_2:
	v_mov_b32_e32 v1, s4
	v_cndmask_b32_e64 v15, 0, v1, s[6:7]
.LBB160_3:
	s_load_dwordx2 s[36:37], s[0:1], 0x80
	s_load_dwordx2 s[38:39], s[0:1], 0x70
	;; [unrolled: 1-line block ×3, first 2 shown]
	s_load_dwordx4 s[28:31], s[0:1], 0x8
	s_load_dwordx8 s[8:15], s[0:1], 0x20
	s_bitcmp1_b32 s3, 8
	s_cselect_b64 s[4:5], -1, 0
	s_xor_b64 s[24:25], s[4:5], -1
	s_or_b64 s[22:23], s[22:23], s[24:25]
	s_and_b64 vcc, exec, s[22:23]
	s_cbranch_vccnz .LBB160_5
; %bb.4:
	s_load_dword s3, s[20:21], 0x0
	s_waitcnt lgkmcnt(0)
	v_mov_b32_e32 v13, s3
	s_branch .LBB160_6
.LBB160_5:
	v_mov_b32_e32 v1, s20
	v_cndmask_b32_e64 v13, 0, v1, s[4:5]
.LBB160_6:
	s_load_dwordx4 s[20:23], s[0:1], 0x60
	s_load_dwordx4 s[24:27], s[0:1], 0x40
	s_load_dwordx2 s[34:35], s[0:1], 0x0
	v_and_b32_e32 v16, 7, v0
	v_lshrrev_b32_e32 v0, 3, v0
	v_lshlrev_b32_e32 v1, 2, v16
	v_or_b32_e32 v10, -8, v16
	v_lshl_or_b32 v11, v0, 6, v1
	s_mov_b64 s[0:1], 0
	s_waitcnt lgkmcnt(0)
	v_mov_b32_e32 v1, s35
	v_mov_b32_e32 v2, 0
	;; [unrolled: 1-line block ×4, first 2 shown]
.LBB160_7:                              ; =>This Inner Loop Header: Depth=1
	v_add_co_u32_e32 v4, vcc, 8, v4
	s_xor_b64 s[42:43], vcc, -1
	s_and_b64 s[42:43], exec, s[42:43]
	ds_write2st64_b32 v3, v2, v1 offset1:8
	s_or_b64 s[0:1], s[42:43], s[0:1]
	v_add_u32_e32 v3, 32, v3
	s_andn2_b64 exec, exec, s[0:1]
	s_cbranch_execnz .LBB160_7
; %bb.8:
	s_or_b64 exec, exec, s[0:1]
	s_lshl_b32 s0, s2, 5
	s_and_b32 s0, s0, 0x1fffffe0
	v_or_b32_e32 v4, s0, v0
	v_cmp_gt_i32_e32 vcc, s34, v4
	s_waitcnt lgkmcnt(0)
	s_and_saveexec_b64 s[0:1], vcc
	s_cbranch_execz .LBB160_48
; %bb.9:
	s_cmp_eq_u64 s[30:31], 0
	s_cbranch_scc1 .LBB160_11
; %bb.10:
	s_load_dword s0, s[28:29], 0x0
	s_waitcnt lgkmcnt(0)
	v_add_u32_e32 v2, s0, v4
	v_ashrrev_i32_e32 v3, 31, v2
	v_lshl_add_u64 v[2:3], v[2:3], 2, s[30:31]
	global_load_dword v4, v[2:3], off
.LBB160_11:
	v_lshlrev_b32_e32 v14, 6, v0
	v_or_b32_e32 v12, 0x800, v14
	s_andn2_b64 vcc, exec, s[6:7]
	s_waitcnt vmcnt(0)
	v_ashrrev_i32_e32 v5, 31, v4
	s_cbranch_vccnz .LBB160_29
; %bb.12:
	v_lshl_add_u64 v[0:1], v[4:5], 3, s[8:9]
	global_load_dwordx4 v[0:3], v[0:1], off
	v_subrev_co_u32_e32 v8, vcc, s16, v16
	s_nop 1
	v_subb_co_u32_e64 v9, s[0:1], 0, 0, vcc
	s_waitcnt vmcnt(0)
	v_subrev_co_u32_e32 v6, vcc, s16, v2
	s_nop 1
	v_subbrev_co_u32_e32 v7, vcc, 0, v3, vcc
	v_lshl_add_u64 v[8:9], v[0:1], 0, v[8:9]
	v_cmp_lt_i64_e32 vcc, v[8:9], v[6:7]
	s_and_saveexec_b64 s[0:1], vcc
	s_cbranch_execz .LBB160_28
; %bb.13:
	s_mov_b32 s33, s17
	s_mov_b64 s[2:3], 0
	s_branch .LBB160_15
.LBB160_14:                             ;   in Loop: Header=BB160_15 Depth=1
	s_or_b64 exec, exec, s[6:7]
	v_lshl_add_u64 v[8:9], v[8:9], 0, 8
	v_cmp_ge_i64_e32 vcc, v[8:9], v[6:7]
	s_or_b64 s[2:3], vcc, s[2:3]
	s_andn2_b64 exec, exec, s[2:3]
	s_cbranch_execz .LBB160_28
.LBB160_15:                             ; =>This Loop Header: Depth=1
                                        ;     Child Loop BB160_19 Depth 2
                                        ;       Child Loop BB160_22 Depth 3
	v_lshl_add_u64 v[0:1], v[8:9], 2, s[10:11]
	global_load_dword v0, v[0:1], off
	s_waitcnt vmcnt(0)
	v_subrev_u32_e32 v0, s16, v0
	v_ashrrev_i32_e32 v1, 31, v0
	v_lshl_add_u64 v[0:1], v[0:1], 3, s[14:15]
	global_load_dwordx4 v[0:3], v[0:1], off
	s_waitcnt vmcnt(0)
	v_cmp_lt_i64_e32 vcc, v[0:1], v[2:3]
	s_and_saveexec_b64 s[6:7], vcc
	s_cbranch_execz .LBB160_14
; %bb.16:                               ;   in Loop: Header=BB160_15 Depth=1
	v_lshl_add_u64 v[18:19], v[8:9], 2, s[12:13]
	global_load_dword v17, v[18:19], off
	v_subrev_co_u32_e32 v2, vcc, s33, v2
	s_mov_b64 s[8:9], 0
	s_nop 0
	v_subbrev_co_u32_e32 v3, vcc, 0, v3, vcc
	v_subrev_co_u32_e32 v0, vcc, s33, v0
	s_waitcnt vmcnt(0)
	v_mul_f32_e32 v17, v15, v17
	v_subbrev_co_u32_e32 v1, vcc, 0, v1, vcc
	s_branch .LBB160_19
.LBB160_17:                             ;   in Loop: Header=BB160_19 Depth=2
	s_or_b64 exec, exec, s[30:31]
.LBB160_18:                             ;   in Loop: Header=BB160_19 Depth=2
	s_or_b64 exec, exec, s[28:29]
	s_waitcnt vmcnt(0)
	v_mul_f32_e32 v18, v17, v18
	v_lshl_add_u32 v19, v19, 2, v14
	ds_add_f32 v19, v18
	v_lshl_add_u64 v[0:1], v[0:1], 0, 1
	v_cmp_ge_i64_e32 vcc, v[0:1], v[2:3]
	s_or_b64 s[8:9], vcc, s[8:9]
	s_andn2_b64 exec, exec, s[8:9]
	s_cbranch_execz .LBB160_14
.LBB160_19:                             ;   Parent Loop BB160_15 Depth=1
                                        ; =>  This Loop Header: Depth=2
                                        ;       Child Loop BB160_22 Depth 3
	v_lshlrev_b64 v[18:19], 2, v[0:1]
	v_lshl_add_u64 v[20:21], s[24:25], 0, v[18:19]
	global_load_dword v20, v[20:21], off
	v_lshl_add_u64 v[18:19], s[26:27], 0, v[18:19]
	global_load_dword v18, v[18:19], off
	s_waitcnt vmcnt(1)
	v_subrev_u32_e32 v20, s17, v20
	v_lshl_add_u32 v19, v20, 3, v20
	v_and_b32_e32 v19, 15, v19
	v_lshl_add_u32 v21, v19, 2, v12
	ds_read_b32 v22, v21
	s_waitcnt lgkmcnt(0)
	v_cmp_ne_u32_e32 vcc, v22, v20
	s_and_saveexec_b64 s[28:29], vcc
	s_cbranch_execz .LBB160_18
; %bb.20:                               ;   in Loop: Header=BB160_19 Depth=2
	s_mov_b64 s[30:31], 0
	s_branch .LBB160_22
.LBB160_21:                             ;   in Loop: Header=BB160_22 Depth=3
	s_or_b64 exec, exec, s[46:47]
	s_and_b64 s[42:43], exec, s[44:45]
	s_or_b64 s[30:31], s[42:43], s[30:31]
	s_andn2_b64 exec, exec, s[30:31]
	s_cbranch_execz .LBB160_17
.LBB160_22:                             ;   Parent Loop BB160_15 Depth=1
                                        ;     Parent Loop BB160_19 Depth=2
                                        ; =>    This Inner Loop Header: Depth=3
	v_cmp_ne_u32_e32 vcc, s35, v22
	s_mov_b64 s[42:43], 0
	s_and_saveexec_b64 s[44:45], vcc
	s_xor_b64 s[44:45], exec, s[44:45]
	s_cbranch_execz .LBB160_24
; %bb.23:                               ;   in Loop: Header=BB160_22 Depth=3
	v_add_u32_e32 v19, 1, v19
	s_mov_b64 s[42:43], exec
	v_and_b32_e32 v19, 15, v19
                                        ; implicit-def: $vgpr21
	s_andn2_saveexec_b64 s[44:45], s[44:45]
	s_cbranch_execz .LBB160_26
	s_branch .LBB160_25
.LBB160_24:                             ;   in Loop: Header=BB160_22 Depth=3
	s_andn2_saveexec_b64 s[44:45], s[44:45]
	s_cbranch_execz .LBB160_26
.LBB160_25:                             ;   in Loop: Header=BB160_22 Depth=3
	v_mov_b32_e32 v22, s35
	ds_cmpst_rtn_b32 v21, v21, v22, v20
	s_andn2_b64 s[42:43], s[42:43], exec
	s_waitcnt lgkmcnt(0)
	v_cmp_ne_u32_e32 vcc, s35, v21
	s_and_b64 s[46:47], vcc, exec
	s_or_b64 s[42:43], s[42:43], s[46:47]
.LBB160_26:                             ;   in Loop: Header=BB160_22 Depth=3
	s_or_b64 exec, exec, s[44:45]
	s_mov_b64 s[44:45], -1
                                        ; implicit-def: $vgpr21
                                        ; implicit-def: $vgpr22
	s_and_saveexec_b64 s[46:47], s[42:43]
	s_cbranch_execz .LBB160_21
; %bb.27:                               ;   in Loop: Header=BB160_22 Depth=3
	v_lshl_add_u32 v21, v19, 2, v12
	ds_read_b32 v22, v21
	s_waitcnt lgkmcnt(0)
	v_cmp_eq_u32_e32 vcc, v22, v20
	s_orn2_b64 s[44:45], vcc, exec
	s_branch .LBB160_21
.LBB160_28:
	s_or_b64 exec, exec, s[0:1]
.LBB160_29:
	s_andn2_b64 vcc, exec, s[4:5]
	s_cbranch_vccnz .LBB160_44
; %bb.30:
	v_lshl_add_u64 v[0:1], v[4:5], 3, s[40:41]
	global_load_dwordx4 v[6:9], v[0:1], off
	v_subrev_co_u32_e32 v2, vcc, s19, v16
	s_nop 1
	v_subb_co_u32_e64 v3, s[0:1], 0, 0, vcc
	s_waitcnt vmcnt(0)
	v_subrev_co_u32_e32 v0, vcc, s19, v8
	s_nop 1
	v_subbrev_co_u32_e32 v1, vcc, 0, v9, vcc
	v_lshl_add_u64 v[2:3], v[6:7], 0, v[2:3]
	v_cmp_lt_i64_e32 vcc, v[2:3], v[0:1]
	s_and_saveexec_b64 s[0:1], vcc
	s_cbranch_execz .LBB160_43
; %bb.31:
	s_mov_b64 s[2:3], 0
	s_branch .LBB160_34
.LBB160_32:                             ;   in Loop: Header=BB160_34 Depth=1
	s_or_b64 exec, exec, s[6:7]
.LBB160_33:                             ;   in Loop: Header=BB160_34 Depth=1
	s_or_b64 exec, exec, s[4:5]
	s_waitcnt vmcnt(0)
	v_mul_f32_e32 v6, v13, v6
	v_lshl_add_u32 v7, v7, 2, v14
	ds_add_f32 v7, v6
	v_lshl_add_u64 v[2:3], v[2:3], 0, 8
	v_cmp_ge_i64_e32 vcc, v[2:3], v[0:1]
	s_or_b64 s[2:3], vcc, s[2:3]
	s_andn2_b64 exec, exec, s[2:3]
	s_cbranch_execz .LBB160_43
.LBB160_34:                             ; =>This Loop Header: Depth=1
                                        ;     Child Loop BB160_37 Depth 2
	v_lshlrev_b64 v[6:7], 2, v[2:3]
	v_lshl_add_u64 v[8:9], s[20:21], 0, v[6:7]
	global_load_dword v8, v[8:9], off
	v_lshl_add_u64 v[6:7], s[22:23], 0, v[6:7]
	global_load_dword v6, v[6:7], off
	s_waitcnt vmcnt(1)
	v_subrev_u32_e32 v8, s19, v8
	v_lshl_add_u32 v7, v8, 3, v8
	v_and_b32_e32 v7, 15, v7
	v_lshl_add_u32 v9, v7, 2, v12
	ds_read_b32 v15, v9
	s_waitcnt lgkmcnt(0)
	v_cmp_ne_u32_e32 vcc, v15, v8
	s_and_saveexec_b64 s[4:5], vcc
	s_cbranch_execz .LBB160_33
; %bb.35:                               ;   in Loop: Header=BB160_34 Depth=1
	s_mov_b64 s[6:7], 0
	s_branch .LBB160_37
.LBB160_36:                             ;   in Loop: Header=BB160_37 Depth=2
	s_or_b64 exec, exec, s[12:13]
	s_and_b64 s[8:9], exec, s[10:11]
	s_or_b64 s[6:7], s[8:9], s[6:7]
	s_andn2_b64 exec, exec, s[6:7]
	s_cbranch_execz .LBB160_32
.LBB160_37:                             ;   Parent Loop BB160_34 Depth=1
                                        ; =>  This Inner Loop Header: Depth=2
	v_cmp_ne_u32_e32 vcc, s35, v15
	s_mov_b64 s[8:9], 0
	s_and_saveexec_b64 s[10:11], vcc
	s_xor_b64 s[10:11], exec, s[10:11]
	s_cbranch_execz .LBB160_39
; %bb.38:                               ;   in Loop: Header=BB160_37 Depth=2
	v_add_u32_e32 v7, 1, v7
	s_mov_b64 s[8:9], exec
	v_and_b32_e32 v7, 15, v7
                                        ; implicit-def: $vgpr9
	s_andn2_saveexec_b64 s[10:11], s[10:11]
	s_cbranch_execz .LBB160_41
	s_branch .LBB160_40
.LBB160_39:                             ;   in Loop: Header=BB160_37 Depth=2
	s_andn2_saveexec_b64 s[10:11], s[10:11]
	s_cbranch_execz .LBB160_41
.LBB160_40:                             ;   in Loop: Header=BB160_37 Depth=2
	v_mov_b32_e32 v15, s35
	ds_cmpst_rtn_b32 v9, v9, v15, v8
	s_andn2_b64 s[8:9], s[8:9], exec
	s_waitcnt lgkmcnt(0)
	v_cmp_ne_u32_e32 vcc, s35, v9
	s_and_b64 s[12:13], vcc, exec
	s_or_b64 s[8:9], s[8:9], s[12:13]
.LBB160_41:                             ;   in Loop: Header=BB160_37 Depth=2
	s_or_b64 exec, exec, s[10:11]
	s_mov_b64 s[10:11], -1
                                        ; implicit-def: $vgpr9
                                        ; implicit-def: $vgpr15
	s_and_saveexec_b64 s[12:13], s[8:9]
	s_cbranch_execz .LBB160_36
; %bb.42:                               ;   in Loop: Header=BB160_37 Depth=2
	v_lshl_add_u32 v9, v7, 2, v12
	ds_read_b32 v15, v9
	s_waitcnt lgkmcnt(0)
	v_cmp_eq_u32_e32 vcc, v15, v8
	s_orn2_b64 s[10:11], vcc, exec
	s_branch .LBB160_36
.LBB160_43:
	s_or_b64 exec, exec, s[0:1]
.LBB160_44:
	v_lshl_add_u64 v[0:1], v[4:5], 3, s[38:39]
	s_waitcnt lgkmcnt(0)
	global_load_dwordx2 v[0:1], v[0:1], off
	s_mov_b64 s[0:1], 0
	v_mov_b32_e32 v3, 0
	s_waitcnt vmcnt(0)
	v_subrev_co_u32_e32 v0, vcc, s18, v0
	s_nop 1
	v_subbrev_co_u32_e32 v1, vcc, 0, v1, vcc
	v_lshl_add_u64 v[0:1], v[0:1], 2, s[36:37]
	s_branch .LBB160_46
.LBB160_45:                             ;   in Loop: Header=BB160_46 Depth=1
	s_or_b64 exec, exec, s[2:3]
	v_add_co_u32_e32 v10, vcc, 8, v10
	s_xor_b64 s[2:3], vcc, -1
	s_and_b64 s[2:3], exec, s[2:3]
	s_or_b64 s[0:1], s[2:3], s[0:1]
	v_add_u32_e32 v11, 32, v11
	s_andn2_b64 exec, exec, s[0:1]
	s_cbranch_execz .LBB160_48
.LBB160_46:                             ; =>This Inner Loop Header: Depth=1
	ds_read_b32 v4, v11 offset:2048
	s_waitcnt lgkmcnt(0)
	v_cmp_gt_i32_e32 vcc, s35, v4
	s_and_saveexec_b64 s[2:3], vcc
	s_cbranch_execz .LBB160_45
; %bb.47:                               ;   in Loop: Header=BB160_46 Depth=1
	ds_read_b128 v[6:9], v12
	ds_read_b128 v[14:17], v12 offset:16
	ds_read_b128 v[18:21], v12 offset:32
	;; [unrolled: 1-line block ×3, first 2 shown]
	ds_read_b32 v13, v11
	s_waitcnt lgkmcnt(4)
	v_cmp_gt_i32_e32 vcc, v4, v6
	s_nop 1
	v_cndmask_b32_e64 v2, 0, 1, vcc
	v_lshlrev_b32_e32 v2, 2, v2
	v_cmp_gt_i32_e32 vcc, v4, v7
	v_lshl_add_u64 v[26:27], v[0:1], 0, v[2:3]
	s_nop 0
	v_cndmask_b32_e64 v2, 0, 1, vcc
	v_lshlrev_b32_e32 v2, 2, v2
	v_cmp_gt_i32_e32 vcc, v4, v8
	v_lshl_add_u64 v[6:7], v[26:27], 0, v[2:3]
	s_nop 0
	v_cndmask_b32_e64 v2, 0, 1, vcc
	v_lshlrev_b32_e32 v2, 2, v2
	v_cmp_gt_i32_e32 vcc, v4, v9
	v_lshl_add_u64 v[6:7], v[6:7], 0, v[2:3]
	s_nop 0
	v_cndmask_b32_e64 v2, 0, 1, vcc
	v_lshlrev_b32_e32 v2, 2, v2
	s_waitcnt lgkmcnt(3)
	v_cmp_gt_i32_e32 vcc, v4, v14
	v_lshl_add_u64 v[6:7], v[6:7], 0, v[2:3]
	s_nop 0
	v_cndmask_b32_e64 v2, 0, 1, vcc
	v_lshlrev_b32_e32 v2, 2, v2
	v_cmp_gt_i32_e32 vcc, v4, v15
	v_lshl_add_u64 v[6:7], v[6:7], 0, v[2:3]
	s_nop 0
	v_cndmask_b32_e64 v2, 0, 1, vcc
	v_lshlrev_b32_e32 v2, 2, v2
	v_cmp_gt_i32_e32 vcc, v4, v16
	v_lshl_add_u64 v[6:7], v[6:7], 0, v[2:3]
	s_nop 0
	v_cndmask_b32_e64 v2, 0, 1, vcc
	v_lshlrev_b32_e32 v2, 2, v2
	v_cmp_gt_i32_e32 vcc, v4, v17
	v_lshl_add_u64 v[6:7], v[6:7], 0, v[2:3]
	s_nop 0
	v_cndmask_b32_e64 v2, 0, 1, vcc
	v_lshlrev_b32_e32 v2, 2, v2
	s_waitcnt lgkmcnt(2)
	v_cmp_gt_i32_e32 vcc, v4, v18
	v_lshl_add_u64 v[6:7], v[6:7], 0, v[2:3]
	;; [unrolled: 21-line block ×3, first 2 shown]
	s_nop 0
	v_cndmask_b32_e64 v2, 0, 1, vcc
	v_lshlrev_b32_e32 v2, 2, v2
	v_cmp_gt_i32_e32 vcc, v4, v23
	v_lshl_add_u64 v[6:7], v[6:7], 0, v[2:3]
	s_nop 0
	v_cndmask_b32_e64 v2, 0, 1, vcc
	v_lshlrev_b32_e32 v2, 2, v2
	v_cmp_gt_i32_e32 vcc, v4, v24
	v_lshl_add_u64 v[6:7], v[6:7], 0, v[2:3]
	;; [unrolled: 5-line block ×3, first 2 shown]
	s_nop 0
	v_cndmask_b32_e64 v2, 0, 1, vcc
	v_lshlrev_b32_e32 v2, 2, v2
	v_lshl_add_u64 v[4:5], v[6:7], 0, v[2:3]
	s_waitcnt lgkmcnt(0)
	global_store_dword v[4:5], v13, off
	s_branch .LBB160_45
.LBB160_48:
	s_endpgm
	.section	.rodata,"a",@progbits
	.p2align	6, 0x0
	.amdhsa_kernel _ZN9rocsparseL38csrgemm_numeric_fill_wf_per_row_kernelILj256ELj8ELj16ELj137ElifEEvT4_S1_PKS1_S3_NS_24const_host_device_scalarIT5_EEPKT3_S3_PKS5_S9_S3_SB_S6_S9_S3_SB_S9_S3_PS5_21rocsparse_index_base_SD_SD_SD_bbb
		.amdhsa_group_segment_fixed_size 4096
		.amdhsa_private_segment_fixed_size 0
		.amdhsa_kernarg_size 156
		.amdhsa_user_sgpr_count 2
		.amdhsa_user_sgpr_dispatch_ptr 0
		.amdhsa_user_sgpr_queue_ptr 0
		.amdhsa_user_sgpr_kernarg_segment_ptr 1
		.amdhsa_user_sgpr_dispatch_id 0
		.amdhsa_user_sgpr_kernarg_preload_length 0
		.amdhsa_user_sgpr_kernarg_preload_offset 0
		.amdhsa_user_sgpr_private_segment_size 0
		.amdhsa_uses_dynamic_stack 0
		.amdhsa_enable_private_segment 0
		.amdhsa_system_sgpr_workgroup_id_x 1
		.amdhsa_system_sgpr_workgroup_id_y 0
		.amdhsa_system_sgpr_workgroup_id_z 0
		.amdhsa_system_sgpr_workgroup_info 0
		.amdhsa_system_vgpr_workitem_id 0
		.amdhsa_next_free_vgpr 28
		.amdhsa_next_free_sgpr 48
		.amdhsa_accum_offset 28
		.amdhsa_reserve_vcc 1
		.amdhsa_float_round_mode_32 0
		.amdhsa_float_round_mode_16_64 0
		.amdhsa_float_denorm_mode_32 3
		.amdhsa_float_denorm_mode_16_64 3
		.amdhsa_dx10_clamp 1
		.amdhsa_ieee_mode 1
		.amdhsa_fp16_overflow 0
		.amdhsa_tg_split 0
		.amdhsa_exception_fp_ieee_invalid_op 0
		.amdhsa_exception_fp_denorm_src 0
		.amdhsa_exception_fp_ieee_div_zero 0
		.amdhsa_exception_fp_ieee_overflow 0
		.amdhsa_exception_fp_ieee_underflow 0
		.amdhsa_exception_fp_ieee_inexact 0
		.amdhsa_exception_int_div_zero 0
	.end_amdhsa_kernel
	.section	.text._ZN9rocsparseL38csrgemm_numeric_fill_wf_per_row_kernelILj256ELj8ELj16ELj137ElifEEvT4_S1_PKS1_S3_NS_24const_host_device_scalarIT5_EEPKT3_S3_PKS5_S9_S3_SB_S6_S9_S3_SB_S9_S3_PS5_21rocsparse_index_base_SD_SD_SD_bbb,"axG",@progbits,_ZN9rocsparseL38csrgemm_numeric_fill_wf_per_row_kernelILj256ELj8ELj16ELj137ElifEEvT4_S1_PKS1_S3_NS_24const_host_device_scalarIT5_EEPKT3_S3_PKS5_S9_S3_SB_S6_S9_S3_SB_S9_S3_PS5_21rocsparse_index_base_SD_SD_SD_bbb,comdat
.Lfunc_end160:
	.size	_ZN9rocsparseL38csrgemm_numeric_fill_wf_per_row_kernelILj256ELj8ELj16ELj137ElifEEvT4_S1_PKS1_S3_NS_24const_host_device_scalarIT5_EEPKT3_S3_PKS5_S9_S3_SB_S6_S9_S3_SB_S9_S3_PS5_21rocsparse_index_base_SD_SD_SD_bbb, .Lfunc_end160-_ZN9rocsparseL38csrgemm_numeric_fill_wf_per_row_kernelILj256ELj8ELj16ELj137ElifEEvT4_S1_PKS1_S3_NS_24const_host_device_scalarIT5_EEPKT3_S3_PKS5_S9_S3_SB_S6_S9_S3_SB_S9_S3_PS5_21rocsparse_index_base_SD_SD_SD_bbb
                                        ; -- End function
	.set _ZN9rocsparseL38csrgemm_numeric_fill_wf_per_row_kernelILj256ELj8ELj16ELj137ElifEEvT4_S1_PKS1_S3_NS_24const_host_device_scalarIT5_EEPKT3_S3_PKS5_S9_S3_SB_S6_S9_S3_SB_S9_S3_PS5_21rocsparse_index_base_SD_SD_SD_bbb.num_vgpr, 28
	.set _ZN9rocsparseL38csrgemm_numeric_fill_wf_per_row_kernelILj256ELj8ELj16ELj137ElifEEvT4_S1_PKS1_S3_NS_24const_host_device_scalarIT5_EEPKT3_S3_PKS5_S9_S3_SB_S6_S9_S3_SB_S9_S3_PS5_21rocsparse_index_base_SD_SD_SD_bbb.num_agpr, 0
	.set _ZN9rocsparseL38csrgemm_numeric_fill_wf_per_row_kernelILj256ELj8ELj16ELj137ElifEEvT4_S1_PKS1_S3_NS_24const_host_device_scalarIT5_EEPKT3_S3_PKS5_S9_S3_SB_S6_S9_S3_SB_S9_S3_PS5_21rocsparse_index_base_SD_SD_SD_bbb.numbered_sgpr, 48
	.set _ZN9rocsparseL38csrgemm_numeric_fill_wf_per_row_kernelILj256ELj8ELj16ELj137ElifEEvT4_S1_PKS1_S3_NS_24const_host_device_scalarIT5_EEPKT3_S3_PKS5_S9_S3_SB_S6_S9_S3_SB_S9_S3_PS5_21rocsparse_index_base_SD_SD_SD_bbb.num_named_barrier, 0
	.set _ZN9rocsparseL38csrgemm_numeric_fill_wf_per_row_kernelILj256ELj8ELj16ELj137ElifEEvT4_S1_PKS1_S3_NS_24const_host_device_scalarIT5_EEPKT3_S3_PKS5_S9_S3_SB_S6_S9_S3_SB_S9_S3_PS5_21rocsparse_index_base_SD_SD_SD_bbb.private_seg_size, 0
	.set _ZN9rocsparseL38csrgemm_numeric_fill_wf_per_row_kernelILj256ELj8ELj16ELj137ElifEEvT4_S1_PKS1_S3_NS_24const_host_device_scalarIT5_EEPKT3_S3_PKS5_S9_S3_SB_S6_S9_S3_SB_S9_S3_PS5_21rocsparse_index_base_SD_SD_SD_bbb.uses_vcc, 1
	.set _ZN9rocsparseL38csrgemm_numeric_fill_wf_per_row_kernelILj256ELj8ELj16ELj137ElifEEvT4_S1_PKS1_S3_NS_24const_host_device_scalarIT5_EEPKT3_S3_PKS5_S9_S3_SB_S6_S9_S3_SB_S9_S3_PS5_21rocsparse_index_base_SD_SD_SD_bbb.uses_flat_scratch, 0
	.set _ZN9rocsparseL38csrgemm_numeric_fill_wf_per_row_kernelILj256ELj8ELj16ELj137ElifEEvT4_S1_PKS1_S3_NS_24const_host_device_scalarIT5_EEPKT3_S3_PKS5_S9_S3_SB_S6_S9_S3_SB_S9_S3_PS5_21rocsparse_index_base_SD_SD_SD_bbb.has_dyn_sized_stack, 0
	.set _ZN9rocsparseL38csrgemm_numeric_fill_wf_per_row_kernelILj256ELj8ELj16ELj137ElifEEvT4_S1_PKS1_S3_NS_24const_host_device_scalarIT5_EEPKT3_S3_PKS5_S9_S3_SB_S6_S9_S3_SB_S9_S3_PS5_21rocsparse_index_base_SD_SD_SD_bbb.has_recursion, 0
	.set _ZN9rocsparseL38csrgemm_numeric_fill_wf_per_row_kernelILj256ELj8ELj16ELj137ElifEEvT4_S1_PKS1_S3_NS_24const_host_device_scalarIT5_EEPKT3_S3_PKS5_S9_S3_SB_S6_S9_S3_SB_S9_S3_PS5_21rocsparse_index_base_SD_SD_SD_bbb.has_indirect_call, 0
	.section	.AMDGPU.csdata,"",@progbits
; Kernel info:
; codeLenInByte = 1976
; TotalNumSgprs: 54
; NumVgprs: 28
; NumAgprs: 0
; TotalNumVgprs: 28
; ScratchSize: 0
; MemoryBound: 0
; FloatMode: 240
; IeeeMode: 1
; LDSByteSize: 4096 bytes/workgroup (compile time only)
; SGPRBlocks: 6
; VGPRBlocks: 3
; NumSGPRsForWavesPerEU: 54
; NumVGPRsForWavesPerEU: 28
; AccumOffset: 28
; Occupancy: 8
; WaveLimiterHint : 1
; COMPUTE_PGM_RSRC2:SCRATCH_EN: 0
; COMPUTE_PGM_RSRC2:USER_SGPR: 2
; COMPUTE_PGM_RSRC2:TRAP_HANDLER: 0
; COMPUTE_PGM_RSRC2:TGID_X_EN: 1
; COMPUTE_PGM_RSRC2:TGID_Y_EN: 0
; COMPUTE_PGM_RSRC2:TGID_Z_EN: 0
; COMPUTE_PGM_RSRC2:TIDIG_COMP_CNT: 0
; COMPUTE_PGM_RSRC3_GFX90A:ACCUM_OFFSET: 6
; COMPUTE_PGM_RSRC3_GFX90A:TG_SPLIT: 0
	.section	.text._ZN9rocsparseL38csrgemm_numeric_fill_wf_per_row_kernelILj256ELj16ELj32ELj137ElifEEvT4_S1_PKS1_S3_NS_24const_host_device_scalarIT5_EEPKT3_S3_PKS5_S9_S3_SB_S6_S9_S3_SB_S9_S3_PS5_21rocsparse_index_base_SD_SD_SD_bbb,"axG",@progbits,_ZN9rocsparseL38csrgemm_numeric_fill_wf_per_row_kernelILj256ELj16ELj32ELj137ElifEEvT4_S1_PKS1_S3_NS_24const_host_device_scalarIT5_EEPKT3_S3_PKS5_S9_S3_SB_S6_S9_S3_SB_S9_S3_PS5_21rocsparse_index_base_SD_SD_SD_bbb,comdat
	.globl	_ZN9rocsparseL38csrgemm_numeric_fill_wf_per_row_kernelILj256ELj16ELj32ELj137ElifEEvT4_S1_PKS1_S3_NS_24const_host_device_scalarIT5_EEPKT3_S3_PKS5_S9_S3_SB_S6_S9_S3_SB_S9_S3_PS5_21rocsparse_index_base_SD_SD_SD_bbb ; -- Begin function _ZN9rocsparseL38csrgemm_numeric_fill_wf_per_row_kernelILj256ELj16ELj32ELj137ElifEEvT4_S1_PKS1_S3_NS_24const_host_device_scalarIT5_EEPKT3_S3_PKS5_S9_S3_SB_S6_S9_S3_SB_S9_S3_PS5_21rocsparse_index_base_SD_SD_SD_bbb
	.p2align	8
	.type	_ZN9rocsparseL38csrgemm_numeric_fill_wf_per_row_kernelILj256ELj16ELj32ELj137ElifEEvT4_S1_PKS1_S3_NS_24const_host_device_scalarIT5_EEPKT3_S3_PKS5_S9_S3_SB_S6_S9_S3_SB_S9_S3_PS5_21rocsparse_index_base_SD_SD_SD_bbb,@function
_ZN9rocsparseL38csrgemm_numeric_fill_wf_per_row_kernelILj256ELj16ELj32ELj137ElifEEvT4_S1_PKS1_S3_NS_24const_host_device_scalarIT5_EEPKT3_S3_PKS5_S9_S3_SB_S6_S9_S3_SB_S9_S3_PS5_21rocsparse_index_base_SD_SD_SD_bbb: ; @_ZN9rocsparseL38csrgemm_numeric_fill_wf_per_row_kernelILj256ELj16ELj32ELj137ElifEEvT4_S1_PKS1_S3_NS_24const_host_device_scalarIT5_EEPKT3_S3_PKS5_S9_S3_SB_S6_S9_S3_SB_S9_S3_PS5_21rocsparse_index_base_SD_SD_SD_bbb
; %bb.0:
	s_load_dword s3, s[0:1], 0x98
	s_load_dwordx4 s[16:19], s[0:1], 0x88
	s_load_dwordx2 s[4:5], s[0:1], 0x18
	s_load_dwordx2 s[20:21], s[0:1], 0x50
	s_waitcnt lgkmcnt(0)
	s_bitcmp1_b32 s3, 0
	s_cselect_b64 s[6:7], -1, 0
	s_bitcmp1_b32 s3, 16
	s_cselect_b64 s[22:23], -1, 0
	s_xor_b64 s[8:9], s[6:7], -1
	s_or_b64 s[8:9], s[22:23], s[8:9]
	s_and_b64 vcc, exec, s[8:9]
	s_cbranch_vccnz .LBB161_2
; %bb.1:
	s_load_dword s4, s[4:5], 0x0
	s_waitcnt lgkmcnt(0)
	v_mov_b32_e32 v15, s4
	s_branch .LBB161_3
.LBB161_2:
	v_mov_b32_e32 v1, s4
	v_cndmask_b32_e64 v15, 0, v1, s[6:7]
.LBB161_3:
	s_load_dwordx2 s[36:37], s[0:1], 0x80
	s_load_dwordx2 s[38:39], s[0:1], 0x70
	;; [unrolled: 1-line block ×3, first 2 shown]
	s_load_dwordx4 s[28:31], s[0:1], 0x8
	s_load_dwordx8 s[8:15], s[0:1], 0x20
	s_bitcmp1_b32 s3, 8
	s_cselect_b64 s[4:5], -1, 0
	s_xor_b64 s[24:25], s[4:5], -1
	s_or_b64 s[22:23], s[22:23], s[24:25]
	s_and_b64 vcc, exec, s[22:23]
	s_cbranch_vccnz .LBB161_5
; %bb.4:
	s_load_dword s3, s[20:21], 0x0
	s_waitcnt lgkmcnt(0)
	v_mov_b32_e32 v13, s3
	s_branch .LBB161_6
.LBB161_5:
	v_mov_b32_e32 v1, s20
	v_cndmask_b32_e64 v13, 0, v1, s[4:5]
.LBB161_6:
	s_load_dwordx4 s[20:23], s[0:1], 0x60
	s_load_dwordx4 s[24:27], s[0:1], 0x40
	s_load_dwordx2 s[34:35], s[0:1], 0x0
	v_and_b32_e32 v16, 15, v0
	v_lshrrev_b32_e32 v0, 4, v0
	v_lshlrev_b32_e32 v1, 2, v16
	v_or_b32_e32 v10, -16, v16
	v_lshl_or_b32 v11, v0, 7, v1
	s_mov_b64 s[0:1], 0
	s_waitcnt lgkmcnt(0)
	v_mov_b32_e32 v1, s35
	v_mov_b32_e32 v2, 0
	;; [unrolled: 1-line block ×4, first 2 shown]
.LBB161_7:                              ; =>This Inner Loop Header: Depth=1
	v_add_co_u32_e32 v4, vcc, 16, v4
	s_xor_b64 s[42:43], vcc, -1
	s_and_b64 s[42:43], exec, s[42:43]
	ds_write2st64_b32 v3, v2, v1 offset1:8
	s_or_b64 s[0:1], s[42:43], s[0:1]
	v_add_u32_e32 v3, 64, v3
	s_andn2_b64 exec, exec, s[0:1]
	s_cbranch_execnz .LBB161_7
; %bb.8:
	s_or_b64 exec, exec, s[0:1]
	s_lshl_b32 s0, s2, 4
	s_and_b32 s0, s0, 0xffffff0
	v_or_b32_e32 v4, s0, v0
	v_cmp_gt_i32_e32 vcc, s34, v4
	s_waitcnt lgkmcnt(0)
	s_and_saveexec_b64 s[0:1], vcc
	s_cbranch_execz .LBB161_48
; %bb.9:
	s_cmp_eq_u64 s[30:31], 0
	s_cbranch_scc1 .LBB161_11
; %bb.10:
	s_load_dword s0, s[28:29], 0x0
	s_waitcnt lgkmcnt(0)
	v_add_u32_e32 v2, s0, v4
	v_ashrrev_i32_e32 v3, 31, v2
	v_lshl_add_u64 v[2:3], v[2:3], 2, s[30:31]
	global_load_dword v4, v[2:3], off
.LBB161_11:
	v_lshlrev_b32_e32 v14, 7, v0
	v_or_b32_e32 v12, 0x800, v14
	s_andn2_b64 vcc, exec, s[6:7]
	s_waitcnt vmcnt(0)
	v_ashrrev_i32_e32 v5, 31, v4
	s_cbranch_vccnz .LBB161_29
; %bb.12:
	v_lshl_add_u64 v[0:1], v[4:5], 3, s[8:9]
	global_load_dwordx4 v[0:3], v[0:1], off
	v_subrev_co_u32_e32 v8, vcc, s16, v16
	s_nop 1
	v_subb_co_u32_e64 v9, s[0:1], 0, 0, vcc
	s_waitcnt vmcnt(0)
	v_subrev_co_u32_e32 v6, vcc, s16, v2
	s_nop 1
	v_subbrev_co_u32_e32 v7, vcc, 0, v3, vcc
	v_lshl_add_u64 v[8:9], v[0:1], 0, v[8:9]
	v_cmp_lt_i64_e32 vcc, v[8:9], v[6:7]
	s_and_saveexec_b64 s[0:1], vcc
	s_cbranch_execz .LBB161_28
; %bb.13:
	s_mov_b32 s33, s17
	s_mov_b64 s[2:3], 0
	s_branch .LBB161_15
.LBB161_14:                             ;   in Loop: Header=BB161_15 Depth=1
	s_or_b64 exec, exec, s[6:7]
	v_lshl_add_u64 v[8:9], v[8:9], 0, 16
	v_cmp_ge_i64_e32 vcc, v[8:9], v[6:7]
	s_or_b64 s[2:3], vcc, s[2:3]
	s_andn2_b64 exec, exec, s[2:3]
	s_cbranch_execz .LBB161_28
.LBB161_15:                             ; =>This Loop Header: Depth=1
                                        ;     Child Loop BB161_19 Depth 2
                                        ;       Child Loop BB161_22 Depth 3
	v_lshl_add_u64 v[0:1], v[8:9], 2, s[10:11]
	global_load_dword v0, v[0:1], off
	s_waitcnt vmcnt(0)
	v_subrev_u32_e32 v0, s16, v0
	v_ashrrev_i32_e32 v1, 31, v0
	v_lshl_add_u64 v[0:1], v[0:1], 3, s[14:15]
	global_load_dwordx4 v[0:3], v[0:1], off
	s_waitcnt vmcnt(0)
	v_cmp_lt_i64_e32 vcc, v[0:1], v[2:3]
	s_and_saveexec_b64 s[6:7], vcc
	s_cbranch_execz .LBB161_14
; %bb.16:                               ;   in Loop: Header=BB161_15 Depth=1
	v_lshl_add_u64 v[18:19], v[8:9], 2, s[12:13]
	global_load_dword v17, v[18:19], off
	v_subrev_co_u32_e32 v2, vcc, s33, v2
	s_mov_b64 s[8:9], 0
	s_nop 0
	v_subbrev_co_u32_e32 v3, vcc, 0, v3, vcc
	v_subrev_co_u32_e32 v0, vcc, s33, v0
	s_waitcnt vmcnt(0)
	v_mul_f32_e32 v17, v15, v17
	v_subbrev_co_u32_e32 v1, vcc, 0, v1, vcc
	s_branch .LBB161_19
.LBB161_17:                             ;   in Loop: Header=BB161_19 Depth=2
	s_or_b64 exec, exec, s[30:31]
.LBB161_18:                             ;   in Loop: Header=BB161_19 Depth=2
	s_or_b64 exec, exec, s[28:29]
	s_waitcnt vmcnt(0)
	v_mul_f32_e32 v18, v17, v18
	v_lshl_add_u32 v19, v19, 2, v14
	ds_add_f32 v19, v18
	v_lshl_add_u64 v[0:1], v[0:1], 0, 1
	v_cmp_ge_i64_e32 vcc, v[0:1], v[2:3]
	s_or_b64 s[8:9], vcc, s[8:9]
	s_andn2_b64 exec, exec, s[8:9]
	s_cbranch_execz .LBB161_14
.LBB161_19:                             ;   Parent Loop BB161_15 Depth=1
                                        ; =>  This Loop Header: Depth=2
                                        ;       Child Loop BB161_22 Depth 3
	v_lshlrev_b64 v[18:19], 2, v[0:1]
	v_lshl_add_u64 v[20:21], s[24:25], 0, v[18:19]
	global_load_dword v20, v[20:21], off
	v_lshl_add_u64 v[18:19], s[26:27], 0, v[18:19]
	global_load_dword v18, v[18:19], off
	s_waitcnt vmcnt(1)
	v_subrev_u32_e32 v20, s17, v20
	v_lshl_add_u32 v19, v20, 3, v20
	v_and_b32_e32 v19, 31, v19
	v_lshl_add_u32 v21, v19, 2, v12
	ds_read_b32 v22, v21
	s_waitcnt lgkmcnt(0)
	v_cmp_ne_u32_e32 vcc, v22, v20
	s_and_saveexec_b64 s[28:29], vcc
	s_cbranch_execz .LBB161_18
; %bb.20:                               ;   in Loop: Header=BB161_19 Depth=2
	s_mov_b64 s[30:31], 0
	s_branch .LBB161_22
.LBB161_21:                             ;   in Loop: Header=BB161_22 Depth=3
	s_or_b64 exec, exec, s[46:47]
	s_and_b64 s[42:43], exec, s[44:45]
	s_or_b64 s[30:31], s[42:43], s[30:31]
	s_andn2_b64 exec, exec, s[30:31]
	s_cbranch_execz .LBB161_17
.LBB161_22:                             ;   Parent Loop BB161_15 Depth=1
                                        ;     Parent Loop BB161_19 Depth=2
                                        ; =>    This Inner Loop Header: Depth=3
	v_cmp_ne_u32_e32 vcc, s35, v22
	s_mov_b64 s[42:43], 0
	s_and_saveexec_b64 s[44:45], vcc
	s_xor_b64 s[44:45], exec, s[44:45]
	s_cbranch_execz .LBB161_24
; %bb.23:                               ;   in Loop: Header=BB161_22 Depth=3
	v_add_u32_e32 v19, 1, v19
	s_mov_b64 s[42:43], exec
	v_and_b32_e32 v19, 31, v19
                                        ; implicit-def: $vgpr21
	s_andn2_saveexec_b64 s[44:45], s[44:45]
	s_cbranch_execz .LBB161_26
	s_branch .LBB161_25
.LBB161_24:                             ;   in Loop: Header=BB161_22 Depth=3
	s_andn2_saveexec_b64 s[44:45], s[44:45]
	s_cbranch_execz .LBB161_26
.LBB161_25:                             ;   in Loop: Header=BB161_22 Depth=3
	v_mov_b32_e32 v22, s35
	ds_cmpst_rtn_b32 v21, v21, v22, v20
	s_andn2_b64 s[42:43], s[42:43], exec
	s_waitcnt lgkmcnt(0)
	v_cmp_ne_u32_e32 vcc, s35, v21
	s_and_b64 s[46:47], vcc, exec
	s_or_b64 s[42:43], s[42:43], s[46:47]
.LBB161_26:                             ;   in Loop: Header=BB161_22 Depth=3
	s_or_b64 exec, exec, s[44:45]
	s_mov_b64 s[44:45], -1
                                        ; implicit-def: $vgpr21
                                        ; implicit-def: $vgpr22
	s_and_saveexec_b64 s[46:47], s[42:43]
	s_cbranch_execz .LBB161_21
; %bb.27:                               ;   in Loop: Header=BB161_22 Depth=3
	v_lshl_add_u32 v21, v19, 2, v12
	ds_read_b32 v22, v21
	s_waitcnt lgkmcnt(0)
	v_cmp_eq_u32_e32 vcc, v22, v20
	s_orn2_b64 s[44:45], vcc, exec
	s_branch .LBB161_21
.LBB161_28:
	s_or_b64 exec, exec, s[0:1]
.LBB161_29:
	s_andn2_b64 vcc, exec, s[4:5]
	s_cbranch_vccnz .LBB161_44
; %bb.30:
	v_lshl_add_u64 v[0:1], v[4:5], 3, s[40:41]
	global_load_dwordx4 v[6:9], v[0:1], off
	v_subrev_co_u32_e32 v2, vcc, s19, v16
	s_nop 1
	v_subb_co_u32_e64 v3, s[0:1], 0, 0, vcc
	s_waitcnt vmcnt(0)
	v_subrev_co_u32_e32 v0, vcc, s19, v8
	s_nop 1
	v_subbrev_co_u32_e32 v1, vcc, 0, v9, vcc
	v_lshl_add_u64 v[2:3], v[6:7], 0, v[2:3]
	v_cmp_lt_i64_e32 vcc, v[2:3], v[0:1]
	s_and_saveexec_b64 s[0:1], vcc
	s_cbranch_execz .LBB161_43
; %bb.31:
	s_mov_b64 s[2:3], 0
	s_branch .LBB161_34
.LBB161_32:                             ;   in Loop: Header=BB161_34 Depth=1
	s_or_b64 exec, exec, s[6:7]
.LBB161_33:                             ;   in Loop: Header=BB161_34 Depth=1
	s_or_b64 exec, exec, s[4:5]
	s_waitcnt vmcnt(0)
	v_mul_f32_e32 v6, v13, v6
	v_lshl_add_u32 v7, v7, 2, v14
	ds_add_f32 v7, v6
	v_lshl_add_u64 v[2:3], v[2:3], 0, 16
	v_cmp_ge_i64_e32 vcc, v[2:3], v[0:1]
	s_or_b64 s[2:3], vcc, s[2:3]
	s_andn2_b64 exec, exec, s[2:3]
	s_cbranch_execz .LBB161_43
.LBB161_34:                             ; =>This Loop Header: Depth=1
                                        ;     Child Loop BB161_37 Depth 2
	v_lshlrev_b64 v[6:7], 2, v[2:3]
	v_lshl_add_u64 v[8:9], s[20:21], 0, v[6:7]
	global_load_dword v8, v[8:9], off
	v_lshl_add_u64 v[6:7], s[22:23], 0, v[6:7]
	global_load_dword v6, v[6:7], off
	s_waitcnt vmcnt(1)
	v_subrev_u32_e32 v8, s19, v8
	v_lshl_add_u32 v7, v8, 3, v8
	v_and_b32_e32 v7, 31, v7
	v_lshl_add_u32 v9, v7, 2, v12
	ds_read_b32 v15, v9
	s_waitcnt lgkmcnt(0)
	v_cmp_ne_u32_e32 vcc, v15, v8
	s_and_saveexec_b64 s[4:5], vcc
	s_cbranch_execz .LBB161_33
; %bb.35:                               ;   in Loop: Header=BB161_34 Depth=1
	s_mov_b64 s[6:7], 0
	s_branch .LBB161_37
.LBB161_36:                             ;   in Loop: Header=BB161_37 Depth=2
	s_or_b64 exec, exec, s[12:13]
	s_and_b64 s[8:9], exec, s[10:11]
	s_or_b64 s[6:7], s[8:9], s[6:7]
	s_andn2_b64 exec, exec, s[6:7]
	s_cbranch_execz .LBB161_32
.LBB161_37:                             ;   Parent Loop BB161_34 Depth=1
                                        ; =>  This Inner Loop Header: Depth=2
	v_cmp_ne_u32_e32 vcc, s35, v15
	s_mov_b64 s[8:9], 0
	s_and_saveexec_b64 s[10:11], vcc
	s_xor_b64 s[10:11], exec, s[10:11]
	s_cbranch_execz .LBB161_39
; %bb.38:                               ;   in Loop: Header=BB161_37 Depth=2
	v_add_u32_e32 v7, 1, v7
	s_mov_b64 s[8:9], exec
	v_and_b32_e32 v7, 31, v7
                                        ; implicit-def: $vgpr9
	s_andn2_saveexec_b64 s[10:11], s[10:11]
	s_cbranch_execz .LBB161_41
	s_branch .LBB161_40
.LBB161_39:                             ;   in Loop: Header=BB161_37 Depth=2
	s_andn2_saveexec_b64 s[10:11], s[10:11]
	s_cbranch_execz .LBB161_41
.LBB161_40:                             ;   in Loop: Header=BB161_37 Depth=2
	v_mov_b32_e32 v15, s35
	ds_cmpst_rtn_b32 v9, v9, v15, v8
	s_andn2_b64 s[8:9], s[8:9], exec
	s_waitcnt lgkmcnt(0)
	v_cmp_ne_u32_e32 vcc, s35, v9
	s_and_b64 s[12:13], vcc, exec
	s_or_b64 s[8:9], s[8:9], s[12:13]
.LBB161_41:                             ;   in Loop: Header=BB161_37 Depth=2
	s_or_b64 exec, exec, s[10:11]
	s_mov_b64 s[10:11], -1
                                        ; implicit-def: $vgpr9
                                        ; implicit-def: $vgpr15
	s_and_saveexec_b64 s[12:13], s[8:9]
	s_cbranch_execz .LBB161_36
; %bb.42:                               ;   in Loop: Header=BB161_37 Depth=2
	v_lshl_add_u32 v9, v7, 2, v12
	ds_read_b32 v15, v9
	s_waitcnt lgkmcnt(0)
	v_cmp_eq_u32_e32 vcc, v15, v8
	s_orn2_b64 s[10:11], vcc, exec
	s_branch .LBB161_36
.LBB161_43:
	s_or_b64 exec, exec, s[0:1]
.LBB161_44:
	v_lshl_add_u64 v[0:1], v[4:5], 3, s[38:39]
	s_waitcnt lgkmcnt(0)
	global_load_dwordx2 v[0:1], v[0:1], off
	s_mov_b64 s[0:1], 0
	v_mov_b32_e32 v3, 0
	s_waitcnt vmcnt(0)
	v_subrev_co_u32_e32 v0, vcc, s18, v0
	s_nop 1
	v_subbrev_co_u32_e32 v1, vcc, 0, v1, vcc
	v_lshl_add_u64 v[0:1], v[0:1], 2, s[36:37]
	s_branch .LBB161_46
.LBB161_45:                             ;   in Loop: Header=BB161_46 Depth=1
	s_or_b64 exec, exec, s[2:3]
	v_add_co_u32_e32 v10, vcc, 16, v10
	s_xor_b64 s[2:3], vcc, -1
	s_and_b64 s[2:3], exec, s[2:3]
	s_or_b64 s[0:1], s[2:3], s[0:1]
	v_add_u32_e32 v11, 64, v11
	s_andn2_b64 exec, exec, s[0:1]
	s_cbranch_execz .LBB161_48
.LBB161_46:                             ; =>This Inner Loop Header: Depth=1
	ds_read_b32 v4, v11 offset:2048
	s_waitcnt lgkmcnt(0)
	v_cmp_gt_i32_e32 vcc, s35, v4
	s_and_saveexec_b64 s[2:3], vcc
	s_cbranch_execz .LBB161_45
; %bb.47:                               ;   in Loop: Header=BB161_46 Depth=1
	ds_read_b128 v[6:9], v12
	ds_read_b128 v[14:17], v12 offset:16
	ds_read_b128 v[18:21], v12 offset:32
	;; [unrolled: 1-line block ×7, first 2 shown]
	ds_read_b32 v13, v11
	s_waitcnt lgkmcnt(8)
	v_cmp_gt_i32_e32 vcc, v4, v6
	s_nop 1
	v_cndmask_b32_e64 v2, 0, 1, vcc
	v_lshlrev_b32_e32 v2, 2, v2
	v_cmp_gt_i32_e32 vcc, v4, v7
	v_lshl_add_u64 v[42:43], v[0:1], 0, v[2:3]
	s_nop 0
	v_cndmask_b32_e64 v2, 0, 1, vcc
	v_lshlrev_b32_e32 v2, 2, v2
	v_cmp_gt_i32_e32 vcc, v4, v8
	v_lshl_add_u64 v[6:7], v[42:43], 0, v[2:3]
	s_nop 0
	v_cndmask_b32_e64 v2, 0, 1, vcc
	v_lshlrev_b32_e32 v2, 2, v2
	v_cmp_gt_i32_e32 vcc, v4, v9
	v_lshl_add_u64 v[6:7], v[6:7], 0, v[2:3]
	s_nop 0
	v_cndmask_b32_e64 v2, 0, 1, vcc
	v_lshlrev_b32_e32 v2, 2, v2
	s_waitcnt lgkmcnt(7)
	v_cmp_gt_i32_e32 vcc, v4, v14
	v_lshl_add_u64 v[6:7], v[6:7], 0, v[2:3]
	s_nop 0
	v_cndmask_b32_e64 v2, 0, 1, vcc
	v_lshlrev_b32_e32 v2, 2, v2
	v_cmp_gt_i32_e32 vcc, v4, v15
	v_lshl_add_u64 v[6:7], v[6:7], 0, v[2:3]
	s_nop 0
	v_cndmask_b32_e64 v2, 0, 1, vcc
	v_lshlrev_b32_e32 v2, 2, v2
	v_cmp_gt_i32_e32 vcc, v4, v16
	v_lshl_add_u64 v[6:7], v[6:7], 0, v[2:3]
	s_nop 0
	v_cndmask_b32_e64 v2, 0, 1, vcc
	v_lshlrev_b32_e32 v2, 2, v2
	v_cmp_gt_i32_e32 vcc, v4, v17
	v_lshl_add_u64 v[6:7], v[6:7], 0, v[2:3]
	s_nop 0
	v_cndmask_b32_e64 v2, 0, 1, vcc
	v_lshlrev_b32_e32 v2, 2, v2
	s_waitcnt lgkmcnt(6)
	v_cmp_gt_i32_e32 vcc, v4, v18
	v_lshl_add_u64 v[6:7], v[6:7], 0, v[2:3]
	;; [unrolled: 21-line block ×7, first 2 shown]
	s_nop 0
	v_cndmask_b32_e64 v2, 0, 1, vcc
	v_lshlrev_b32_e32 v2, 2, v2
	v_cmp_gt_i32_e32 vcc, v4, v39
	v_lshl_add_u64 v[6:7], v[6:7], 0, v[2:3]
	s_nop 0
	v_cndmask_b32_e64 v2, 0, 1, vcc
	v_lshlrev_b32_e32 v2, 2, v2
	v_cmp_gt_i32_e32 vcc, v4, v40
	v_lshl_add_u64 v[6:7], v[6:7], 0, v[2:3]
	;; [unrolled: 5-line block ×3, first 2 shown]
	s_nop 0
	v_cndmask_b32_e64 v2, 0, 1, vcc
	v_lshlrev_b32_e32 v2, 2, v2
	v_lshl_add_u64 v[4:5], v[6:7], 0, v[2:3]
	s_waitcnt lgkmcnt(0)
	global_store_dword v[4:5], v13, off
	s_branch .LBB161_45
.LBB161_48:
	s_endpgm
	.section	.rodata,"a",@progbits
	.p2align	6, 0x0
	.amdhsa_kernel _ZN9rocsparseL38csrgemm_numeric_fill_wf_per_row_kernelILj256ELj16ELj32ELj137ElifEEvT4_S1_PKS1_S3_NS_24const_host_device_scalarIT5_EEPKT3_S3_PKS5_S9_S3_SB_S6_S9_S3_SB_S9_S3_PS5_21rocsparse_index_base_SD_SD_SD_bbb
		.amdhsa_group_segment_fixed_size 4096
		.amdhsa_private_segment_fixed_size 0
		.amdhsa_kernarg_size 156
		.amdhsa_user_sgpr_count 2
		.amdhsa_user_sgpr_dispatch_ptr 0
		.amdhsa_user_sgpr_queue_ptr 0
		.amdhsa_user_sgpr_kernarg_segment_ptr 1
		.amdhsa_user_sgpr_dispatch_id 0
		.amdhsa_user_sgpr_kernarg_preload_length 0
		.amdhsa_user_sgpr_kernarg_preload_offset 0
		.amdhsa_user_sgpr_private_segment_size 0
		.amdhsa_uses_dynamic_stack 0
		.amdhsa_enable_private_segment 0
		.amdhsa_system_sgpr_workgroup_id_x 1
		.amdhsa_system_sgpr_workgroup_id_y 0
		.amdhsa_system_sgpr_workgroup_id_z 0
		.amdhsa_system_sgpr_workgroup_info 0
		.amdhsa_system_vgpr_workitem_id 0
		.amdhsa_next_free_vgpr 44
		.amdhsa_next_free_sgpr 48
		.amdhsa_accum_offset 44
		.amdhsa_reserve_vcc 1
		.amdhsa_float_round_mode_32 0
		.amdhsa_float_round_mode_16_64 0
		.amdhsa_float_denorm_mode_32 3
		.amdhsa_float_denorm_mode_16_64 3
		.amdhsa_dx10_clamp 1
		.amdhsa_ieee_mode 1
		.amdhsa_fp16_overflow 0
		.amdhsa_tg_split 0
		.amdhsa_exception_fp_ieee_invalid_op 0
		.amdhsa_exception_fp_denorm_src 0
		.amdhsa_exception_fp_ieee_div_zero 0
		.amdhsa_exception_fp_ieee_overflow 0
		.amdhsa_exception_fp_ieee_underflow 0
		.amdhsa_exception_fp_ieee_inexact 0
		.amdhsa_exception_int_div_zero 0
	.end_amdhsa_kernel
	.section	.text._ZN9rocsparseL38csrgemm_numeric_fill_wf_per_row_kernelILj256ELj16ELj32ELj137ElifEEvT4_S1_PKS1_S3_NS_24const_host_device_scalarIT5_EEPKT3_S3_PKS5_S9_S3_SB_S6_S9_S3_SB_S9_S3_PS5_21rocsparse_index_base_SD_SD_SD_bbb,"axG",@progbits,_ZN9rocsparseL38csrgemm_numeric_fill_wf_per_row_kernelILj256ELj16ELj32ELj137ElifEEvT4_S1_PKS1_S3_NS_24const_host_device_scalarIT5_EEPKT3_S3_PKS5_S9_S3_SB_S6_S9_S3_SB_S9_S3_PS5_21rocsparse_index_base_SD_SD_SD_bbb,comdat
.Lfunc_end161:
	.size	_ZN9rocsparseL38csrgemm_numeric_fill_wf_per_row_kernelILj256ELj16ELj32ELj137ElifEEvT4_S1_PKS1_S3_NS_24const_host_device_scalarIT5_EEPKT3_S3_PKS5_S9_S3_SB_S6_S9_S3_SB_S9_S3_PS5_21rocsparse_index_base_SD_SD_SD_bbb, .Lfunc_end161-_ZN9rocsparseL38csrgemm_numeric_fill_wf_per_row_kernelILj256ELj16ELj32ELj137ElifEEvT4_S1_PKS1_S3_NS_24const_host_device_scalarIT5_EEPKT3_S3_PKS5_S9_S3_SB_S6_S9_S3_SB_S9_S3_PS5_21rocsparse_index_base_SD_SD_SD_bbb
                                        ; -- End function
	.set _ZN9rocsparseL38csrgemm_numeric_fill_wf_per_row_kernelILj256ELj16ELj32ELj137ElifEEvT4_S1_PKS1_S3_NS_24const_host_device_scalarIT5_EEPKT3_S3_PKS5_S9_S3_SB_S6_S9_S3_SB_S9_S3_PS5_21rocsparse_index_base_SD_SD_SD_bbb.num_vgpr, 44
	.set _ZN9rocsparseL38csrgemm_numeric_fill_wf_per_row_kernelILj256ELj16ELj32ELj137ElifEEvT4_S1_PKS1_S3_NS_24const_host_device_scalarIT5_EEPKT3_S3_PKS5_S9_S3_SB_S6_S9_S3_SB_S9_S3_PS5_21rocsparse_index_base_SD_SD_SD_bbb.num_agpr, 0
	.set _ZN9rocsparseL38csrgemm_numeric_fill_wf_per_row_kernelILj256ELj16ELj32ELj137ElifEEvT4_S1_PKS1_S3_NS_24const_host_device_scalarIT5_EEPKT3_S3_PKS5_S9_S3_SB_S6_S9_S3_SB_S9_S3_PS5_21rocsparse_index_base_SD_SD_SD_bbb.numbered_sgpr, 48
	.set _ZN9rocsparseL38csrgemm_numeric_fill_wf_per_row_kernelILj256ELj16ELj32ELj137ElifEEvT4_S1_PKS1_S3_NS_24const_host_device_scalarIT5_EEPKT3_S3_PKS5_S9_S3_SB_S6_S9_S3_SB_S9_S3_PS5_21rocsparse_index_base_SD_SD_SD_bbb.num_named_barrier, 0
	.set _ZN9rocsparseL38csrgemm_numeric_fill_wf_per_row_kernelILj256ELj16ELj32ELj137ElifEEvT4_S1_PKS1_S3_NS_24const_host_device_scalarIT5_EEPKT3_S3_PKS5_S9_S3_SB_S6_S9_S3_SB_S9_S3_PS5_21rocsparse_index_base_SD_SD_SD_bbb.private_seg_size, 0
	.set _ZN9rocsparseL38csrgemm_numeric_fill_wf_per_row_kernelILj256ELj16ELj32ELj137ElifEEvT4_S1_PKS1_S3_NS_24const_host_device_scalarIT5_EEPKT3_S3_PKS5_S9_S3_SB_S6_S9_S3_SB_S9_S3_PS5_21rocsparse_index_base_SD_SD_SD_bbb.uses_vcc, 1
	.set _ZN9rocsparseL38csrgemm_numeric_fill_wf_per_row_kernelILj256ELj16ELj32ELj137ElifEEvT4_S1_PKS1_S3_NS_24const_host_device_scalarIT5_EEPKT3_S3_PKS5_S9_S3_SB_S6_S9_S3_SB_S9_S3_PS5_21rocsparse_index_base_SD_SD_SD_bbb.uses_flat_scratch, 0
	.set _ZN9rocsparseL38csrgemm_numeric_fill_wf_per_row_kernelILj256ELj16ELj32ELj137ElifEEvT4_S1_PKS1_S3_NS_24const_host_device_scalarIT5_EEPKT3_S3_PKS5_S9_S3_SB_S6_S9_S3_SB_S9_S3_PS5_21rocsparse_index_base_SD_SD_SD_bbb.has_dyn_sized_stack, 0
	.set _ZN9rocsparseL38csrgemm_numeric_fill_wf_per_row_kernelILj256ELj16ELj32ELj137ElifEEvT4_S1_PKS1_S3_NS_24const_host_device_scalarIT5_EEPKT3_S3_PKS5_S9_S3_SB_S6_S9_S3_SB_S9_S3_PS5_21rocsparse_index_base_SD_SD_SD_bbb.has_recursion, 0
	.set _ZN9rocsparseL38csrgemm_numeric_fill_wf_per_row_kernelILj256ELj16ELj32ELj137ElifEEvT4_S1_PKS1_S3_NS_24const_host_device_scalarIT5_EEPKT3_S3_PKS5_S9_S3_SB_S6_S9_S3_SB_S9_S3_PS5_21rocsparse_index_base_SD_SD_SD_bbb.has_indirect_call, 0
	.section	.AMDGPU.csdata,"",@progbits
; Kernel info:
; codeLenInByte = 2472
; TotalNumSgprs: 54
; NumVgprs: 44
; NumAgprs: 0
; TotalNumVgprs: 44
; ScratchSize: 0
; MemoryBound: 0
; FloatMode: 240
; IeeeMode: 1
; LDSByteSize: 4096 bytes/workgroup (compile time only)
; SGPRBlocks: 6
; VGPRBlocks: 5
; NumSGPRsForWavesPerEU: 54
; NumVGPRsForWavesPerEU: 44
; AccumOffset: 44
; Occupancy: 8
; WaveLimiterHint : 1
; COMPUTE_PGM_RSRC2:SCRATCH_EN: 0
; COMPUTE_PGM_RSRC2:USER_SGPR: 2
; COMPUTE_PGM_RSRC2:TRAP_HANDLER: 0
; COMPUTE_PGM_RSRC2:TGID_X_EN: 1
; COMPUTE_PGM_RSRC2:TGID_Y_EN: 0
; COMPUTE_PGM_RSRC2:TGID_Z_EN: 0
; COMPUTE_PGM_RSRC2:TIDIG_COMP_CNT: 0
; COMPUTE_PGM_RSRC3_GFX90A:ACCUM_OFFSET: 10
; COMPUTE_PGM_RSRC3_GFX90A:TG_SPLIT: 0
	.section	.text._ZN9rocsparseL41csrgemm_numeric_fill_block_per_row_kernelILj128ELj16ELj256ELj137ELj32ElifEEvT5_PKS1_S3_NS_24const_host_device_scalarIT6_EEPKT4_S3_PKS5_S9_S3_SB_S6_S9_S3_SB_S9_S3_PS5_21rocsparse_index_base_SD_SD_SD_bbb,"axG",@progbits,_ZN9rocsparseL41csrgemm_numeric_fill_block_per_row_kernelILj128ELj16ELj256ELj137ELj32ElifEEvT5_PKS1_S3_NS_24const_host_device_scalarIT6_EEPKT4_S3_PKS5_S9_S3_SB_S6_S9_S3_SB_S9_S3_PS5_21rocsparse_index_base_SD_SD_SD_bbb,comdat
	.globl	_ZN9rocsparseL41csrgemm_numeric_fill_block_per_row_kernelILj128ELj16ELj256ELj137ELj32ElifEEvT5_PKS1_S3_NS_24const_host_device_scalarIT6_EEPKT4_S3_PKS5_S9_S3_SB_S6_S9_S3_SB_S9_S3_PS5_21rocsparse_index_base_SD_SD_SD_bbb ; -- Begin function _ZN9rocsparseL41csrgemm_numeric_fill_block_per_row_kernelILj128ELj16ELj256ELj137ELj32ElifEEvT5_PKS1_S3_NS_24const_host_device_scalarIT6_EEPKT4_S3_PKS5_S9_S3_SB_S6_S9_S3_SB_S9_S3_PS5_21rocsparse_index_base_SD_SD_SD_bbb
	.p2align	8
	.type	_ZN9rocsparseL41csrgemm_numeric_fill_block_per_row_kernelILj128ELj16ELj256ELj137ELj32ElifEEvT5_PKS1_S3_NS_24const_host_device_scalarIT6_EEPKT4_S3_PKS5_S9_S3_SB_S6_S9_S3_SB_S9_S3_PS5_21rocsparse_index_base_SD_SD_SD_bbb,@function
_ZN9rocsparseL41csrgemm_numeric_fill_block_per_row_kernelILj128ELj16ELj256ELj137ELj32ElifEEvT5_PKS1_S3_NS_24const_host_device_scalarIT6_EEPKT4_S3_PKS5_S9_S3_SB_S6_S9_S3_SB_S9_S3_PS5_21rocsparse_index_base_SD_SD_SD_bbb: ; @_ZN9rocsparseL41csrgemm_numeric_fill_block_per_row_kernelILj128ELj16ELj256ELj137ELj32ElifEEvT5_PKS1_S3_NS_24const_host_device_scalarIT6_EEPKT4_S3_PKS5_S9_S3_SB_S6_S9_S3_SB_S9_S3_PS5_21rocsparse_index_base_SD_SD_SD_bbb
; %bb.0:
	s_load_dword s3, s[0:1], 0x98
	s_load_dwordx2 s[8:9], s[0:1], 0x18
	s_load_dwordx2 s[6:7], s[0:1], 0x50
	s_waitcnt lgkmcnt(0)
	s_bitcmp1_b32 s3, 0
	s_cselect_b64 s[4:5], -1, 0
	s_bitcmp1_b32 s3, 16
	s_cselect_b64 s[10:11], -1, 0
	s_xor_b64 s[12:13], s[4:5], -1
	s_or_b64 s[12:13], s[10:11], s[12:13]
	s_and_b64 vcc, exec, s[12:13]
	s_cbranch_vccnz .LBB162_2
; %bb.1:
	s_load_dword s8, s[8:9], 0x0
	s_waitcnt lgkmcnt(0)
	v_mov_b32_e32 v11, s8
	s_branch .LBB162_3
.LBB162_2:
	v_mov_b32_e32 v1, s8
	v_cndmask_b32_e64 v11, 0, v1, s[4:5]
.LBB162_3:
	s_load_dwordx4 s[20:23], s[0:1], 0x88
	s_bitcmp1_b32 s3, 8
	s_cselect_b64 s[8:9], -1, 0
	s_xor_b64 s[12:13], s[8:9], -1
	s_or_b64 s[10:11], s[10:11], s[12:13]
	s_and_b64 vcc, exec, s[10:11]
	s_cbranch_vccnz .LBB162_5
; %bb.4:
	s_load_dword s3, s[6:7], 0x0
	s_waitcnt lgkmcnt(0)
	v_mov_b32_e32 v10, s3
	s_branch .LBB162_6
.LBB162_5:
	v_mov_b32_e32 v1, s6
	v_cndmask_b32_e64 v10, 0, v1, s[8:9]
.LBB162_6:
	s_load_dwordx2 s[10:11], s[0:1], 0x80
	s_load_dwordx2 s[34:35], s[0:1], 0x70
	;; [unrolled: 1-line block ×3, first 2 shown]
	s_load_dwordx8 s[12:19], s[0:1], 0x20
	s_load_dwordx4 s[36:39], s[0:1], 0x8
	s_load_dword s33, s[0:1], 0x0
	s_movk_i32 s3, 0x100
	v_cmp_gt_u32_e64 s[6:7], s3, v0
	v_lshl_add_u32 v1, v0, 2, 0
	s_and_saveexec_b64 s[24:25], s[6:7]
	s_cbranch_execz .LBB162_9
; %bb.7:
	v_or_b32_e32 v2, 0xffffff80, v0
	v_lshl_add_u32 v3, v0, 2, 0
	s_mov_b64 s[26:27], 0
	s_waitcnt lgkmcnt(0)
	v_mov_b32_e32 v4, s33
	v_mov_b32_e32 v5, 0
.LBB162_8:                              ; =>This Inner Loop Header: Depth=1
	v_add_co_u32_e32 v2, vcc, 0x80, v2
	s_xor_b64 s[28:29], vcc, -1
	s_and_b64 s[28:29], exec, s[28:29]
	ds_write2st64_b32 v3, v4, v5 offset1:4
	s_or_b64 s[26:27], s[28:29], s[26:27]
	v_add_u32_e32 v3, 0x200, v3
	s_andn2_b64 exec, exec, s[26:27]
	s_cbranch_execnz .LBB162_8
.LBB162_9:
	s_or_b64 exec, exec, s[24:25]
	s_load_dwordx4 s[24:27], s[0:1], 0x60
	s_load_dwordx4 s[28:31], s[0:1], 0x40
	s_waitcnt lgkmcnt(0)
	s_barrier
	s_load_dword s0, s[36:37], 0x0
	s_mov_b32 s1, 0
	s_waitcnt lgkmcnt(0)
	s_add_i32 s0, s0, s2
	s_lshl_b64 s[0:1], s[0:1], 2
	s_add_u32 s0, s38, s0
	s_addc_u32 s1, s39, s1
	s_load_dword s36, s[0:1], 0x0
	s_and_b64 vcc, exec, s[4:5]
	s_cbranch_vccz .LBB162_27
; %bb.10:
	s_waitcnt lgkmcnt(0)
	s_ashr_i32 s37, s36, 31
	s_lshl_b64 s[0:1], s[36:37], 3
	s_add_u32 s0, s12, s0
	s_addc_u32 s1, s13, s1
	s_load_dwordx4 s[44:47], s[0:1], 0x0
	v_lshrrev_b32_e32 v2, 4, v0
	v_subrev_co_u32_e32 v2, vcc, s20, v2
	s_waitcnt lgkmcnt(0)
	s_sub_u32 s0, s46, s20
	v_subb_co_u32_e64 v3, s[2:3], 0, 0, vcc
	s_subb_u32 s1, s47, 0
	v_lshl_add_u64 v[2:3], s[44:45], 0, v[2:3]
	v_cmp_gt_i64_e32 vcc, s[0:1], v[2:3]
	s_and_saveexec_b64 s[2:3], vcc
	s_cbranch_execz .LBB162_26
; %bb.11:
	v_and_b32_e32 v4, 15, v0
	v_subrev_co_u32_e32 v4, vcc, s21, v4
	s_mov_b32 s37, s21
	s_nop 0
	v_subb_co_u32_e64 v5, s[4:5], 0, 0, vcc
	s_mov_b64 s[4:5], 0
	s_movk_i32 s52, 0x89
	s_branch .LBB162_13
.LBB162_12:                             ;   in Loop: Header=BB162_13 Depth=1
	s_or_b64 exec, exec, s[12:13]
	v_lshl_add_u64 v[2:3], v[2:3], 0, 8
	v_cmp_le_i64_e32 vcc, s[0:1], v[2:3]
	s_or_b64 s[4:5], vcc, s[4:5]
	s_andn2_b64 exec, exec, s[4:5]
	s_cbranch_execz .LBB162_26
.LBB162_13:                             ; =>This Loop Header: Depth=1
                                        ;     Child Loop BB162_17 Depth 2
                                        ;       Child Loop BB162_20 Depth 3
	v_lshl_add_u64 v[6:7], v[2:3], 2, s[14:15]
	global_load_dword v6, v[6:7], off
	s_waitcnt vmcnt(0)
	v_subrev_u32_e32 v6, s20, v6
	v_ashrrev_i32_e32 v7, 31, v6
	v_lshl_add_u64 v[6:7], v[6:7], 3, s[18:19]
	global_load_dwordx4 v[12:15], v[6:7], off
	s_waitcnt vmcnt(0)
	v_subrev_co_u32_e32 v6, vcc, s37, v14
	s_nop 1
	v_subbrev_co_u32_e32 v7, vcc, 0, v15, vcc
	v_lshl_add_u64 v[8:9], v[12:13], 0, v[4:5]
	v_cmp_lt_i64_e32 vcc, v[8:9], v[6:7]
	s_and_saveexec_b64 s[12:13], vcc
	s_cbranch_execz .LBB162_12
; %bb.14:                               ;   in Loop: Header=BB162_13 Depth=1
	v_lshl_add_u64 v[12:13], v[2:3], 2, s[16:17]
	global_load_dword v12, v[12:13], off
	s_mov_b64 s[38:39], 0
	s_waitcnt vmcnt(0)
	v_mul_f32_e32 v12, v11, v12
	s_branch .LBB162_17
.LBB162_15:                             ;   in Loop: Header=BB162_17 Depth=2
	s_or_b64 exec, exec, s[44:45]
.LBB162_16:                             ;   in Loop: Header=BB162_17 Depth=2
	s_or_b64 exec, exec, s[42:43]
	s_waitcnt vmcnt(0)
	v_mul_f32_e32 v13, v12, v13
	v_lshl_add_u32 v14, v14, 2, 0
	ds_add_f32 v14, v13 offset:1024
	v_lshl_add_u64 v[8:9], v[8:9], 0, 16
	v_cmp_ge_i64_e32 vcc, v[8:9], v[6:7]
	s_or_b64 s[38:39], vcc, s[38:39]
	s_andn2_b64 exec, exec, s[38:39]
	s_cbranch_execz .LBB162_12
.LBB162_17:                             ;   Parent Loop BB162_13 Depth=1
                                        ; =>  This Loop Header: Depth=2
                                        ;       Child Loop BB162_20 Depth 3
	v_lshlrev_b64 v[14:15], 2, v[8:9]
	v_lshl_add_u64 v[16:17], s[28:29], 0, v[14:15]
	global_load_dword v16, v[16:17], off
	v_lshl_add_u64 v[14:15], s[30:31], 0, v[14:15]
	global_load_dword v13, v[14:15], off
	s_waitcnt vmcnt(1)
	v_subrev_u32_e32 v15, s21, v16
	v_mul_lo_u32 v14, v15, s52
	v_and_b32_e32 v14, 0xff, v14
	v_lshl_add_u32 v16, v14, 2, 0
	ds_read_b32 v17, v16
	s_waitcnt lgkmcnt(0)
	v_cmp_ne_u32_e32 vcc, v17, v15
	s_and_saveexec_b64 s[42:43], vcc
	s_cbranch_execz .LBB162_16
; %bb.18:                               ;   in Loop: Header=BB162_17 Depth=2
	s_mov_b64 s[44:45], 0
	s_branch .LBB162_20
.LBB162_19:                             ;   in Loop: Header=BB162_20 Depth=3
	s_or_b64 exec, exec, s[50:51]
	s_and_b64 s[46:47], exec, s[48:49]
	s_or_b64 s[44:45], s[46:47], s[44:45]
	s_andn2_b64 exec, exec, s[44:45]
	s_cbranch_execz .LBB162_15
.LBB162_20:                             ;   Parent Loop BB162_13 Depth=1
                                        ;     Parent Loop BB162_17 Depth=2
                                        ; =>    This Inner Loop Header: Depth=3
	v_cmp_ne_u32_e32 vcc, s33, v17
	s_mov_b64 s[46:47], 0
	s_and_saveexec_b64 s[48:49], vcc
	s_xor_b64 s[48:49], exec, s[48:49]
	s_cbranch_execz .LBB162_22
; %bb.21:                               ;   in Loop: Header=BB162_20 Depth=3
	v_add_u32_e32 v14, 1, v14
	s_mov_b64 s[46:47], exec
	v_and_b32_e32 v14, 0xff, v14
                                        ; implicit-def: $vgpr16
	s_andn2_saveexec_b64 s[48:49], s[48:49]
	s_cbranch_execz .LBB162_24
	s_branch .LBB162_23
.LBB162_22:                             ;   in Loop: Header=BB162_20 Depth=3
	s_andn2_saveexec_b64 s[48:49], s[48:49]
	s_cbranch_execz .LBB162_24
.LBB162_23:                             ;   in Loop: Header=BB162_20 Depth=3
	v_mov_b32_e32 v17, s33
	ds_cmpst_rtn_b32 v16, v16, v17, v15
	s_andn2_b64 s[46:47], s[46:47], exec
	s_waitcnt lgkmcnt(0)
	v_cmp_ne_u32_e32 vcc, s33, v16
	s_and_b64 s[50:51], vcc, exec
	s_or_b64 s[46:47], s[46:47], s[50:51]
.LBB162_24:                             ;   in Loop: Header=BB162_20 Depth=3
	s_or_b64 exec, exec, s[48:49]
	s_mov_b64 s[48:49], -1
                                        ; implicit-def: $vgpr16
                                        ; implicit-def: $vgpr17
	s_and_saveexec_b64 s[50:51], s[46:47]
	s_cbranch_execz .LBB162_19
; %bb.25:                               ;   in Loop: Header=BB162_20 Depth=3
	v_lshl_add_u32 v16, v14, 2, 0
	ds_read_b32 v17, v16
	s_waitcnt lgkmcnt(0)
	v_cmp_eq_u32_e32 vcc, v17, v15
	s_orn2_b64 s[48:49], vcc, exec
	s_branch .LBB162_19
.LBB162_26:
	s_or_b64 exec, exec, s[2:3]
.LBB162_27:
	s_andn2_b64 vcc, exec, s[8:9]
	s_cbranch_vccnz .LBB162_42
; %bb.28:
	s_waitcnt lgkmcnt(0)
	s_ashr_i32 s37, s36, 31
	s_lshl_b64 s[0:1], s[36:37], 3
	s_add_u32 s0, s40, s0
	s_addc_u32 s1, s41, s1
	s_load_dwordx4 s[12:15], s[0:1], 0x0
	v_subrev_co_u32_e32 v2, vcc, s23, v0
	s_nop 1
	v_subb_co_u32_e64 v3, s[0:1], 0, 0, vcc
	s_waitcnt lgkmcnt(0)
	s_sub_u32 s0, s14, s23
	s_subb_u32 s1, s15, 0
	v_lshl_add_u64 v[2:3], s[12:13], 0, v[2:3]
	v_cmp_gt_i64_e32 vcc, s[0:1], v[2:3]
	s_and_saveexec_b64 s[2:3], vcc
	s_cbranch_execz .LBB162_41
; %bb.29:
	s_mov_b64 s[4:5], 0
	s_movk_i32 s28, 0x89
	s_mov_b64 s[8:9], 0x80
	s_branch .LBB162_32
.LBB162_30:                             ;   in Loop: Header=BB162_32 Depth=1
	s_or_b64 exec, exec, s[14:15]
.LBB162_31:                             ;   in Loop: Header=BB162_32 Depth=1
	s_or_b64 exec, exec, s[12:13]
	s_waitcnt vmcnt(0)
	v_mul_f32_e32 v4, v10, v4
	v_lshl_add_u32 v5, v5, 2, 0
	ds_add_f32 v5, v4 offset:1024
	v_lshl_add_u64 v[2:3], v[2:3], 0, s[8:9]
	v_cmp_le_i64_e32 vcc, s[0:1], v[2:3]
	s_or_b64 s[4:5], vcc, s[4:5]
	s_andn2_b64 exec, exec, s[4:5]
	s_cbranch_execz .LBB162_41
.LBB162_32:                             ; =>This Loop Header: Depth=1
                                        ;     Child Loop BB162_35 Depth 2
	v_lshlrev_b64 v[4:5], 2, v[2:3]
	v_lshl_add_u64 v[6:7], s[24:25], 0, v[4:5]
	global_load_dword v6, v[6:7], off
	v_lshl_add_u64 v[4:5], s[26:27], 0, v[4:5]
	global_load_dword v4, v[4:5], off
	s_waitcnt vmcnt(1)
	v_subrev_u32_e32 v6, s23, v6
	v_mul_lo_u32 v5, v6, s28
	v_and_b32_e32 v5, 0xff, v5
	v_lshl_add_u32 v7, v5, 2, 0
	ds_read_b32 v8, v7
	s_waitcnt lgkmcnt(0)
	v_cmp_ne_u32_e32 vcc, v8, v6
	s_and_saveexec_b64 s[12:13], vcc
	s_cbranch_execz .LBB162_31
; %bb.33:                               ;   in Loop: Header=BB162_32 Depth=1
	s_mov_b64 s[14:15], 0
	s_branch .LBB162_35
.LBB162_34:                             ;   in Loop: Header=BB162_35 Depth=2
	s_or_b64 exec, exec, s[20:21]
	s_and_b64 s[16:17], exec, s[18:19]
	s_or_b64 s[14:15], s[16:17], s[14:15]
	s_andn2_b64 exec, exec, s[14:15]
	s_cbranch_execz .LBB162_30
.LBB162_35:                             ;   Parent Loop BB162_32 Depth=1
                                        ; =>  This Inner Loop Header: Depth=2
	v_cmp_ne_u32_e32 vcc, s33, v8
	s_mov_b64 s[16:17], 0
	s_and_saveexec_b64 s[18:19], vcc
	s_xor_b64 s[18:19], exec, s[18:19]
	s_cbranch_execz .LBB162_37
; %bb.36:                               ;   in Loop: Header=BB162_35 Depth=2
	v_add_u32_e32 v5, 1, v5
	s_mov_b64 s[16:17], exec
	v_and_b32_e32 v5, 0xff, v5
                                        ; implicit-def: $vgpr7
	s_andn2_saveexec_b64 s[18:19], s[18:19]
	s_cbranch_execz .LBB162_39
	s_branch .LBB162_38
.LBB162_37:                             ;   in Loop: Header=BB162_35 Depth=2
	s_andn2_saveexec_b64 s[18:19], s[18:19]
	s_cbranch_execz .LBB162_39
.LBB162_38:                             ;   in Loop: Header=BB162_35 Depth=2
	v_mov_b32_e32 v8, s33
	ds_cmpst_rtn_b32 v7, v7, v8, v6
	s_andn2_b64 s[16:17], s[16:17], exec
	s_waitcnt lgkmcnt(0)
	v_cmp_ne_u32_e32 vcc, s33, v7
	s_and_b64 s[20:21], vcc, exec
	s_or_b64 s[16:17], s[16:17], s[20:21]
.LBB162_39:                             ;   in Loop: Header=BB162_35 Depth=2
	s_or_b64 exec, exec, s[18:19]
	s_mov_b64 s[18:19], -1
                                        ; implicit-def: $vgpr7
                                        ; implicit-def: $vgpr8
	s_and_saveexec_b64 s[20:21], s[16:17]
	s_cbranch_execz .LBB162_34
; %bb.40:                               ;   in Loop: Header=BB162_35 Depth=2
	v_lshl_add_u32 v7, v5, 2, 0
	ds_read_b32 v8, v7
	s_waitcnt lgkmcnt(0)
	v_cmp_eq_u32_e32 vcc, v8, v6
	s_orn2_b64 s[18:19], vcc, exec
	s_branch .LBB162_34
.LBB162_41:
	s_or_b64 exec, exec, s[2:3]
.LBB162_42:
	s_waitcnt lgkmcnt(0)
	s_barrier
	s_and_saveexec_b64 s[8:9], s[6:7]
	s_cbranch_execz .LBB162_55
; %bb.43:
	v_mbcnt_lo_u32_b32 v2, -1, 0
	v_mbcnt_hi_u32_b32 v2, -1, v2
	v_lshrrev_b32_e32 v4, 3, v0
	v_sub_u32_e32 v2, 63, v2
	v_and_b32_e32 v4, 12, v4
	s_movk_i32 s0, 0x7f
	s_movk_i32 s6, 0x5f
	v_mov_b32_e32 v6, 0
	v_lshrrev_b64 v[2:3], v2, -1
	v_add_u32_e32 v7, 0, v4
	v_cmp_eq_u32_e64 s[0:1], s0, v0
	v_cmp_lt_u32_e64 s[2:3], 31, v0
	v_cmp_lt_u32_e64 s[4:5], 63, v0
	;; [unrolled: 1-line block ×3, first 2 shown]
	v_or_b32_e32 v8, 0xffffff80, v0
	s_mov_b64 s[12:13], 0
	v_mov_b32_e32 v9, 0
	s_branch .LBB162_45
.LBB162_44:                             ;   in Loop: Header=BB162_45 Depth=1
	s_or_b64 exec, exec, s[14:15]
	s_waitcnt lgkmcnt(0)
	s_barrier
	ds_read_b32 v4, v6 offset:2060
	v_add_co_u32_e32 v8, vcc, 0x80, v8
	s_xor_b64 s[14:15], vcc, -1
	s_and_b64 s[14:15], exec, s[14:15]
	s_waitcnt lgkmcnt(0)
	v_add_u32_e32 v9, v4, v9
	s_or_b64 s[12:13], s[14:15], s[12:13]
	v_add_u32_e32 v1, 0x200, v1
	s_andn2_b64 exec, exec, s[12:13]
	s_cbranch_execz .LBB162_55
.LBB162_45:                             ; =>This Inner Loop Header: Depth=1
	ds_read2st64_b32 v[4:5], v1 offset1:4
	s_waitcnt lgkmcnt(0)
	s_barrier
	v_cmp_gt_i32_e32 vcc, s33, v4
	s_bcnt1_i32_b64 s14, vcc
	s_nop 0
	v_and_b32_e32 v11, vcc_lo, v2
	v_and_b32_e32 v10, vcc_hi, v3
	v_bcnt_u32_b32 v11, v11, 0
	v_bcnt_u32_b32 v10, v10, v11
	v_mov_b32_e32 v11, s14
	ds_write_b32 v7, v11 offset:2048
	s_waitcnt lgkmcnt(0)
	s_barrier
	s_and_saveexec_b64 s[14:15], s[2:3]
	s_cbranch_execz .LBB162_50
; %bb.46:                               ;   in Loop: Header=BB162_45 Depth=1
	ds_read_b32 v11, v6 offset:2048
	s_waitcnt lgkmcnt(0)
	v_add_u32_e32 v10, v11, v10
	s_or_b64 exec, exec, s[14:15]
	s_and_saveexec_b64 s[14:15], s[4:5]
	s_cbranch_execnz .LBB162_51
.LBB162_47:                             ;   in Loop: Header=BB162_45 Depth=1
	s_or_b64 exec, exec, s[14:15]
	s_and_saveexec_b64 s[14:15], s[6:7]
	s_cbranch_execz .LBB162_52
.LBB162_48:                             ;   in Loop: Header=BB162_45 Depth=1
	ds_read_b32 v11, v6 offset:2056
	s_waitcnt lgkmcnt(0)
	v_add_u32_e32 v10, v11, v10
	s_or_b64 exec, exec, s[14:15]
	s_and_saveexec_b64 s[14:15], vcc
	s_cbranch_execnz .LBB162_53
.LBB162_49:                             ;   in Loop: Header=BB162_45 Depth=1
	s_or_b64 exec, exec, s[14:15]
	s_and_saveexec_b64 s[14:15], s[0:1]
	s_cbranch_execz .LBB162_44
	s_branch .LBB162_54
.LBB162_50:                             ;   in Loop: Header=BB162_45 Depth=1
	s_or_b64 exec, exec, s[14:15]
	s_and_saveexec_b64 s[14:15], s[4:5]
	s_cbranch_execz .LBB162_47
.LBB162_51:                             ;   in Loop: Header=BB162_45 Depth=1
	ds_read_b32 v11, v6 offset:2052
	s_waitcnt lgkmcnt(0)
	v_add_u32_e32 v10, v11, v10
	s_or_b64 exec, exec, s[14:15]
	s_and_saveexec_b64 s[14:15], s[6:7]
	s_cbranch_execnz .LBB162_48
.LBB162_52:                             ;   in Loop: Header=BB162_45 Depth=1
	s_or_b64 exec, exec, s[14:15]
	s_and_saveexec_b64 s[14:15], vcc
	s_cbranch_execz .LBB162_49
.LBB162_53:                             ;   in Loop: Header=BB162_45 Depth=1
	v_add3_u32 v11, v9, -1, v10
	v_lshl_add_u32 v11, v11, 2, 0
	v_add_u32_e32 v12, v9, v10
	v_lshl_add_u32 v12, v12, 2, 0
	ds_write_b32 v11, v4
	ds_write_b32 v12, v5 offset:1020
	s_or_b64 exec, exec, s[14:15]
	s_and_saveexec_b64 s[14:15], s[0:1]
	s_cbranch_execz .LBB162_44
.LBB162_54:                             ;   in Loop: Header=BB162_45 Depth=1
	ds_write_b32 v6, v10 offset:2060
	s_branch .LBB162_44
.LBB162_55:
	s_or_b64 exec, exec, s[8:9]
	s_ashr_i32 s37, s36, 31
	s_lshl_b64 s[0:1], s[36:37], 3
	s_add_u32 s4, s34, s0
	s_addc_u32 s5, s35, s1
	s_load_dwordx4 s[0:3], s[4:5], 0x0
	s_waitcnt lgkmcnt(0)
	s_sub_i32 s8, s2, s0
	v_cmp_gt_i32_e32 vcc, s8, v0
	s_and_saveexec_b64 s[4:5], vcc
	s_cbranch_execz .LBB162_65
; %bb.56:
	s_sub_u32 s4, s0, s22
	s_subb_u32 s5, s1, 0
	s_and_b32 s12, s8, 7
	s_sub_i32 s0, s0, s2
	s_cmp_lt_u32 s0, -7
	s_cselect_b64 s[0:1], -1, 0
	s_and_b32 s13, s8, -8
	s_cmp_lg_u32 s12, 0
	v_cndmask_b32_e64 v1, 0, 1, s[0:1]
	s_cselect_b64 s[2:3], -1, 0
	v_cmp_ne_u32_e64 s[0:1], 1, v1
	v_cndmask_b32_e64 v1, 0, 1, s[2:3]
	s_mov_b32 s9, 0
	s_mov_b64 s[6:7], 0
	v_cmp_ne_u32_e64 s[2:3], 1, v1
	s_branch .LBB162_58
.LBB162_57:                             ;   in Loop: Header=BB162_58 Depth=1
	v_add_u32_e32 v0, 0x80, v0
	v_cmp_le_i32_e32 vcc, s8, v0
	v_lshl_add_u64 v[4:5], v[4:5], 2, s[10:11]
	s_or_b64 s[6:7], vcc, s[6:7]
	s_waitcnt lgkmcnt(0)
	global_store_dword v[4:5], v3, off
	s_andn2_b64 exec, exec, s[6:7]
	s_cbranch_execz .LBB162_65
.LBB162_58:                             ; =>This Loop Header: Depth=1
                                        ;     Child Loop BB162_60 Depth 2
                                        ;     Child Loop BB162_64 Depth 2
	v_lshl_add_u32 v1, v0, 2, 0
	ds_read2st64_b32 v[2:3], v1 offset1:4
	s_and_b64 vcc, exec, s[0:1]
	v_mov_b64_e32 v[4:5], s[4:5]
	s_mov_b32 s14, 0
	s_cbranch_vccnz .LBB162_62
; %bb.59:                               ;   in Loop: Header=BB162_58 Depth=1
	s_mov_b32 s15, 0
	v_mov_b64_e32 v[4:5], s[4:5]
.LBB162_60:                             ;   Parent Loop BB162_58 Depth=1
                                        ; =>  This Inner Loop Header: Depth=2
	v_mov_b32_e32 v1, s15
	ds_read2_b32 v[22:23], v1 offset1:1
	ds_read2_b32 v[24:25], v1 offset0:2 offset1:3
	ds_read2_b32 v[26:27], v1 offset0:4 offset1:5
	;; [unrolled: 1-line block ×3, first 2 shown]
	v_mov_b32_e32 v7, s9
	s_waitcnt lgkmcnt(3)
	v_cmp_gt_i32_e32 vcc, v2, v22
	v_mov_b32_e32 v9, s9
	v_mov_b32_e32 v11, s9
	v_cndmask_b32_e64 v6, 0, 1, vcc
	v_cmp_gt_i32_e32 vcc, v2, v23
	v_lshl_add_u64 v[4:5], v[4:5], 0, v[6:7]
	v_mov_b32_e32 v13, s9
	v_cndmask_b32_e64 v8, 0, 1, vcc
	s_waitcnt lgkmcnt(2)
	v_cmp_gt_i32_e32 vcc, v2, v24
	v_lshl_add_u64 v[4:5], v[4:5], 0, v[8:9]
	v_mov_b32_e32 v15, s9
	v_cndmask_b32_e64 v10, 0, 1, vcc
	v_cmp_gt_i32_e32 vcc, v2, v25
	v_lshl_add_u64 v[4:5], v[4:5], 0, v[10:11]
	v_mov_b32_e32 v17, s9
	v_cndmask_b32_e64 v12, 0, 1, vcc
	s_waitcnt lgkmcnt(1)
	v_cmp_gt_i32_e32 vcc, v2, v26
	v_lshl_add_u64 v[4:5], v[4:5], 0, v[12:13]
	;; [unrolled: 9-line block ×3, first 2 shown]
	s_add_i32 s14, s14, 8
	v_cndmask_b32_e64 v18, 0, 1, vcc
	v_cmp_gt_i32_e32 vcc, v2, v29
	s_add_i32 s15, s15, 32
	v_lshl_add_u64 v[4:5], v[4:5], 0, v[18:19]
	v_cndmask_b32_e64 v20, 0, 1, vcc
	s_cmp_eq_u32 s13, s14
	v_lshl_add_u64 v[4:5], v[4:5], 0, v[20:21]
	s_cbranch_scc0 .LBB162_60
; %bb.61:                               ;   in Loop: Header=BB162_58 Depth=1
	s_mov_b32 s14, s13
.LBB162_62:                             ;   in Loop: Header=BB162_58 Depth=1
	s_and_b64 vcc, exec, s[2:3]
	s_cbranch_vccnz .LBB162_57
; %bb.63:                               ;   in Loop: Header=BB162_58 Depth=1
	s_lshl_b32 s14, s14, 2
	s_add_i32 s14, s14, 0
	s_mov_b32 s15, s12
.LBB162_64:                             ;   Parent Loop BB162_58 Depth=1
                                        ; =>  This Inner Loop Header: Depth=2
	v_mov_b32_e32 v1, s14
	ds_read_b32 v1, v1
	v_mov_b32_e32 v7, s9
	s_add_i32 s14, s14, 4
	s_add_i32 s15, s15, -1
	s_cmp_lg_u32 s15, 0
	s_waitcnt lgkmcnt(0)
	v_cmp_gt_i32_e32 vcc, v2, v1
	s_nop 1
	v_cndmask_b32_e64 v6, 0, 1, vcc
	v_lshl_add_u64 v[4:5], v[4:5], 0, v[6:7]
	s_cbranch_scc1 .LBB162_64
	s_branch .LBB162_57
.LBB162_65:
	s_endpgm
	.section	.rodata,"a",@progbits
	.p2align	6, 0x0
	.amdhsa_kernel _ZN9rocsparseL41csrgemm_numeric_fill_block_per_row_kernelILj128ELj16ELj256ELj137ELj32ElifEEvT5_PKS1_S3_NS_24const_host_device_scalarIT6_EEPKT4_S3_PKS5_S9_S3_SB_S6_S9_S3_SB_S9_S3_PS5_21rocsparse_index_base_SD_SD_SD_bbb
		.amdhsa_group_segment_fixed_size 0
		.amdhsa_private_segment_fixed_size 0
		.amdhsa_kernarg_size 156
		.amdhsa_user_sgpr_count 2
		.amdhsa_user_sgpr_dispatch_ptr 0
		.amdhsa_user_sgpr_queue_ptr 0
		.amdhsa_user_sgpr_kernarg_segment_ptr 1
		.amdhsa_user_sgpr_dispatch_id 0
		.amdhsa_user_sgpr_kernarg_preload_length 0
		.amdhsa_user_sgpr_kernarg_preload_offset 0
		.amdhsa_user_sgpr_private_segment_size 0
		.amdhsa_uses_dynamic_stack 0
		.amdhsa_enable_private_segment 0
		.amdhsa_system_sgpr_workgroup_id_x 1
		.amdhsa_system_sgpr_workgroup_id_y 0
		.amdhsa_system_sgpr_workgroup_id_z 0
		.amdhsa_system_sgpr_workgroup_info 0
		.amdhsa_system_vgpr_workitem_id 0
		.amdhsa_next_free_vgpr 30
		.amdhsa_next_free_sgpr 53
		.amdhsa_accum_offset 32
		.amdhsa_reserve_vcc 1
		.amdhsa_float_round_mode_32 0
		.amdhsa_float_round_mode_16_64 0
		.amdhsa_float_denorm_mode_32 3
		.amdhsa_float_denorm_mode_16_64 3
		.amdhsa_dx10_clamp 1
		.amdhsa_ieee_mode 1
		.amdhsa_fp16_overflow 0
		.amdhsa_tg_split 0
		.amdhsa_exception_fp_ieee_invalid_op 0
		.amdhsa_exception_fp_denorm_src 0
		.amdhsa_exception_fp_ieee_div_zero 0
		.amdhsa_exception_fp_ieee_overflow 0
		.amdhsa_exception_fp_ieee_underflow 0
		.amdhsa_exception_fp_ieee_inexact 0
		.amdhsa_exception_int_div_zero 0
	.end_amdhsa_kernel
	.section	.text._ZN9rocsparseL41csrgemm_numeric_fill_block_per_row_kernelILj128ELj16ELj256ELj137ELj32ElifEEvT5_PKS1_S3_NS_24const_host_device_scalarIT6_EEPKT4_S3_PKS5_S9_S3_SB_S6_S9_S3_SB_S9_S3_PS5_21rocsparse_index_base_SD_SD_SD_bbb,"axG",@progbits,_ZN9rocsparseL41csrgemm_numeric_fill_block_per_row_kernelILj128ELj16ELj256ELj137ELj32ElifEEvT5_PKS1_S3_NS_24const_host_device_scalarIT6_EEPKT4_S3_PKS5_S9_S3_SB_S6_S9_S3_SB_S9_S3_PS5_21rocsparse_index_base_SD_SD_SD_bbb,comdat
.Lfunc_end162:
	.size	_ZN9rocsparseL41csrgemm_numeric_fill_block_per_row_kernelILj128ELj16ELj256ELj137ELj32ElifEEvT5_PKS1_S3_NS_24const_host_device_scalarIT6_EEPKT4_S3_PKS5_S9_S3_SB_S6_S9_S3_SB_S9_S3_PS5_21rocsparse_index_base_SD_SD_SD_bbb, .Lfunc_end162-_ZN9rocsparseL41csrgemm_numeric_fill_block_per_row_kernelILj128ELj16ELj256ELj137ELj32ElifEEvT5_PKS1_S3_NS_24const_host_device_scalarIT6_EEPKT4_S3_PKS5_S9_S3_SB_S6_S9_S3_SB_S9_S3_PS5_21rocsparse_index_base_SD_SD_SD_bbb
                                        ; -- End function
	.set _ZN9rocsparseL41csrgemm_numeric_fill_block_per_row_kernelILj128ELj16ELj256ELj137ELj32ElifEEvT5_PKS1_S3_NS_24const_host_device_scalarIT6_EEPKT4_S3_PKS5_S9_S3_SB_S6_S9_S3_SB_S9_S3_PS5_21rocsparse_index_base_SD_SD_SD_bbb.num_vgpr, 30
	.set _ZN9rocsparseL41csrgemm_numeric_fill_block_per_row_kernelILj128ELj16ELj256ELj137ELj32ElifEEvT5_PKS1_S3_NS_24const_host_device_scalarIT6_EEPKT4_S3_PKS5_S9_S3_SB_S6_S9_S3_SB_S9_S3_PS5_21rocsparse_index_base_SD_SD_SD_bbb.num_agpr, 0
	.set _ZN9rocsparseL41csrgemm_numeric_fill_block_per_row_kernelILj128ELj16ELj256ELj137ELj32ElifEEvT5_PKS1_S3_NS_24const_host_device_scalarIT6_EEPKT4_S3_PKS5_S9_S3_SB_S6_S9_S3_SB_S9_S3_PS5_21rocsparse_index_base_SD_SD_SD_bbb.numbered_sgpr, 53
	.set _ZN9rocsparseL41csrgemm_numeric_fill_block_per_row_kernelILj128ELj16ELj256ELj137ELj32ElifEEvT5_PKS1_S3_NS_24const_host_device_scalarIT6_EEPKT4_S3_PKS5_S9_S3_SB_S6_S9_S3_SB_S9_S3_PS5_21rocsparse_index_base_SD_SD_SD_bbb.num_named_barrier, 0
	.set _ZN9rocsparseL41csrgemm_numeric_fill_block_per_row_kernelILj128ELj16ELj256ELj137ELj32ElifEEvT5_PKS1_S3_NS_24const_host_device_scalarIT6_EEPKT4_S3_PKS5_S9_S3_SB_S6_S9_S3_SB_S9_S3_PS5_21rocsparse_index_base_SD_SD_SD_bbb.private_seg_size, 0
	.set _ZN9rocsparseL41csrgemm_numeric_fill_block_per_row_kernelILj128ELj16ELj256ELj137ELj32ElifEEvT5_PKS1_S3_NS_24const_host_device_scalarIT6_EEPKT4_S3_PKS5_S9_S3_SB_S6_S9_S3_SB_S9_S3_PS5_21rocsparse_index_base_SD_SD_SD_bbb.uses_vcc, 1
	.set _ZN9rocsparseL41csrgemm_numeric_fill_block_per_row_kernelILj128ELj16ELj256ELj137ELj32ElifEEvT5_PKS1_S3_NS_24const_host_device_scalarIT6_EEPKT4_S3_PKS5_S9_S3_SB_S6_S9_S3_SB_S9_S3_PS5_21rocsparse_index_base_SD_SD_SD_bbb.uses_flat_scratch, 0
	.set _ZN9rocsparseL41csrgemm_numeric_fill_block_per_row_kernelILj128ELj16ELj256ELj137ELj32ElifEEvT5_PKS1_S3_NS_24const_host_device_scalarIT6_EEPKT4_S3_PKS5_S9_S3_SB_S6_S9_S3_SB_S9_S3_PS5_21rocsparse_index_base_SD_SD_SD_bbb.has_dyn_sized_stack, 0
	.set _ZN9rocsparseL41csrgemm_numeric_fill_block_per_row_kernelILj128ELj16ELj256ELj137ELj32ElifEEvT5_PKS1_S3_NS_24const_host_device_scalarIT6_EEPKT4_S3_PKS5_S9_S3_SB_S6_S9_S3_SB_S9_S3_PS5_21rocsparse_index_base_SD_SD_SD_bbb.has_recursion, 0
	.set _ZN9rocsparseL41csrgemm_numeric_fill_block_per_row_kernelILj128ELj16ELj256ELj137ELj32ElifEEvT5_PKS1_S3_NS_24const_host_device_scalarIT6_EEPKT4_S3_PKS5_S9_S3_SB_S6_S9_S3_SB_S9_S3_PS5_21rocsparse_index_base_SD_SD_SD_bbb.has_indirect_call, 0
	.section	.AMDGPU.csdata,"",@progbits
; Kernel info:
; codeLenInByte = 2412
; TotalNumSgprs: 59
; NumVgprs: 30
; NumAgprs: 0
; TotalNumVgprs: 30
; ScratchSize: 0
; MemoryBound: 0
; FloatMode: 240
; IeeeMode: 1
; LDSByteSize: 0 bytes/workgroup (compile time only)
; SGPRBlocks: 7
; VGPRBlocks: 3
; NumSGPRsForWavesPerEU: 59
; NumVGPRsForWavesPerEU: 30
; AccumOffset: 32
; Occupancy: 8
; WaveLimiterHint : 1
; COMPUTE_PGM_RSRC2:SCRATCH_EN: 0
; COMPUTE_PGM_RSRC2:USER_SGPR: 2
; COMPUTE_PGM_RSRC2:TRAP_HANDLER: 0
; COMPUTE_PGM_RSRC2:TGID_X_EN: 1
; COMPUTE_PGM_RSRC2:TGID_Y_EN: 0
; COMPUTE_PGM_RSRC2:TGID_Z_EN: 0
; COMPUTE_PGM_RSRC2:TIDIG_COMP_CNT: 0
; COMPUTE_PGM_RSRC3_GFX90A:ACCUM_OFFSET: 7
; COMPUTE_PGM_RSRC3_GFX90A:TG_SPLIT: 0
	.section	.text._ZN9rocsparseL41csrgemm_numeric_fill_block_per_row_kernelILj128ELj16ELj256ELj137ELj64ElifEEvT5_PKS1_S3_NS_24const_host_device_scalarIT6_EEPKT4_S3_PKS5_S9_S3_SB_S6_S9_S3_SB_S9_S3_PS5_21rocsparse_index_base_SD_SD_SD_bbb,"axG",@progbits,_ZN9rocsparseL41csrgemm_numeric_fill_block_per_row_kernelILj128ELj16ELj256ELj137ELj64ElifEEvT5_PKS1_S3_NS_24const_host_device_scalarIT6_EEPKT4_S3_PKS5_S9_S3_SB_S6_S9_S3_SB_S9_S3_PS5_21rocsparse_index_base_SD_SD_SD_bbb,comdat
	.globl	_ZN9rocsparseL41csrgemm_numeric_fill_block_per_row_kernelILj128ELj16ELj256ELj137ELj64ElifEEvT5_PKS1_S3_NS_24const_host_device_scalarIT6_EEPKT4_S3_PKS5_S9_S3_SB_S6_S9_S3_SB_S9_S3_PS5_21rocsparse_index_base_SD_SD_SD_bbb ; -- Begin function _ZN9rocsparseL41csrgemm_numeric_fill_block_per_row_kernelILj128ELj16ELj256ELj137ELj64ElifEEvT5_PKS1_S3_NS_24const_host_device_scalarIT6_EEPKT4_S3_PKS5_S9_S3_SB_S6_S9_S3_SB_S9_S3_PS5_21rocsparse_index_base_SD_SD_SD_bbb
	.p2align	8
	.type	_ZN9rocsparseL41csrgemm_numeric_fill_block_per_row_kernelILj128ELj16ELj256ELj137ELj64ElifEEvT5_PKS1_S3_NS_24const_host_device_scalarIT6_EEPKT4_S3_PKS5_S9_S3_SB_S6_S9_S3_SB_S9_S3_PS5_21rocsparse_index_base_SD_SD_SD_bbb,@function
_ZN9rocsparseL41csrgemm_numeric_fill_block_per_row_kernelILj128ELj16ELj256ELj137ELj64ElifEEvT5_PKS1_S3_NS_24const_host_device_scalarIT6_EEPKT4_S3_PKS5_S9_S3_SB_S6_S9_S3_SB_S9_S3_PS5_21rocsparse_index_base_SD_SD_SD_bbb: ; @_ZN9rocsparseL41csrgemm_numeric_fill_block_per_row_kernelILj128ELj16ELj256ELj137ELj64ElifEEvT5_PKS1_S3_NS_24const_host_device_scalarIT6_EEPKT4_S3_PKS5_S9_S3_SB_S6_S9_S3_SB_S9_S3_PS5_21rocsparse_index_base_SD_SD_SD_bbb
; %bb.0:
	s_load_dword s3, s[0:1], 0x98
	s_load_dwordx2 s[8:9], s[0:1], 0x18
	s_load_dwordx2 s[6:7], s[0:1], 0x50
	s_waitcnt lgkmcnt(0)
	s_bitcmp1_b32 s3, 0
	s_cselect_b64 s[4:5], -1, 0
	s_bitcmp1_b32 s3, 16
	s_cselect_b64 s[10:11], -1, 0
	s_xor_b64 s[12:13], s[4:5], -1
	s_or_b64 s[12:13], s[10:11], s[12:13]
	s_and_b64 vcc, exec, s[12:13]
	s_cbranch_vccnz .LBB163_2
; %bb.1:
	s_load_dword s8, s[8:9], 0x0
	s_waitcnt lgkmcnt(0)
	v_mov_b32_e32 v12, s8
	s_branch .LBB163_3
.LBB163_2:
	v_mov_b32_e32 v1, s8
	v_cndmask_b32_e64 v12, 0, v1, s[4:5]
.LBB163_3:
	s_load_dwordx4 s[20:23], s[0:1], 0x88
	s_bitcmp1_b32 s3, 8
	s_cselect_b64 s[8:9], -1, 0
	s_xor_b64 s[12:13], s[8:9], -1
	s_or_b64 s[10:11], s[10:11], s[12:13]
	s_and_b64 vcc, exec, s[10:11]
	s_cbranch_vccnz .LBB163_5
; %bb.4:
	s_load_dword s3, s[6:7], 0x0
	s_waitcnt lgkmcnt(0)
	v_mov_b32_e32 v10, s3
	s_branch .LBB163_6
.LBB163_5:
	v_mov_b32_e32 v1, s6
	v_cndmask_b32_e64 v10, 0, v1, s[8:9]
.LBB163_6:
	s_load_dwordx2 s[10:11], s[0:1], 0x80
	s_load_dwordx2 s[34:35], s[0:1], 0x70
	;; [unrolled: 1-line block ×3, first 2 shown]
	s_load_dwordx8 s[12:19], s[0:1], 0x20
	s_load_dwordx4 s[36:39], s[0:1], 0x8
	s_load_dword s33, s[0:1], 0x0
	s_movk_i32 s3, 0x100
	v_cmp_gt_u32_e64 s[6:7], s3, v0
	v_lshl_add_u32 v1, v0, 2, 0
	s_and_saveexec_b64 s[24:25], s[6:7]
	s_cbranch_execz .LBB163_9
; %bb.7:
	v_or_b32_e32 v2, 0xffffff80, v0
	v_lshl_add_u32 v3, v0, 2, 0
	s_mov_b64 s[26:27], 0
	s_waitcnt lgkmcnt(0)
	v_mov_b32_e32 v4, s33
	v_mov_b32_e32 v5, 0
.LBB163_8:                              ; =>This Inner Loop Header: Depth=1
	v_add_co_u32_e32 v2, vcc, 0x80, v2
	s_xor_b64 s[28:29], vcc, -1
	s_and_b64 s[28:29], exec, s[28:29]
	ds_write2st64_b32 v3, v4, v5 offset1:4
	s_or_b64 s[26:27], s[28:29], s[26:27]
	v_add_u32_e32 v3, 0x200, v3
	s_andn2_b64 exec, exec, s[26:27]
	s_cbranch_execnz .LBB163_8
.LBB163_9:
	s_or_b64 exec, exec, s[24:25]
	s_load_dwordx4 s[24:27], s[0:1], 0x60
	s_load_dwordx4 s[28:31], s[0:1], 0x40
	s_waitcnt lgkmcnt(0)
	s_barrier
	s_load_dword s0, s[36:37], 0x0
	s_mov_b32 s1, 0
	v_lshrrev_b32_e32 v11, 4, v0
	s_waitcnt lgkmcnt(0)
	s_add_i32 s0, s0, s2
	s_lshl_b64 s[0:1], s[0:1], 2
	s_add_u32 s0, s38, s0
	s_addc_u32 s1, s39, s1
	s_load_dword s36, s[0:1], 0x0
	s_and_b64 vcc, exec, s[4:5]
	s_cbranch_vccz .LBB163_27
; %bb.10:
	s_waitcnt lgkmcnt(0)
	s_ashr_i32 s37, s36, 31
	s_lshl_b64 s[0:1], s[36:37], 3
	s_add_u32 s0, s12, s0
	s_addc_u32 s1, s13, s1
	s_load_dwordx4 s[44:47], s[0:1], 0x0
	v_subrev_co_u32_e32 v2, vcc, s20, v11
	s_nop 1
	v_subb_co_u32_e64 v3, s[0:1], 0, 0, vcc
	s_waitcnt lgkmcnt(0)
	s_sub_u32 s0, s46, s20
	s_subb_u32 s1, s47, 0
	v_lshl_add_u64 v[2:3], s[44:45], 0, v[2:3]
	v_cmp_gt_i64_e32 vcc, s[0:1], v[2:3]
	s_and_saveexec_b64 s[2:3], vcc
	s_cbranch_execz .LBB163_26
; %bb.11:
	v_and_b32_e32 v4, 15, v0
	v_subrev_co_u32_e32 v4, vcc, s21, v4
	s_mov_b32 s37, s21
	s_nop 0
	v_subb_co_u32_e64 v5, s[4:5], 0, 0, vcc
	s_mov_b64 s[4:5], 0
	s_movk_i32 s52, 0x89
	s_branch .LBB163_13
.LBB163_12:                             ;   in Loop: Header=BB163_13 Depth=1
	s_or_b64 exec, exec, s[12:13]
	v_lshl_add_u64 v[2:3], v[2:3], 0, 8
	v_cmp_le_i64_e32 vcc, s[0:1], v[2:3]
	s_or_b64 s[4:5], vcc, s[4:5]
	s_andn2_b64 exec, exec, s[4:5]
	s_cbranch_execz .LBB163_26
.LBB163_13:                             ; =>This Loop Header: Depth=1
                                        ;     Child Loop BB163_17 Depth 2
                                        ;       Child Loop BB163_20 Depth 3
	v_lshl_add_u64 v[6:7], v[2:3], 2, s[14:15]
	global_load_dword v6, v[6:7], off
	s_waitcnt vmcnt(0)
	v_subrev_u32_e32 v6, s20, v6
	v_ashrrev_i32_e32 v7, 31, v6
	v_lshl_add_u64 v[6:7], v[6:7], 3, s[18:19]
	global_load_dwordx4 v[14:17], v[6:7], off
	s_waitcnt vmcnt(0)
	v_subrev_co_u32_e32 v6, vcc, s37, v16
	s_nop 1
	v_subbrev_co_u32_e32 v7, vcc, 0, v17, vcc
	v_lshl_add_u64 v[8:9], v[14:15], 0, v[4:5]
	v_cmp_lt_i64_e32 vcc, v[8:9], v[6:7]
	s_and_saveexec_b64 s[12:13], vcc
	s_cbranch_execz .LBB163_12
; %bb.14:                               ;   in Loop: Header=BB163_13 Depth=1
	v_lshl_add_u64 v[14:15], v[2:3], 2, s[16:17]
	global_load_dword v13, v[14:15], off
	s_mov_b64 s[38:39], 0
	s_waitcnt vmcnt(0)
	v_mul_f32_e32 v13, v12, v13
	s_branch .LBB163_17
.LBB163_15:                             ;   in Loop: Header=BB163_17 Depth=2
	s_or_b64 exec, exec, s[44:45]
.LBB163_16:                             ;   in Loop: Header=BB163_17 Depth=2
	s_or_b64 exec, exec, s[42:43]
	s_waitcnt vmcnt(0)
	v_mul_f32_e32 v14, v13, v14
	v_lshl_add_u32 v15, v15, 2, 0
	ds_add_f32 v15, v14 offset:1024
	v_lshl_add_u64 v[8:9], v[8:9], 0, 16
	v_cmp_ge_i64_e32 vcc, v[8:9], v[6:7]
	s_or_b64 s[38:39], vcc, s[38:39]
	s_andn2_b64 exec, exec, s[38:39]
	s_cbranch_execz .LBB163_12
.LBB163_17:                             ;   Parent Loop BB163_13 Depth=1
                                        ; =>  This Loop Header: Depth=2
                                        ;       Child Loop BB163_20 Depth 3
	v_lshlrev_b64 v[14:15], 2, v[8:9]
	v_lshl_add_u64 v[16:17], s[28:29], 0, v[14:15]
	global_load_dword v16, v[16:17], off
	v_lshl_add_u64 v[14:15], s[30:31], 0, v[14:15]
	global_load_dword v14, v[14:15], off
	s_waitcnt vmcnt(1)
	v_subrev_u32_e32 v16, s21, v16
	v_mul_lo_u32 v15, v16, s52
	v_and_b32_e32 v15, 0xff, v15
	v_lshl_add_u32 v17, v15, 2, 0
	ds_read_b32 v18, v17
	s_waitcnt lgkmcnt(0)
	v_cmp_ne_u32_e32 vcc, v18, v16
	s_and_saveexec_b64 s[42:43], vcc
	s_cbranch_execz .LBB163_16
; %bb.18:                               ;   in Loop: Header=BB163_17 Depth=2
	s_mov_b64 s[44:45], 0
	s_branch .LBB163_20
.LBB163_19:                             ;   in Loop: Header=BB163_20 Depth=3
	s_or_b64 exec, exec, s[50:51]
	s_and_b64 s[46:47], exec, s[48:49]
	s_or_b64 s[44:45], s[46:47], s[44:45]
	s_andn2_b64 exec, exec, s[44:45]
	s_cbranch_execz .LBB163_15
.LBB163_20:                             ;   Parent Loop BB163_13 Depth=1
                                        ;     Parent Loop BB163_17 Depth=2
                                        ; =>    This Inner Loop Header: Depth=3
	v_cmp_ne_u32_e32 vcc, s33, v18
	s_mov_b64 s[46:47], 0
	s_and_saveexec_b64 s[48:49], vcc
	s_xor_b64 s[48:49], exec, s[48:49]
	s_cbranch_execz .LBB163_22
; %bb.21:                               ;   in Loop: Header=BB163_20 Depth=3
	v_add_u32_e32 v15, 1, v15
	s_mov_b64 s[46:47], exec
	v_and_b32_e32 v15, 0xff, v15
                                        ; implicit-def: $vgpr17
	s_andn2_saveexec_b64 s[48:49], s[48:49]
	s_cbranch_execz .LBB163_24
	s_branch .LBB163_23
.LBB163_22:                             ;   in Loop: Header=BB163_20 Depth=3
	s_andn2_saveexec_b64 s[48:49], s[48:49]
	s_cbranch_execz .LBB163_24
.LBB163_23:                             ;   in Loop: Header=BB163_20 Depth=3
	v_mov_b32_e32 v18, s33
	ds_cmpst_rtn_b32 v17, v17, v18, v16
	s_andn2_b64 s[46:47], s[46:47], exec
	s_waitcnt lgkmcnt(0)
	v_cmp_ne_u32_e32 vcc, s33, v17
	s_and_b64 s[50:51], vcc, exec
	s_or_b64 s[46:47], s[46:47], s[50:51]
.LBB163_24:                             ;   in Loop: Header=BB163_20 Depth=3
	s_or_b64 exec, exec, s[48:49]
	s_mov_b64 s[48:49], -1
                                        ; implicit-def: $vgpr17
                                        ; implicit-def: $vgpr18
	s_and_saveexec_b64 s[50:51], s[46:47]
	s_cbranch_execz .LBB163_19
; %bb.25:                               ;   in Loop: Header=BB163_20 Depth=3
	v_lshl_add_u32 v17, v15, 2, 0
	ds_read_b32 v18, v17
	s_waitcnt lgkmcnt(0)
	v_cmp_eq_u32_e32 vcc, v18, v16
	s_orn2_b64 s[48:49], vcc, exec
	s_branch .LBB163_19
.LBB163_26:
	s_or_b64 exec, exec, s[2:3]
.LBB163_27:
	s_andn2_b64 vcc, exec, s[8:9]
	s_cbranch_vccnz .LBB163_42
; %bb.28:
	s_waitcnt lgkmcnt(0)
	s_ashr_i32 s37, s36, 31
	s_lshl_b64 s[0:1], s[36:37], 3
	s_add_u32 s0, s40, s0
	s_addc_u32 s1, s41, s1
	s_load_dwordx4 s[12:15], s[0:1], 0x0
	v_subrev_co_u32_e32 v2, vcc, s23, v0
	s_nop 1
	v_subb_co_u32_e64 v3, s[0:1], 0, 0, vcc
	s_waitcnt lgkmcnt(0)
	s_sub_u32 s0, s14, s23
	s_subb_u32 s1, s15, 0
	v_lshl_add_u64 v[2:3], s[12:13], 0, v[2:3]
	v_cmp_gt_i64_e32 vcc, s[0:1], v[2:3]
	s_and_saveexec_b64 s[2:3], vcc
	s_cbranch_execz .LBB163_41
; %bb.29:
	s_mov_b64 s[4:5], 0
	s_movk_i32 s28, 0x89
	s_mov_b64 s[8:9], 0x80
	s_branch .LBB163_32
.LBB163_30:                             ;   in Loop: Header=BB163_32 Depth=1
	s_or_b64 exec, exec, s[14:15]
.LBB163_31:                             ;   in Loop: Header=BB163_32 Depth=1
	s_or_b64 exec, exec, s[12:13]
	s_waitcnt vmcnt(0)
	v_mul_f32_e32 v4, v10, v4
	v_lshl_add_u32 v5, v5, 2, 0
	ds_add_f32 v5, v4 offset:1024
	v_lshl_add_u64 v[2:3], v[2:3], 0, s[8:9]
	v_cmp_le_i64_e32 vcc, s[0:1], v[2:3]
	s_or_b64 s[4:5], vcc, s[4:5]
	s_andn2_b64 exec, exec, s[4:5]
	s_cbranch_execz .LBB163_41
.LBB163_32:                             ; =>This Loop Header: Depth=1
                                        ;     Child Loop BB163_35 Depth 2
	v_lshlrev_b64 v[4:5], 2, v[2:3]
	v_lshl_add_u64 v[6:7], s[24:25], 0, v[4:5]
	global_load_dword v6, v[6:7], off
	v_lshl_add_u64 v[4:5], s[26:27], 0, v[4:5]
	global_load_dword v4, v[4:5], off
	s_waitcnt vmcnt(1)
	v_subrev_u32_e32 v6, s23, v6
	v_mul_lo_u32 v5, v6, s28
	v_and_b32_e32 v5, 0xff, v5
	v_lshl_add_u32 v7, v5, 2, 0
	ds_read_b32 v8, v7
	s_waitcnt lgkmcnt(0)
	v_cmp_ne_u32_e32 vcc, v8, v6
	s_and_saveexec_b64 s[12:13], vcc
	s_cbranch_execz .LBB163_31
; %bb.33:                               ;   in Loop: Header=BB163_32 Depth=1
	s_mov_b64 s[14:15], 0
	s_branch .LBB163_35
.LBB163_34:                             ;   in Loop: Header=BB163_35 Depth=2
	s_or_b64 exec, exec, s[20:21]
	s_and_b64 s[16:17], exec, s[18:19]
	s_or_b64 s[14:15], s[16:17], s[14:15]
	s_andn2_b64 exec, exec, s[14:15]
	s_cbranch_execz .LBB163_30
.LBB163_35:                             ;   Parent Loop BB163_32 Depth=1
                                        ; =>  This Inner Loop Header: Depth=2
	v_cmp_ne_u32_e32 vcc, s33, v8
	s_mov_b64 s[16:17], 0
	s_and_saveexec_b64 s[18:19], vcc
	s_xor_b64 s[18:19], exec, s[18:19]
	s_cbranch_execz .LBB163_37
; %bb.36:                               ;   in Loop: Header=BB163_35 Depth=2
	v_add_u32_e32 v5, 1, v5
	s_mov_b64 s[16:17], exec
	v_and_b32_e32 v5, 0xff, v5
                                        ; implicit-def: $vgpr7
	s_andn2_saveexec_b64 s[18:19], s[18:19]
	s_cbranch_execz .LBB163_39
	s_branch .LBB163_38
.LBB163_37:                             ;   in Loop: Header=BB163_35 Depth=2
	s_andn2_saveexec_b64 s[18:19], s[18:19]
	s_cbranch_execz .LBB163_39
.LBB163_38:                             ;   in Loop: Header=BB163_35 Depth=2
	v_mov_b32_e32 v8, s33
	ds_cmpst_rtn_b32 v7, v7, v8, v6
	s_andn2_b64 s[16:17], s[16:17], exec
	s_waitcnt lgkmcnt(0)
	v_cmp_ne_u32_e32 vcc, s33, v7
	s_and_b64 s[20:21], vcc, exec
	s_or_b64 s[16:17], s[16:17], s[20:21]
.LBB163_39:                             ;   in Loop: Header=BB163_35 Depth=2
	s_or_b64 exec, exec, s[18:19]
	s_mov_b64 s[18:19], -1
                                        ; implicit-def: $vgpr7
                                        ; implicit-def: $vgpr8
	s_and_saveexec_b64 s[20:21], s[16:17]
	s_cbranch_execz .LBB163_34
; %bb.40:                               ;   in Loop: Header=BB163_35 Depth=2
	v_lshl_add_u32 v7, v5, 2, 0
	ds_read_b32 v8, v7
	s_waitcnt lgkmcnt(0)
	v_cmp_eq_u32_e32 vcc, v8, v6
	s_orn2_b64 s[18:19], vcc, exec
	s_branch .LBB163_34
.LBB163_41:
	s_or_b64 exec, exec, s[2:3]
.LBB163_42:
	s_waitcnt lgkmcnt(0)
	s_barrier
	s_and_saveexec_b64 s[4:5], s[6:7]
	s_cbranch_execz .LBB163_51
; %bb.43:
	v_mbcnt_lo_u32_b32 v2, -1, 0
	v_mbcnt_hi_u32_b32 v2, -1, v2
	v_sub_u32_e32 v2, 63, v2
	v_and_b32_e32 v4, 4, v11
	s_movk_i32 s2, 0x7f
	v_mov_b32_e32 v6, 0
	v_lshrrev_b64 v[2:3], v2, -1
	v_add_u32_e32 v7, 0, v4
	v_cmp_lt_u32_e64 s[0:1], 63, v0
	v_cmp_eq_u32_e64 s[2:3], s2, v0
	v_or_b32_e32 v8, 0xffffff80, v0
	s_mov_b64 s[6:7], 0
	v_mov_b32_e32 v9, 0
	s_branch .LBB163_45
.LBB163_44:                             ;   in Loop: Header=BB163_45 Depth=1
	s_or_b64 exec, exec, s[8:9]
	s_waitcnt lgkmcnt(0)
	s_barrier
	ds_read_b32 v4, v6 offset:2052
	v_add_co_u32_e32 v8, vcc, 0x80, v8
	s_xor_b64 s[8:9], vcc, -1
	s_and_b64 s[8:9], exec, s[8:9]
	s_waitcnt lgkmcnt(0)
	v_add_u32_e32 v9, v4, v9
	s_or_b64 s[6:7], s[8:9], s[6:7]
	v_add_u32_e32 v1, 0x200, v1
	s_andn2_b64 exec, exec, s[6:7]
	s_cbranch_execz .LBB163_51
.LBB163_45:                             ; =>This Inner Loop Header: Depth=1
	ds_read2st64_b32 v[4:5], v1 offset1:4
	s_waitcnt lgkmcnt(0)
	s_barrier
	v_cmp_gt_i32_e32 vcc, s33, v4
	s_bcnt1_i32_b64 s8, vcc
	s_nop 0
	v_and_b32_e32 v11, vcc_lo, v2
	v_and_b32_e32 v10, vcc_hi, v3
	v_bcnt_u32_b32 v11, v11, 0
	v_bcnt_u32_b32 v10, v10, v11
	v_mov_b32_e32 v11, s8
	ds_write_b32 v7, v11 offset:2048
	s_waitcnt lgkmcnt(0)
	s_barrier
	s_and_saveexec_b64 s[8:9], s[0:1]
	s_cbranch_execz .LBB163_48
; %bb.46:                               ;   in Loop: Header=BB163_45 Depth=1
	ds_read_b32 v11, v6 offset:2048
	s_waitcnt lgkmcnt(0)
	v_add_u32_e32 v10, v11, v10
	s_or_b64 exec, exec, s[8:9]
	s_and_saveexec_b64 s[8:9], vcc
	s_cbranch_execnz .LBB163_49
.LBB163_47:                             ;   in Loop: Header=BB163_45 Depth=1
	s_or_b64 exec, exec, s[8:9]
	s_and_saveexec_b64 s[8:9], s[2:3]
	s_cbranch_execz .LBB163_44
	s_branch .LBB163_50
.LBB163_48:                             ;   in Loop: Header=BB163_45 Depth=1
	s_or_b64 exec, exec, s[8:9]
	s_and_saveexec_b64 s[8:9], vcc
	s_cbranch_execz .LBB163_47
.LBB163_49:                             ;   in Loop: Header=BB163_45 Depth=1
	v_add3_u32 v11, v9, -1, v10
	v_lshl_add_u32 v11, v11, 2, 0
	v_add_u32_e32 v12, v9, v10
	v_lshl_add_u32 v12, v12, 2, 0
	ds_write_b32 v11, v4
	ds_write_b32 v12, v5 offset:1020
	s_or_b64 exec, exec, s[8:9]
	s_and_saveexec_b64 s[8:9], s[2:3]
	s_cbranch_execz .LBB163_44
.LBB163_50:                             ;   in Loop: Header=BB163_45 Depth=1
	ds_write_b32 v6, v10 offset:2052
	s_branch .LBB163_44
.LBB163_51:
	s_or_b64 exec, exec, s[4:5]
	s_ashr_i32 s37, s36, 31
	s_lshl_b64 s[0:1], s[36:37], 3
	s_add_u32 s4, s34, s0
	s_addc_u32 s5, s35, s1
	s_load_dwordx4 s[0:3], s[4:5], 0x0
	s_waitcnt lgkmcnt(0)
	s_sub_i32 s8, s2, s0
	v_cmp_gt_i32_e32 vcc, s8, v0
	s_and_saveexec_b64 s[4:5], vcc
	s_cbranch_execz .LBB163_61
; %bb.52:
	s_sub_u32 s4, s0, s22
	s_subb_u32 s5, s1, 0
	s_and_b32 s12, s8, 7
	s_sub_i32 s0, s0, s2
	s_cmp_lt_u32 s0, -7
	s_cselect_b64 s[0:1], -1, 0
	s_and_b32 s13, s8, -8
	s_cmp_lg_u32 s12, 0
	v_cndmask_b32_e64 v1, 0, 1, s[0:1]
	s_cselect_b64 s[2:3], -1, 0
	v_cmp_ne_u32_e64 s[0:1], 1, v1
	v_cndmask_b32_e64 v1, 0, 1, s[2:3]
	s_mov_b32 s9, 0
	s_mov_b64 s[6:7], 0
	v_cmp_ne_u32_e64 s[2:3], 1, v1
	s_branch .LBB163_54
.LBB163_53:                             ;   in Loop: Header=BB163_54 Depth=1
	v_add_u32_e32 v0, 0x80, v0
	v_cmp_le_i32_e32 vcc, s8, v0
	v_lshl_add_u64 v[4:5], v[4:5], 2, s[10:11]
	s_or_b64 s[6:7], vcc, s[6:7]
	s_waitcnt lgkmcnt(0)
	global_store_dword v[4:5], v3, off
	s_andn2_b64 exec, exec, s[6:7]
	s_cbranch_execz .LBB163_61
.LBB163_54:                             ; =>This Loop Header: Depth=1
                                        ;     Child Loop BB163_56 Depth 2
                                        ;     Child Loop BB163_60 Depth 2
	v_lshl_add_u32 v1, v0, 2, 0
	ds_read2st64_b32 v[2:3], v1 offset1:4
	s_and_b64 vcc, exec, s[0:1]
	v_mov_b64_e32 v[4:5], s[4:5]
	s_mov_b32 s14, 0
	s_cbranch_vccnz .LBB163_58
; %bb.55:                               ;   in Loop: Header=BB163_54 Depth=1
	s_mov_b32 s15, 0
	v_mov_b64_e32 v[4:5], s[4:5]
.LBB163_56:                             ;   Parent Loop BB163_54 Depth=1
                                        ; =>  This Inner Loop Header: Depth=2
	v_mov_b32_e32 v1, s15
	ds_read2_b32 v[22:23], v1 offset1:1
	ds_read2_b32 v[24:25], v1 offset0:2 offset1:3
	ds_read2_b32 v[26:27], v1 offset0:4 offset1:5
	;; [unrolled: 1-line block ×3, first 2 shown]
	v_mov_b32_e32 v7, s9
	s_waitcnt lgkmcnt(3)
	v_cmp_gt_i32_e32 vcc, v2, v22
	v_mov_b32_e32 v9, s9
	v_mov_b32_e32 v11, s9
	v_cndmask_b32_e64 v6, 0, 1, vcc
	v_cmp_gt_i32_e32 vcc, v2, v23
	v_lshl_add_u64 v[4:5], v[4:5], 0, v[6:7]
	v_mov_b32_e32 v13, s9
	v_cndmask_b32_e64 v8, 0, 1, vcc
	s_waitcnt lgkmcnt(2)
	v_cmp_gt_i32_e32 vcc, v2, v24
	v_lshl_add_u64 v[4:5], v[4:5], 0, v[8:9]
	v_mov_b32_e32 v15, s9
	v_cndmask_b32_e64 v10, 0, 1, vcc
	v_cmp_gt_i32_e32 vcc, v2, v25
	v_lshl_add_u64 v[4:5], v[4:5], 0, v[10:11]
	v_mov_b32_e32 v17, s9
	v_cndmask_b32_e64 v12, 0, 1, vcc
	s_waitcnt lgkmcnt(1)
	v_cmp_gt_i32_e32 vcc, v2, v26
	v_lshl_add_u64 v[4:5], v[4:5], 0, v[12:13]
	;; [unrolled: 9-line block ×3, first 2 shown]
	s_add_i32 s14, s14, 8
	v_cndmask_b32_e64 v18, 0, 1, vcc
	v_cmp_gt_i32_e32 vcc, v2, v29
	s_add_i32 s15, s15, 32
	v_lshl_add_u64 v[4:5], v[4:5], 0, v[18:19]
	v_cndmask_b32_e64 v20, 0, 1, vcc
	s_cmp_eq_u32 s13, s14
	v_lshl_add_u64 v[4:5], v[4:5], 0, v[20:21]
	s_cbranch_scc0 .LBB163_56
; %bb.57:                               ;   in Loop: Header=BB163_54 Depth=1
	s_mov_b32 s14, s13
.LBB163_58:                             ;   in Loop: Header=BB163_54 Depth=1
	s_and_b64 vcc, exec, s[2:3]
	s_cbranch_vccnz .LBB163_53
; %bb.59:                               ;   in Loop: Header=BB163_54 Depth=1
	s_lshl_b32 s14, s14, 2
	s_add_i32 s14, s14, 0
	s_mov_b32 s15, s12
.LBB163_60:                             ;   Parent Loop BB163_54 Depth=1
                                        ; =>  This Inner Loop Header: Depth=2
	v_mov_b32_e32 v1, s14
	ds_read_b32 v1, v1
	v_mov_b32_e32 v7, s9
	s_add_i32 s14, s14, 4
	s_add_i32 s15, s15, -1
	s_cmp_lg_u32 s15, 0
	s_waitcnt lgkmcnt(0)
	v_cmp_gt_i32_e32 vcc, v2, v1
	s_nop 1
	v_cndmask_b32_e64 v6, 0, 1, vcc
	v_lshl_add_u64 v[4:5], v[4:5], 0, v[6:7]
	s_cbranch_scc1 .LBB163_60
	s_branch .LBB163_53
.LBB163_61:
	s_endpgm
	.section	.rodata,"a",@progbits
	.p2align	6, 0x0
	.amdhsa_kernel _ZN9rocsparseL41csrgemm_numeric_fill_block_per_row_kernelILj128ELj16ELj256ELj137ELj64ElifEEvT5_PKS1_S3_NS_24const_host_device_scalarIT6_EEPKT4_S3_PKS5_S9_S3_SB_S6_S9_S3_SB_S9_S3_PS5_21rocsparse_index_base_SD_SD_SD_bbb
		.amdhsa_group_segment_fixed_size 0
		.amdhsa_private_segment_fixed_size 0
		.amdhsa_kernarg_size 156
		.amdhsa_user_sgpr_count 2
		.amdhsa_user_sgpr_dispatch_ptr 0
		.amdhsa_user_sgpr_queue_ptr 0
		.amdhsa_user_sgpr_kernarg_segment_ptr 1
		.amdhsa_user_sgpr_dispatch_id 0
		.amdhsa_user_sgpr_kernarg_preload_length 0
		.amdhsa_user_sgpr_kernarg_preload_offset 0
		.amdhsa_user_sgpr_private_segment_size 0
		.amdhsa_uses_dynamic_stack 0
		.amdhsa_enable_private_segment 0
		.amdhsa_system_sgpr_workgroup_id_x 1
		.amdhsa_system_sgpr_workgroup_id_y 0
		.amdhsa_system_sgpr_workgroup_id_z 0
		.amdhsa_system_sgpr_workgroup_info 0
		.amdhsa_system_vgpr_workitem_id 0
		.amdhsa_next_free_vgpr 30
		.amdhsa_next_free_sgpr 53
		.amdhsa_accum_offset 32
		.amdhsa_reserve_vcc 1
		.amdhsa_float_round_mode_32 0
		.amdhsa_float_round_mode_16_64 0
		.amdhsa_float_denorm_mode_32 3
		.amdhsa_float_denorm_mode_16_64 3
		.amdhsa_dx10_clamp 1
		.amdhsa_ieee_mode 1
		.amdhsa_fp16_overflow 0
		.amdhsa_tg_split 0
		.amdhsa_exception_fp_ieee_invalid_op 0
		.amdhsa_exception_fp_denorm_src 0
		.amdhsa_exception_fp_ieee_div_zero 0
		.amdhsa_exception_fp_ieee_overflow 0
		.amdhsa_exception_fp_ieee_underflow 0
		.amdhsa_exception_fp_ieee_inexact 0
		.amdhsa_exception_int_div_zero 0
	.end_amdhsa_kernel
	.section	.text._ZN9rocsparseL41csrgemm_numeric_fill_block_per_row_kernelILj128ELj16ELj256ELj137ELj64ElifEEvT5_PKS1_S3_NS_24const_host_device_scalarIT6_EEPKT4_S3_PKS5_S9_S3_SB_S6_S9_S3_SB_S9_S3_PS5_21rocsparse_index_base_SD_SD_SD_bbb,"axG",@progbits,_ZN9rocsparseL41csrgemm_numeric_fill_block_per_row_kernelILj128ELj16ELj256ELj137ELj64ElifEEvT5_PKS1_S3_NS_24const_host_device_scalarIT6_EEPKT4_S3_PKS5_S9_S3_SB_S6_S9_S3_SB_S9_S3_PS5_21rocsparse_index_base_SD_SD_SD_bbb,comdat
.Lfunc_end163:
	.size	_ZN9rocsparseL41csrgemm_numeric_fill_block_per_row_kernelILj128ELj16ELj256ELj137ELj64ElifEEvT5_PKS1_S3_NS_24const_host_device_scalarIT6_EEPKT4_S3_PKS5_S9_S3_SB_S6_S9_S3_SB_S9_S3_PS5_21rocsparse_index_base_SD_SD_SD_bbb, .Lfunc_end163-_ZN9rocsparseL41csrgemm_numeric_fill_block_per_row_kernelILj128ELj16ELj256ELj137ELj64ElifEEvT5_PKS1_S3_NS_24const_host_device_scalarIT6_EEPKT4_S3_PKS5_S9_S3_SB_S6_S9_S3_SB_S9_S3_PS5_21rocsparse_index_base_SD_SD_SD_bbb
                                        ; -- End function
	.set _ZN9rocsparseL41csrgemm_numeric_fill_block_per_row_kernelILj128ELj16ELj256ELj137ELj64ElifEEvT5_PKS1_S3_NS_24const_host_device_scalarIT6_EEPKT4_S3_PKS5_S9_S3_SB_S6_S9_S3_SB_S9_S3_PS5_21rocsparse_index_base_SD_SD_SD_bbb.num_vgpr, 30
	.set _ZN9rocsparseL41csrgemm_numeric_fill_block_per_row_kernelILj128ELj16ELj256ELj137ELj64ElifEEvT5_PKS1_S3_NS_24const_host_device_scalarIT6_EEPKT4_S3_PKS5_S9_S3_SB_S6_S9_S3_SB_S9_S3_PS5_21rocsparse_index_base_SD_SD_SD_bbb.num_agpr, 0
	.set _ZN9rocsparseL41csrgemm_numeric_fill_block_per_row_kernelILj128ELj16ELj256ELj137ELj64ElifEEvT5_PKS1_S3_NS_24const_host_device_scalarIT6_EEPKT4_S3_PKS5_S9_S3_SB_S6_S9_S3_SB_S9_S3_PS5_21rocsparse_index_base_SD_SD_SD_bbb.numbered_sgpr, 53
	.set _ZN9rocsparseL41csrgemm_numeric_fill_block_per_row_kernelILj128ELj16ELj256ELj137ELj64ElifEEvT5_PKS1_S3_NS_24const_host_device_scalarIT6_EEPKT4_S3_PKS5_S9_S3_SB_S6_S9_S3_SB_S9_S3_PS5_21rocsparse_index_base_SD_SD_SD_bbb.num_named_barrier, 0
	.set _ZN9rocsparseL41csrgemm_numeric_fill_block_per_row_kernelILj128ELj16ELj256ELj137ELj64ElifEEvT5_PKS1_S3_NS_24const_host_device_scalarIT6_EEPKT4_S3_PKS5_S9_S3_SB_S6_S9_S3_SB_S9_S3_PS5_21rocsparse_index_base_SD_SD_SD_bbb.private_seg_size, 0
	.set _ZN9rocsparseL41csrgemm_numeric_fill_block_per_row_kernelILj128ELj16ELj256ELj137ELj64ElifEEvT5_PKS1_S3_NS_24const_host_device_scalarIT6_EEPKT4_S3_PKS5_S9_S3_SB_S6_S9_S3_SB_S9_S3_PS5_21rocsparse_index_base_SD_SD_SD_bbb.uses_vcc, 1
	.set _ZN9rocsparseL41csrgemm_numeric_fill_block_per_row_kernelILj128ELj16ELj256ELj137ELj64ElifEEvT5_PKS1_S3_NS_24const_host_device_scalarIT6_EEPKT4_S3_PKS5_S9_S3_SB_S6_S9_S3_SB_S9_S3_PS5_21rocsparse_index_base_SD_SD_SD_bbb.uses_flat_scratch, 0
	.set _ZN9rocsparseL41csrgemm_numeric_fill_block_per_row_kernelILj128ELj16ELj256ELj137ELj64ElifEEvT5_PKS1_S3_NS_24const_host_device_scalarIT6_EEPKT4_S3_PKS5_S9_S3_SB_S6_S9_S3_SB_S9_S3_PS5_21rocsparse_index_base_SD_SD_SD_bbb.has_dyn_sized_stack, 0
	.set _ZN9rocsparseL41csrgemm_numeric_fill_block_per_row_kernelILj128ELj16ELj256ELj137ELj64ElifEEvT5_PKS1_S3_NS_24const_host_device_scalarIT6_EEPKT4_S3_PKS5_S9_S3_SB_S6_S9_S3_SB_S9_S3_PS5_21rocsparse_index_base_SD_SD_SD_bbb.has_recursion, 0
	.set _ZN9rocsparseL41csrgemm_numeric_fill_block_per_row_kernelILj128ELj16ELj256ELj137ELj64ElifEEvT5_PKS1_S3_NS_24const_host_device_scalarIT6_EEPKT4_S3_PKS5_S9_S3_SB_S6_S9_S3_SB_S9_S3_PS5_21rocsparse_index_base_SD_SD_SD_bbb.has_indirect_call, 0
	.section	.AMDGPU.csdata,"",@progbits
; Kernel info:
; codeLenInByte = 2312
; TotalNumSgprs: 59
; NumVgprs: 30
; NumAgprs: 0
; TotalNumVgprs: 30
; ScratchSize: 0
; MemoryBound: 0
; FloatMode: 240
; IeeeMode: 1
; LDSByteSize: 0 bytes/workgroup (compile time only)
; SGPRBlocks: 7
; VGPRBlocks: 3
; NumSGPRsForWavesPerEU: 59
; NumVGPRsForWavesPerEU: 30
; AccumOffset: 32
; Occupancy: 8
; WaveLimiterHint : 1
; COMPUTE_PGM_RSRC2:SCRATCH_EN: 0
; COMPUTE_PGM_RSRC2:USER_SGPR: 2
; COMPUTE_PGM_RSRC2:TRAP_HANDLER: 0
; COMPUTE_PGM_RSRC2:TGID_X_EN: 1
; COMPUTE_PGM_RSRC2:TGID_Y_EN: 0
; COMPUTE_PGM_RSRC2:TGID_Z_EN: 0
; COMPUTE_PGM_RSRC2:TIDIG_COMP_CNT: 0
; COMPUTE_PGM_RSRC3_GFX90A:ACCUM_OFFSET: 7
; COMPUTE_PGM_RSRC3_GFX90A:TG_SPLIT: 0
	.section	.text._ZN9rocsparseL41csrgemm_numeric_fill_block_per_row_kernelILj256ELj32ELj512ELj137ELj32ElifEEvT5_PKS1_S3_NS_24const_host_device_scalarIT6_EEPKT4_S3_PKS5_S9_S3_SB_S6_S9_S3_SB_S9_S3_PS5_21rocsparse_index_base_SD_SD_SD_bbb,"axG",@progbits,_ZN9rocsparseL41csrgemm_numeric_fill_block_per_row_kernelILj256ELj32ELj512ELj137ELj32ElifEEvT5_PKS1_S3_NS_24const_host_device_scalarIT6_EEPKT4_S3_PKS5_S9_S3_SB_S6_S9_S3_SB_S9_S3_PS5_21rocsparse_index_base_SD_SD_SD_bbb,comdat
	.globl	_ZN9rocsparseL41csrgemm_numeric_fill_block_per_row_kernelILj256ELj32ELj512ELj137ELj32ElifEEvT5_PKS1_S3_NS_24const_host_device_scalarIT6_EEPKT4_S3_PKS5_S9_S3_SB_S6_S9_S3_SB_S9_S3_PS5_21rocsparse_index_base_SD_SD_SD_bbb ; -- Begin function _ZN9rocsparseL41csrgemm_numeric_fill_block_per_row_kernelILj256ELj32ELj512ELj137ELj32ElifEEvT5_PKS1_S3_NS_24const_host_device_scalarIT6_EEPKT4_S3_PKS5_S9_S3_SB_S6_S9_S3_SB_S9_S3_PS5_21rocsparse_index_base_SD_SD_SD_bbb
	.p2align	8
	.type	_ZN9rocsparseL41csrgemm_numeric_fill_block_per_row_kernelILj256ELj32ELj512ELj137ELj32ElifEEvT5_PKS1_S3_NS_24const_host_device_scalarIT6_EEPKT4_S3_PKS5_S9_S3_SB_S6_S9_S3_SB_S9_S3_PS5_21rocsparse_index_base_SD_SD_SD_bbb,@function
_ZN9rocsparseL41csrgemm_numeric_fill_block_per_row_kernelILj256ELj32ELj512ELj137ELj32ElifEEvT5_PKS1_S3_NS_24const_host_device_scalarIT6_EEPKT4_S3_PKS5_S9_S3_SB_S6_S9_S3_SB_S9_S3_PS5_21rocsparse_index_base_SD_SD_SD_bbb: ; @_ZN9rocsparseL41csrgemm_numeric_fill_block_per_row_kernelILj256ELj32ELj512ELj137ELj32ElifEEvT5_PKS1_S3_NS_24const_host_device_scalarIT6_EEPKT4_S3_PKS5_S9_S3_SB_S6_S9_S3_SB_S9_S3_PS5_21rocsparse_index_base_SD_SD_SD_bbb
; %bb.0:
	s_load_dword s3, s[0:1], 0x98
	s_load_dwordx2 s[8:9], s[0:1], 0x18
	s_load_dwordx2 s[6:7], s[0:1], 0x50
	s_waitcnt lgkmcnt(0)
	s_bitcmp1_b32 s3, 0
	s_cselect_b64 s[4:5], -1, 0
	s_bitcmp1_b32 s3, 16
	s_cselect_b64 s[10:11], -1, 0
	s_xor_b64 s[12:13], s[4:5], -1
	s_or_b64 s[12:13], s[10:11], s[12:13]
	s_and_b64 vcc, exec, s[12:13]
	s_cbranch_vccnz .LBB164_2
; %bb.1:
	s_load_dword s8, s[8:9], 0x0
	s_waitcnt lgkmcnt(0)
	v_mov_b32_e32 v12, s8
	s_branch .LBB164_3
.LBB164_2:
	v_mov_b32_e32 v1, s8
	v_cndmask_b32_e64 v12, 0, v1, s[4:5]
.LBB164_3:
	s_load_dwordx4 s[20:23], s[0:1], 0x88
	s_bitcmp1_b32 s3, 8
	s_cselect_b64 s[8:9], -1, 0
	s_xor_b64 s[12:13], s[8:9], -1
	s_or_b64 s[10:11], s[10:11], s[12:13]
	s_and_b64 vcc, exec, s[10:11]
	s_cbranch_vccnz .LBB164_5
; %bb.4:
	s_load_dword s3, s[6:7], 0x0
	s_waitcnt lgkmcnt(0)
	v_mov_b32_e32 v10, s3
	s_branch .LBB164_6
.LBB164_5:
	v_mov_b32_e32 v1, s6
	v_cndmask_b32_e64 v10, 0, v1, s[8:9]
.LBB164_6:
	s_load_dwordx2 s[34:35], s[0:1], 0x80
	s_load_dwordx2 s[40:41], s[0:1], 0x70
	;; [unrolled: 1-line block ×3, first 2 shown]
	s_load_dwordx8 s[12:19], s[0:1], 0x20
	s_load_dwordx4 s[36:39], s[0:1], 0x8
	s_load_dword s33, s[0:1], 0x0
	s_movk_i32 s3, 0x200
	v_cmp_gt_u32_e64 s[6:7], s3, v0
	v_lshl_add_u32 v1, v0, 2, 0
	s_and_saveexec_b64 s[24:25], s[6:7]
	s_cbranch_execz .LBB164_9
; %bb.7:
	v_or_b32_e32 v2, 0xffffff00, v0
	v_lshl_add_u32 v3, v0, 2, 0
	s_mov_b64 s[26:27], 0
	s_waitcnt lgkmcnt(0)
	v_mov_b32_e32 v4, s33
	v_mov_b32_e32 v5, 0
.LBB164_8:                              ; =>This Inner Loop Header: Depth=1
	v_add_co_u32_e32 v2, vcc, 0x100, v2
	s_xor_b64 s[28:29], vcc, -1
	s_and_b64 s[28:29], exec, s[28:29]
	ds_write2st64_b32 v3, v4, v5 offset1:8
	s_or_b64 s[26:27], s[28:29], s[26:27]
	v_add_u32_e32 v3, 0x400, v3
	s_andn2_b64 exec, exec, s[26:27]
	s_cbranch_execnz .LBB164_8
.LBB164_9:
	s_or_b64 exec, exec, s[24:25]
	s_load_dwordx4 s[24:27], s[0:1], 0x60
	s_load_dwordx4 s[28:31], s[0:1], 0x40
	s_waitcnt lgkmcnt(0)
	s_barrier
	s_load_dword s0, s[36:37], 0x0
	s_mov_b32 s1, 0
	v_lshrrev_b32_e32 v11, 5, v0
	s_waitcnt lgkmcnt(0)
	s_add_i32 s0, s0, s2
	s_lshl_b64 s[0:1], s[0:1], 2
	s_add_u32 s0, s38, s0
	s_addc_u32 s1, s39, s1
	s_load_dword s36, s[0:1], 0x0
	s_and_b64 vcc, exec, s[4:5]
	s_cbranch_vccz .LBB164_27
; %bb.10:
	s_waitcnt lgkmcnt(0)
	s_ashr_i32 s37, s36, 31
	s_lshl_b64 s[0:1], s[36:37], 3
	s_add_u32 s0, s12, s0
	s_addc_u32 s1, s13, s1
	s_load_dwordx4 s[44:47], s[0:1], 0x0
	v_subrev_co_u32_e32 v2, vcc, s20, v11
	s_nop 1
	v_subb_co_u32_e64 v3, s[0:1], 0, 0, vcc
	s_waitcnt lgkmcnt(0)
	s_sub_u32 s0, s46, s20
	s_subb_u32 s1, s47, 0
	v_lshl_add_u64 v[2:3], s[44:45], 0, v[2:3]
	v_cmp_gt_i64_e32 vcc, s[0:1], v[2:3]
	s_and_saveexec_b64 s[2:3], vcc
	s_cbranch_execz .LBB164_26
; %bb.11:
	v_and_b32_e32 v4, 31, v0
	v_subrev_co_u32_e32 v4, vcc, s21, v4
	s_mov_b32 s37, s21
	s_nop 0
	v_subb_co_u32_e64 v5, s[4:5], 0, 0, vcc
	s_mov_b64 s[4:5], 0
	s_movk_i32 s52, 0x89
	s_branch .LBB164_13
.LBB164_12:                             ;   in Loop: Header=BB164_13 Depth=1
	s_or_b64 exec, exec, s[12:13]
	v_lshl_add_u64 v[2:3], v[2:3], 0, 8
	v_cmp_le_i64_e32 vcc, s[0:1], v[2:3]
	s_or_b64 s[4:5], vcc, s[4:5]
	s_andn2_b64 exec, exec, s[4:5]
	s_cbranch_execz .LBB164_26
.LBB164_13:                             ; =>This Loop Header: Depth=1
                                        ;     Child Loop BB164_17 Depth 2
                                        ;       Child Loop BB164_20 Depth 3
	v_lshl_add_u64 v[6:7], v[2:3], 2, s[14:15]
	global_load_dword v6, v[6:7], off
	s_waitcnt vmcnt(0)
	v_subrev_u32_e32 v6, s20, v6
	v_ashrrev_i32_e32 v7, 31, v6
	v_lshl_add_u64 v[6:7], v[6:7], 3, s[18:19]
	global_load_dwordx4 v[14:17], v[6:7], off
	s_waitcnt vmcnt(0)
	v_subrev_co_u32_e32 v6, vcc, s37, v16
	s_nop 1
	v_subbrev_co_u32_e32 v7, vcc, 0, v17, vcc
	v_lshl_add_u64 v[8:9], v[14:15], 0, v[4:5]
	v_cmp_lt_i64_e32 vcc, v[8:9], v[6:7]
	s_and_saveexec_b64 s[12:13], vcc
	s_cbranch_execz .LBB164_12
; %bb.14:                               ;   in Loop: Header=BB164_13 Depth=1
	v_lshl_add_u64 v[14:15], v[2:3], 2, s[16:17]
	global_load_dword v13, v[14:15], off
	s_mov_b64 s[38:39], 0
	s_waitcnt vmcnt(0)
	v_mul_f32_e32 v13, v12, v13
	s_branch .LBB164_17
.LBB164_15:                             ;   in Loop: Header=BB164_17 Depth=2
	s_or_b64 exec, exec, s[44:45]
.LBB164_16:                             ;   in Loop: Header=BB164_17 Depth=2
	s_or_b64 exec, exec, s[42:43]
	s_waitcnt vmcnt(0)
	v_mul_f32_e32 v14, v13, v14
	v_lshl_add_u32 v15, v15, 2, 0
	ds_add_f32 v15, v14 offset:2048
	v_lshl_add_u64 v[8:9], v[8:9], 0, 32
	v_cmp_ge_i64_e32 vcc, v[8:9], v[6:7]
	s_or_b64 s[38:39], vcc, s[38:39]
	s_andn2_b64 exec, exec, s[38:39]
	s_cbranch_execz .LBB164_12
.LBB164_17:                             ;   Parent Loop BB164_13 Depth=1
                                        ; =>  This Loop Header: Depth=2
                                        ;       Child Loop BB164_20 Depth 3
	v_lshlrev_b64 v[14:15], 2, v[8:9]
	v_lshl_add_u64 v[16:17], s[28:29], 0, v[14:15]
	global_load_dword v16, v[16:17], off
	v_lshl_add_u64 v[14:15], s[30:31], 0, v[14:15]
	global_load_dword v14, v[14:15], off
	s_waitcnt vmcnt(1)
	v_subrev_u32_e32 v16, s21, v16
	v_mul_lo_u32 v15, v16, s52
	v_and_b32_e32 v15, 0x1ff, v15
	v_lshl_add_u32 v17, v15, 2, 0
	ds_read_b32 v18, v17
	s_waitcnt lgkmcnt(0)
	v_cmp_ne_u32_e32 vcc, v18, v16
	s_and_saveexec_b64 s[42:43], vcc
	s_cbranch_execz .LBB164_16
; %bb.18:                               ;   in Loop: Header=BB164_17 Depth=2
	s_mov_b64 s[44:45], 0
	s_branch .LBB164_20
.LBB164_19:                             ;   in Loop: Header=BB164_20 Depth=3
	s_or_b64 exec, exec, s[50:51]
	s_and_b64 s[46:47], exec, s[48:49]
	s_or_b64 s[44:45], s[46:47], s[44:45]
	s_andn2_b64 exec, exec, s[44:45]
	s_cbranch_execz .LBB164_15
.LBB164_20:                             ;   Parent Loop BB164_13 Depth=1
                                        ;     Parent Loop BB164_17 Depth=2
                                        ; =>    This Inner Loop Header: Depth=3
	v_cmp_ne_u32_e32 vcc, s33, v18
	s_mov_b64 s[46:47], 0
	s_and_saveexec_b64 s[48:49], vcc
	s_xor_b64 s[48:49], exec, s[48:49]
	s_cbranch_execz .LBB164_22
; %bb.21:                               ;   in Loop: Header=BB164_20 Depth=3
	v_add_u32_e32 v15, 1, v15
	s_mov_b64 s[46:47], exec
	v_and_b32_e32 v15, 0x1ff, v15
                                        ; implicit-def: $vgpr17
	s_andn2_saveexec_b64 s[48:49], s[48:49]
	s_cbranch_execz .LBB164_24
	s_branch .LBB164_23
.LBB164_22:                             ;   in Loop: Header=BB164_20 Depth=3
	s_andn2_saveexec_b64 s[48:49], s[48:49]
	s_cbranch_execz .LBB164_24
.LBB164_23:                             ;   in Loop: Header=BB164_20 Depth=3
	v_mov_b32_e32 v18, s33
	ds_cmpst_rtn_b32 v17, v17, v18, v16
	s_andn2_b64 s[46:47], s[46:47], exec
	s_waitcnt lgkmcnt(0)
	v_cmp_ne_u32_e32 vcc, s33, v17
	s_and_b64 s[50:51], vcc, exec
	s_or_b64 s[46:47], s[46:47], s[50:51]
.LBB164_24:                             ;   in Loop: Header=BB164_20 Depth=3
	s_or_b64 exec, exec, s[48:49]
	s_mov_b64 s[48:49], -1
                                        ; implicit-def: $vgpr17
                                        ; implicit-def: $vgpr18
	s_and_saveexec_b64 s[50:51], s[46:47]
	s_cbranch_execz .LBB164_19
; %bb.25:                               ;   in Loop: Header=BB164_20 Depth=3
	v_lshl_add_u32 v17, v15, 2, 0
	ds_read_b32 v18, v17
	s_waitcnt lgkmcnt(0)
	v_cmp_eq_u32_e32 vcc, v18, v16
	s_orn2_b64 s[48:49], vcc, exec
	s_branch .LBB164_19
.LBB164_26:
	s_or_b64 exec, exec, s[2:3]
.LBB164_27:
	s_andn2_b64 vcc, exec, s[8:9]
	s_cbranch_vccnz .LBB164_42
; %bb.28:
	s_waitcnt lgkmcnt(0)
	s_ashr_i32 s37, s36, 31
	s_lshl_b64 s[0:1], s[36:37], 3
	s_add_u32 s0, s10, s0
	s_addc_u32 s1, s11, s1
	s_load_dwordx4 s[8:11], s[0:1], 0x0
	v_subrev_co_u32_e32 v2, vcc, s23, v0
	s_nop 1
	v_subb_co_u32_e64 v3, s[0:1], 0, 0, vcc
	s_waitcnt lgkmcnt(0)
	s_sub_u32 s0, s10, s23
	s_subb_u32 s1, s11, 0
	v_lshl_add_u64 v[2:3], s[8:9], 0, v[2:3]
	v_cmp_gt_i64_e32 vcc, s[0:1], v[2:3]
	s_and_saveexec_b64 s[2:3], vcc
	s_cbranch_execz .LBB164_41
; %bb.29:
	s_mov_b64 s[4:5], 0
	s_movk_i32 s20, 0x89
	s_mov_b64 s[8:9], 0x100
	s_branch .LBB164_32
.LBB164_30:                             ;   in Loop: Header=BB164_32 Depth=1
	s_or_b64 exec, exec, s[12:13]
.LBB164_31:                             ;   in Loop: Header=BB164_32 Depth=1
	s_or_b64 exec, exec, s[10:11]
	s_waitcnt vmcnt(0)
	v_mul_f32_e32 v4, v10, v4
	v_lshl_add_u32 v5, v5, 2, 0
	ds_add_f32 v5, v4 offset:2048
	v_lshl_add_u64 v[2:3], v[2:3], 0, s[8:9]
	v_cmp_le_i64_e32 vcc, s[0:1], v[2:3]
	s_or_b64 s[4:5], vcc, s[4:5]
	s_andn2_b64 exec, exec, s[4:5]
	s_cbranch_execz .LBB164_41
.LBB164_32:                             ; =>This Loop Header: Depth=1
                                        ;     Child Loop BB164_35 Depth 2
	v_lshlrev_b64 v[4:5], 2, v[2:3]
	v_lshl_add_u64 v[6:7], s[24:25], 0, v[4:5]
	global_load_dword v6, v[6:7], off
	v_lshl_add_u64 v[4:5], s[26:27], 0, v[4:5]
	global_load_dword v4, v[4:5], off
	s_waitcnt vmcnt(1)
	v_subrev_u32_e32 v6, s23, v6
	v_mul_lo_u32 v5, v6, s20
	v_and_b32_e32 v5, 0x1ff, v5
	v_lshl_add_u32 v7, v5, 2, 0
	ds_read_b32 v8, v7
	s_waitcnt lgkmcnt(0)
	v_cmp_ne_u32_e32 vcc, v8, v6
	s_and_saveexec_b64 s[10:11], vcc
	s_cbranch_execz .LBB164_31
; %bb.33:                               ;   in Loop: Header=BB164_32 Depth=1
	s_mov_b64 s[12:13], 0
	s_branch .LBB164_35
.LBB164_34:                             ;   in Loop: Header=BB164_35 Depth=2
	s_or_b64 exec, exec, s[18:19]
	s_and_b64 s[14:15], exec, s[16:17]
	s_or_b64 s[12:13], s[14:15], s[12:13]
	s_andn2_b64 exec, exec, s[12:13]
	s_cbranch_execz .LBB164_30
.LBB164_35:                             ;   Parent Loop BB164_32 Depth=1
                                        ; =>  This Inner Loop Header: Depth=2
	v_cmp_ne_u32_e32 vcc, s33, v8
	s_mov_b64 s[14:15], 0
	s_and_saveexec_b64 s[16:17], vcc
	s_xor_b64 s[16:17], exec, s[16:17]
	s_cbranch_execz .LBB164_37
; %bb.36:                               ;   in Loop: Header=BB164_35 Depth=2
	v_add_u32_e32 v5, 1, v5
	s_mov_b64 s[14:15], exec
	v_and_b32_e32 v5, 0x1ff, v5
                                        ; implicit-def: $vgpr7
	s_andn2_saveexec_b64 s[16:17], s[16:17]
	s_cbranch_execz .LBB164_39
	s_branch .LBB164_38
.LBB164_37:                             ;   in Loop: Header=BB164_35 Depth=2
	s_andn2_saveexec_b64 s[16:17], s[16:17]
	s_cbranch_execz .LBB164_39
.LBB164_38:                             ;   in Loop: Header=BB164_35 Depth=2
	v_mov_b32_e32 v8, s33
	ds_cmpst_rtn_b32 v7, v7, v8, v6
	s_andn2_b64 s[14:15], s[14:15], exec
	s_waitcnt lgkmcnt(0)
	v_cmp_ne_u32_e32 vcc, s33, v7
	s_and_b64 s[18:19], vcc, exec
	s_or_b64 s[14:15], s[14:15], s[18:19]
.LBB164_39:                             ;   in Loop: Header=BB164_35 Depth=2
	s_or_b64 exec, exec, s[16:17]
	s_mov_b64 s[16:17], -1
                                        ; implicit-def: $vgpr7
                                        ; implicit-def: $vgpr8
	s_and_saveexec_b64 s[18:19], s[14:15]
	s_cbranch_execz .LBB164_34
; %bb.40:                               ;   in Loop: Header=BB164_35 Depth=2
	v_lshl_add_u32 v7, v5, 2, 0
	ds_read_b32 v8, v7
	s_waitcnt lgkmcnt(0)
	v_cmp_eq_u32_e32 vcc, v8, v6
	s_orn2_b64 s[16:17], vcc, exec
	s_branch .LBB164_34
.LBB164_41:
	s_or_b64 exec, exec, s[2:3]
.LBB164_42:
	s_waitcnt lgkmcnt(0)
	s_barrier
	s_and_saveexec_b64 s[16:17], s[6:7]
	s_cbranch_execz .LBB164_63
; %bb.43:
	v_mbcnt_lo_u32_b32 v2, -1, 0
	v_mbcnt_hi_u32_b32 v2, -1, v2
	v_sub_u32_e32 v2, 63, v2
	s_movk_i32 s0, 0xff
	s_movk_i32 s6, 0x5f
	;; [unrolled: 1-line block ×6, first 2 shown]
	v_mov_b32_e32 v6, 0
	v_lshrrev_b64 v[2:3], v2, -1
	v_lshl_add_u32 v7, v11, 2, 0
	v_cmp_eq_u32_e64 s[0:1], s0, v0
	v_cmp_lt_u32_e64 s[2:3], 31, v0
	v_cmp_lt_u32_e64 s[4:5], 63, v0
	;; [unrolled: 1-line block ×7, first 2 shown]
	v_or_b32_e32 v8, 0xffffff00, v0
	s_mov_b64 s[18:19], 0
	v_mov_b32_e32 v9, 0
	s_branch .LBB164_45
.LBB164_44:                             ;   in Loop: Header=BB164_45 Depth=1
	s_or_b64 exec, exec, s[20:21]
	s_waitcnt lgkmcnt(0)
	s_barrier
	ds_read_b32 v4, v6 offset:4124
	v_add_co_u32_e32 v8, vcc, 0x100, v8
	s_xor_b64 s[20:21], vcc, -1
	s_and_b64 s[20:21], exec, s[20:21]
	s_waitcnt lgkmcnt(0)
	v_add_u32_e32 v9, v4, v9
	s_or_b64 s[18:19], s[20:21], s[18:19]
	v_add_u32_e32 v1, 0x400, v1
	s_andn2_b64 exec, exec, s[18:19]
	s_cbranch_execz .LBB164_63
.LBB164_45:                             ; =>This Inner Loop Header: Depth=1
	ds_read2st64_b32 v[4:5], v1 offset1:8
	s_waitcnt lgkmcnt(0)
	s_barrier
	v_cmp_gt_i32_e32 vcc, s33, v4
	s_bcnt1_i32_b64 s20, vcc
	s_nop 0
	v_and_b32_e32 v11, vcc_lo, v2
	v_and_b32_e32 v10, vcc_hi, v3
	v_bcnt_u32_b32 v11, v11, 0
	v_bcnt_u32_b32 v10, v10, v11
	v_mov_b32_e32 v11, s20
	ds_write_b32 v7, v11 offset:4096
	s_waitcnt lgkmcnt(0)
	s_barrier
	s_and_saveexec_b64 s[20:21], s[2:3]
	s_cbranch_execz .LBB164_54
; %bb.46:                               ;   in Loop: Header=BB164_45 Depth=1
	ds_read_b32 v11, v6 offset:4096
	s_waitcnt lgkmcnt(0)
	v_add_u32_e32 v10, v11, v10
	s_or_b64 exec, exec, s[20:21]
	s_and_saveexec_b64 s[20:21], s[4:5]
	s_cbranch_execnz .LBB164_55
.LBB164_47:                             ;   in Loop: Header=BB164_45 Depth=1
	s_or_b64 exec, exec, s[20:21]
	s_and_saveexec_b64 s[20:21], s[6:7]
	s_cbranch_execz .LBB164_56
.LBB164_48:                             ;   in Loop: Header=BB164_45 Depth=1
	ds_read_b32 v11, v6 offset:4104
	s_waitcnt lgkmcnt(0)
	v_add_u32_e32 v10, v11, v10
	s_or_b64 exec, exec, s[20:21]
	s_and_saveexec_b64 s[20:21], s[8:9]
	s_cbranch_execnz .LBB164_57
.LBB164_49:                             ;   in Loop: Header=BB164_45 Depth=1
	s_or_b64 exec, exec, s[20:21]
	s_and_saveexec_b64 s[20:21], s[10:11]
	s_cbranch_execz .LBB164_58
.LBB164_50:                             ;   in Loop: Header=BB164_45 Depth=1
	ds_read_b32 v11, v6 offset:4112
	s_waitcnt lgkmcnt(0)
	v_add_u32_e32 v10, v11, v10
	s_or_b64 exec, exec, s[20:21]
	s_and_saveexec_b64 s[20:21], s[12:13]
	s_cbranch_execnz .LBB164_59
.LBB164_51:                             ;   in Loop: Header=BB164_45 Depth=1
	s_or_b64 exec, exec, s[20:21]
	s_and_saveexec_b64 s[20:21], s[14:15]
	s_cbranch_execz .LBB164_60
.LBB164_52:                             ;   in Loop: Header=BB164_45 Depth=1
	ds_read_b32 v11, v6 offset:4120
	s_waitcnt lgkmcnt(0)
	v_add_u32_e32 v10, v11, v10
	s_or_b64 exec, exec, s[20:21]
	s_and_saveexec_b64 s[20:21], vcc
	s_cbranch_execnz .LBB164_61
.LBB164_53:                             ;   in Loop: Header=BB164_45 Depth=1
	s_or_b64 exec, exec, s[20:21]
	s_and_saveexec_b64 s[20:21], s[0:1]
	s_cbranch_execz .LBB164_44
	s_branch .LBB164_62
.LBB164_54:                             ;   in Loop: Header=BB164_45 Depth=1
	s_or_b64 exec, exec, s[20:21]
	s_and_saveexec_b64 s[20:21], s[4:5]
	s_cbranch_execz .LBB164_47
.LBB164_55:                             ;   in Loop: Header=BB164_45 Depth=1
	ds_read_b32 v11, v6 offset:4100
	s_waitcnt lgkmcnt(0)
	v_add_u32_e32 v10, v11, v10
	s_or_b64 exec, exec, s[20:21]
	s_and_saveexec_b64 s[20:21], s[6:7]
	s_cbranch_execnz .LBB164_48
.LBB164_56:                             ;   in Loop: Header=BB164_45 Depth=1
	s_or_b64 exec, exec, s[20:21]
	s_and_saveexec_b64 s[20:21], s[8:9]
	s_cbranch_execz .LBB164_49
.LBB164_57:                             ;   in Loop: Header=BB164_45 Depth=1
	ds_read_b32 v11, v6 offset:4108
	s_waitcnt lgkmcnt(0)
	v_add_u32_e32 v10, v11, v10
	s_or_b64 exec, exec, s[20:21]
	s_and_saveexec_b64 s[20:21], s[10:11]
	s_cbranch_execnz .LBB164_50
.LBB164_58:                             ;   in Loop: Header=BB164_45 Depth=1
	s_or_b64 exec, exec, s[20:21]
	s_and_saveexec_b64 s[20:21], s[12:13]
	s_cbranch_execz .LBB164_51
.LBB164_59:                             ;   in Loop: Header=BB164_45 Depth=1
	ds_read_b32 v11, v6 offset:4116
	s_waitcnt lgkmcnt(0)
	v_add_u32_e32 v10, v11, v10
	s_or_b64 exec, exec, s[20:21]
	s_and_saveexec_b64 s[20:21], s[14:15]
	s_cbranch_execnz .LBB164_52
.LBB164_60:                             ;   in Loop: Header=BB164_45 Depth=1
	s_or_b64 exec, exec, s[20:21]
	s_and_saveexec_b64 s[20:21], vcc
	s_cbranch_execz .LBB164_53
.LBB164_61:                             ;   in Loop: Header=BB164_45 Depth=1
	v_add3_u32 v11, v9, -1, v10
	v_lshl_add_u32 v11, v11, 2, 0
	v_add_u32_e32 v12, v9, v10
	v_lshl_add_u32 v12, v12, 2, 0
	ds_write_b32 v11, v4
	ds_write_b32 v12, v5 offset:2044
	s_or_b64 exec, exec, s[20:21]
	s_and_saveexec_b64 s[20:21], s[0:1]
	s_cbranch_execz .LBB164_44
.LBB164_62:                             ;   in Loop: Header=BB164_45 Depth=1
	ds_write_b32 v6, v10 offset:4124
	s_branch .LBB164_44
.LBB164_63:
	s_or_b64 exec, exec, s[16:17]
	s_ashr_i32 s37, s36, 31
	s_lshl_b64 s[0:1], s[36:37], 3
	s_add_u32 s4, s40, s0
	s_addc_u32 s5, s41, s1
	s_load_dwordx4 s[0:3], s[4:5], 0x0
	s_waitcnt lgkmcnt(0)
	s_sub_i32 s8, s2, s0
	v_cmp_gt_i32_e32 vcc, s8, v0
	s_and_saveexec_b64 s[4:5], vcc
	s_cbranch_execz .LBB164_73
; %bb.64:
	s_sub_u32 s4, s0, s22
	s_subb_u32 s5, s1, 0
	s_and_b32 s10, s8, 7
	s_sub_i32 s0, s0, s2
	s_cmp_lt_u32 s0, -7
	s_cselect_b64 s[0:1], -1, 0
	s_and_b32 s11, s8, -8
	s_cmp_lg_u32 s10, 0
	v_cndmask_b32_e64 v1, 0, 1, s[0:1]
	s_cselect_b64 s[2:3], -1, 0
	v_cmp_ne_u32_e64 s[0:1], 1, v1
	v_cndmask_b32_e64 v1, 0, 1, s[2:3]
	s_mov_b32 s9, 0
	s_mov_b64 s[6:7], 0
	v_cmp_ne_u32_e64 s[2:3], 1, v1
	s_branch .LBB164_66
.LBB164_65:                             ;   in Loop: Header=BB164_66 Depth=1
	v_add_u32_e32 v0, 0x100, v0
	v_cmp_le_i32_e32 vcc, s8, v0
	v_lshl_add_u64 v[4:5], v[4:5], 2, s[34:35]
	s_or_b64 s[6:7], vcc, s[6:7]
	s_waitcnt lgkmcnt(0)
	global_store_dword v[4:5], v3, off
	s_andn2_b64 exec, exec, s[6:7]
	s_cbranch_execz .LBB164_73
.LBB164_66:                             ; =>This Loop Header: Depth=1
                                        ;     Child Loop BB164_68 Depth 2
                                        ;     Child Loop BB164_72 Depth 2
	v_lshl_add_u32 v1, v0, 2, 0
	ds_read2st64_b32 v[2:3], v1 offset1:8
	s_and_b64 vcc, exec, s[0:1]
	v_mov_b64_e32 v[4:5], s[4:5]
	s_mov_b32 s12, 0
	s_cbranch_vccnz .LBB164_70
; %bb.67:                               ;   in Loop: Header=BB164_66 Depth=1
	s_mov_b32 s13, 0
	v_mov_b64_e32 v[4:5], s[4:5]
.LBB164_68:                             ;   Parent Loop BB164_66 Depth=1
                                        ; =>  This Inner Loop Header: Depth=2
	v_mov_b32_e32 v1, s13
	ds_read2_b32 v[22:23], v1 offset1:1
	ds_read2_b32 v[24:25], v1 offset0:2 offset1:3
	ds_read2_b32 v[26:27], v1 offset0:4 offset1:5
	;; [unrolled: 1-line block ×3, first 2 shown]
	v_mov_b32_e32 v7, s9
	s_waitcnt lgkmcnt(3)
	v_cmp_gt_i32_e32 vcc, v2, v22
	v_mov_b32_e32 v9, s9
	v_mov_b32_e32 v11, s9
	v_cndmask_b32_e64 v6, 0, 1, vcc
	v_cmp_gt_i32_e32 vcc, v2, v23
	v_lshl_add_u64 v[4:5], v[4:5], 0, v[6:7]
	v_mov_b32_e32 v13, s9
	v_cndmask_b32_e64 v8, 0, 1, vcc
	s_waitcnt lgkmcnt(2)
	v_cmp_gt_i32_e32 vcc, v2, v24
	v_lshl_add_u64 v[4:5], v[4:5], 0, v[8:9]
	v_mov_b32_e32 v15, s9
	v_cndmask_b32_e64 v10, 0, 1, vcc
	v_cmp_gt_i32_e32 vcc, v2, v25
	v_lshl_add_u64 v[4:5], v[4:5], 0, v[10:11]
	v_mov_b32_e32 v17, s9
	v_cndmask_b32_e64 v12, 0, 1, vcc
	s_waitcnt lgkmcnt(1)
	v_cmp_gt_i32_e32 vcc, v2, v26
	v_lshl_add_u64 v[4:5], v[4:5], 0, v[12:13]
	;; [unrolled: 9-line block ×3, first 2 shown]
	s_add_i32 s12, s12, 8
	v_cndmask_b32_e64 v18, 0, 1, vcc
	v_cmp_gt_i32_e32 vcc, v2, v29
	s_add_i32 s13, s13, 32
	v_lshl_add_u64 v[4:5], v[4:5], 0, v[18:19]
	v_cndmask_b32_e64 v20, 0, 1, vcc
	s_cmp_eq_u32 s11, s12
	v_lshl_add_u64 v[4:5], v[4:5], 0, v[20:21]
	s_cbranch_scc0 .LBB164_68
; %bb.69:                               ;   in Loop: Header=BB164_66 Depth=1
	s_mov_b32 s12, s11
.LBB164_70:                             ;   in Loop: Header=BB164_66 Depth=1
	s_and_b64 vcc, exec, s[2:3]
	s_cbranch_vccnz .LBB164_65
; %bb.71:                               ;   in Loop: Header=BB164_66 Depth=1
	s_lshl_b32 s12, s12, 2
	s_add_i32 s12, s12, 0
	s_mov_b32 s13, s10
.LBB164_72:                             ;   Parent Loop BB164_66 Depth=1
                                        ; =>  This Inner Loop Header: Depth=2
	v_mov_b32_e32 v1, s12
	ds_read_b32 v1, v1
	v_mov_b32_e32 v7, s9
	s_add_i32 s12, s12, 4
	s_add_i32 s13, s13, -1
	s_cmp_lg_u32 s13, 0
	s_waitcnt lgkmcnt(0)
	v_cmp_gt_i32_e32 vcc, v2, v1
	s_nop 1
	v_cndmask_b32_e64 v6, 0, 1, vcc
	v_lshl_add_u64 v[4:5], v[4:5], 0, v[6:7]
	s_cbranch_scc1 .LBB164_72
	s_branch .LBB164_65
.LBB164_73:
	s_endpgm
	.section	.rodata,"a",@progbits
	.p2align	6, 0x0
	.amdhsa_kernel _ZN9rocsparseL41csrgemm_numeric_fill_block_per_row_kernelILj256ELj32ELj512ELj137ELj32ElifEEvT5_PKS1_S3_NS_24const_host_device_scalarIT6_EEPKT4_S3_PKS5_S9_S3_SB_S6_S9_S3_SB_S9_S3_PS5_21rocsparse_index_base_SD_SD_SD_bbb
		.amdhsa_group_segment_fixed_size 0
		.amdhsa_private_segment_fixed_size 0
		.amdhsa_kernarg_size 156
		.amdhsa_user_sgpr_count 2
		.amdhsa_user_sgpr_dispatch_ptr 0
		.amdhsa_user_sgpr_queue_ptr 0
		.amdhsa_user_sgpr_kernarg_segment_ptr 1
		.amdhsa_user_sgpr_dispatch_id 0
		.amdhsa_user_sgpr_kernarg_preload_length 0
		.amdhsa_user_sgpr_kernarg_preload_offset 0
		.amdhsa_user_sgpr_private_segment_size 0
		.amdhsa_uses_dynamic_stack 0
		.amdhsa_enable_private_segment 0
		.amdhsa_system_sgpr_workgroup_id_x 1
		.amdhsa_system_sgpr_workgroup_id_y 0
		.amdhsa_system_sgpr_workgroup_id_z 0
		.amdhsa_system_sgpr_workgroup_info 0
		.amdhsa_system_vgpr_workitem_id 0
		.amdhsa_next_free_vgpr 30
		.amdhsa_next_free_sgpr 53
		.amdhsa_accum_offset 32
		.amdhsa_reserve_vcc 1
		.amdhsa_float_round_mode_32 0
		.amdhsa_float_round_mode_16_64 0
		.amdhsa_float_denorm_mode_32 3
		.amdhsa_float_denorm_mode_16_64 3
		.amdhsa_dx10_clamp 1
		.amdhsa_ieee_mode 1
		.amdhsa_fp16_overflow 0
		.amdhsa_tg_split 0
		.amdhsa_exception_fp_ieee_invalid_op 0
		.amdhsa_exception_fp_denorm_src 0
		.amdhsa_exception_fp_ieee_div_zero 0
		.amdhsa_exception_fp_ieee_overflow 0
		.amdhsa_exception_fp_ieee_underflow 0
		.amdhsa_exception_fp_ieee_inexact 0
		.amdhsa_exception_int_div_zero 0
	.end_amdhsa_kernel
	.section	.text._ZN9rocsparseL41csrgemm_numeric_fill_block_per_row_kernelILj256ELj32ELj512ELj137ELj32ElifEEvT5_PKS1_S3_NS_24const_host_device_scalarIT6_EEPKT4_S3_PKS5_S9_S3_SB_S6_S9_S3_SB_S9_S3_PS5_21rocsparse_index_base_SD_SD_SD_bbb,"axG",@progbits,_ZN9rocsparseL41csrgemm_numeric_fill_block_per_row_kernelILj256ELj32ELj512ELj137ELj32ElifEEvT5_PKS1_S3_NS_24const_host_device_scalarIT6_EEPKT4_S3_PKS5_S9_S3_SB_S6_S9_S3_SB_S9_S3_PS5_21rocsparse_index_base_SD_SD_SD_bbb,comdat
.Lfunc_end164:
	.size	_ZN9rocsparseL41csrgemm_numeric_fill_block_per_row_kernelILj256ELj32ELj512ELj137ELj32ElifEEvT5_PKS1_S3_NS_24const_host_device_scalarIT6_EEPKT4_S3_PKS5_S9_S3_SB_S6_S9_S3_SB_S9_S3_PS5_21rocsparse_index_base_SD_SD_SD_bbb, .Lfunc_end164-_ZN9rocsparseL41csrgemm_numeric_fill_block_per_row_kernelILj256ELj32ELj512ELj137ELj32ElifEEvT5_PKS1_S3_NS_24const_host_device_scalarIT6_EEPKT4_S3_PKS5_S9_S3_SB_S6_S9_S3_SB_S9_S3_PS5_21rocsparse_index_base_SD_SD_SD_bbb
                                        ; -- End function
	.set _ZN9rocsparseL41csrgemm_numeric_fill_block_per_row_kernelILj256ELj32ELj512ELj137ELj32ElifEEvT5_PKS1_S3_NS_24const_host_device_scalarIT6_EEPKT4_S3_PKS5_S9_S3_SB_S6_S9_S3_SB_S9_S3_PS5_21rocsparse_index_base_SD_SD_SD_bbb.num_vgpr, 30
	.set _ZN9rocsparseL41csrgemm_numeric_fill_block_per_row_kernelILj256ELj32ELj512ELj137ELj32ElifEEvT5_PKS1_S3_NS_24const_host_device_scalarIT6_EEPKT4_S3_PKS5_S9_S3_SB_S6_S9_S3_SB_S9_S3_PS5_21rocsparse_index_base_SD_SD_SD_bbb.num_agpr, 0
	.set _ZN9rocsparseL41csrgemm_numeric_fill_block_per_row_kernelILj256ELj32ELj512ELj137ELj32ElifEEvT5_PKS1_S3_NS_24const_host_device_scalarIT6_EEPKT4_S3_PKS5_S9_S3_SB_S6_S9_S3_SB_S9_S3_PS5_21rocsparse_index_base_SD_SD_SD_bbb.numbered_sgpr, 53
	.set _ZN9rocsparseL41csrgemm_numeric_fill_block_per_row_kernelILj256ELj32ELj512ELj137ELj32ElifEEvT5_PKS1_S3_NS_24const_host_device_scalarIT6_EEPKT4_S3_PKS5_S9_S3_SB_S6_S9_S3_SB_S9_S3_PS5_21rocsparse_index_base_SD_SD_SD_bbb.num_named_barrier, 0
	.set _ZN9rocsparseL41csrgemm_numeric_fill_block_per_row_kernelILj256ELj32ELj512ELj137ELj32ElifEEvT5_PKS1_S3_NS_24const_host_device_scalarIT6_EEPKT4_S3_PKS5_S9_S3_SB_S6_S9_S3_SB_S9_S3_PS5_21rocsparse_index_base_SD_SD_SD_bbb.private_seg_size, 0
	.set _ZN9rocsparseL41csrgemm_numeric_fill_block_per_row_kernelILj256ELj32ELj512ELj137ELj32ElifEEvT5_PKS1_S3_NS_24const_host_device_scalarIT6_EEPKT4_S3_PKS5_S9_S3_SB_S6_S9_S3_SB_S9_S3_PS5_21rocsparse_index_base_SD_SD_SD_bbb.uses_vcc, 1
	.set _ZN9rocsparseL41csrgemm_numeric_fill_block_per_row_kernelILj256ELj32ELj512ELj137ELj32ElifEEvT5_PKS1_S3_NS_24const_host_device_scalarIT6_EEPKT4_S3_PKS5_S9_S3_SB_S6_S9_S3_SB_S9_S3_PS5_21rocsparse_index_base_SD_SD_SD_bbb.uses_flat_scratch, 0
	.set _ZN9rocsparseL41csrgemm_numeric_fill_block_per_row_kernelILj256ELj32ELj512ELj137ELj32ElifEEvT5_PKS1_S3_NS_24const_host_device_scalarIT6_EEPKT4_S3_PKS5_S9_S3_SB_S6_S9_S3_SB_S9_S3_PS5_21rocsparse_index_base_SD_SD_SD_bbb.has_dyn_sized_stack, 0
	.set _ZN9rocsparseL41csrgemm_numeric_fill_block_per_row_kernelILj256ELj32ELj512ELj137ELj32ElifEEvT5_PKS1_S3_NS_24const_host_device_scalarIT6_EEPKT4_S3_PKS5_S9_S3_SB_S6_S9_S3_SB_S9_S3_PS5_21rocsparse_index_base_SD_SD_SD_bbb.has_recursion, 0
	.set _ZN9rocsparseL41csrgemm_numeric_fill_block_per_row_kernelILj256ELj32ELj512ELj137ELj32ElifEEvT5_PKS1_S3_NS_24const_host_device_scalarIT6_EEPKT4_S3_PKS5_S9_S3_SB_S6_S9_S3_SB_S9_S3_PS5_21rocsparse_index_base_SD_SD_SD_bbb.has_indirect_call, 0
	.section	.AMDGPU.csdata,"",@progbits
; Kernel info:
; codeLenInByte = 2620
; TotalNumSgprs: 59
; NumVgprs: 30
; NumAgprs: 0
; TotalNumVgprs: 30
; ScratchSize: 0
; MemoryBound: 0
; FloatMode: 240
; IeeeMode: 1
; LDSByteSize: 0 bytes/workgroup (compile time only)
; SGPRBlocks: 7
; VGPRBlocks: 3
; NumSGPRsForWavesPerEU: 59
; NumVGPRsForWavesPerEU: 30
; AccumOffset: 32
; Occupancy: 8
; WaveLimiterHint : 1
; COMPUTE_PGM_RSRC2:SCRATCH_EN: 0
; COMPUTE_PGM_RSRC2:USER_SGPR: 2
; COMPUTE_PGM_RSRC2:TRAP_HANDLER: 0
; COMPUTE_PGM_RSRC2:TGID_X_EN: 1
; COMPUTE_PGM_RSRC2:TGID_Y_EN: 0
; COMPUTE_PGM_RSRC2:TGID_Z_EN: 0
; COMPUTE_PGM_RSRC2:TIDIG_COMP_CNT: 0
; COMPUTE_PGM_RSRC3_GFX90A:ACCUM_OFFSET: 7
; COMPUTE_PGM_RSRC3_GFX90A:TG_SPLIT: 0
	.section	.text._ZN9rocsparseL41csrgemm_numeric_fill_block_per_row_kernelILj256ELj32ELj512ELj137ELj64ElifEEvT5_PKS1_S3_NS_24const_host_device_scalarIT6_EEPKT4_S3_PKS5_S9_S3_SB_S6_S9_S3_SB_S9_S3_PS5_21rocsparse_index_base_SD_SD_SD_bbb,"axG",@progbits,_ZN9rocsparseL41csrgemm_numeric_fill_block_per_row_kernelILj256ELj32ELj512ELj137ELj64ElifEEvT5_PKS1_S3_NS_24const_host_device_scalarIT6_EEPKT4_S3_PKS5_S9_S3_SB_S6_S9_S3_SB_S9_S3_PS5_21rocsparse_index_base_SD_SD_SD_bbb,comdat
	.globl	_ZN9rocsparseL41csrgemm_numeric_fill_block_per_row_kernelILj256ELj32ELj512ELj137ELj64ElifEEvT5_PKS1_S3_NS_24const_host_device_scalarIT6_EEPKT4_S3_PKS5_S9_S3_SB_S6_S9_S3_SB_S9_S3_PS5_21rocsparse_index_base_SD_SD_SD_bbb ; -- Begin function _ZN9rocsparseL41csrgemm_numeric_fill_block_per_row_kernelILj256ELj32ELj512ELj137ELj64ElifEEvT5_PKS1_S3_NS_24const_host_device_scalarIT6_EEPKT4_S3_PKS5_S9_S3_SB_S6_S9_S3_SB_S9_S3_PS5_21rocsparse_index_base_SD_SD_SD_bbb
	.p2align	8
	.type	_ZN9rocsparseL41csrgemm_numeric_fill_block_per_row_kernelILj256ELj32ELj512ELj137ELj64ElifEEvT5_PKS1_S3_NS_24const_host_device_scalarIT6_EEPKT4_S3_PKS5_S9_S3_SB_S6_S9_S3_SB_S9_S3_PS5_21rocsparse_index_base_SD_SD_SD_bbb,@function
_ZN9rocsparseL41csrgemm_numeric_fill_block_per_row_kernelILj256ELj32ELj512ELj137ELj64ElifEEvT5_PKS1_S3_NS_24const_host_device_scalarIT6_EEPKT4_S3_PKS5_S9_S3_SB_S6_S9_S3_SB_S9_S3_PS5_21rocsparse_index_base_SD_SD_SD_bbb: ; @_ZN9rocsparseL41csrgemm_numeric_fill_block_per_row_kernelILj256ELj32ELj512ELj137ELj64ElifEEvT5_PKS1_S3_NS_24const_host_device_scalarIT6_EEPKT4_S3_PKS5_S9_S3_SB_S6_S9_S3_SB_S9_S3_PS5_21rocsparse_index_base_SD_SD_SD_bbb
; %bb.0:
	s_load_dword s3, s[0:1], 0x98
	s_load_dwordx2 s[8:9], s[0:1], 0x18
	s_load_dwordx2 s[6:7], s[0:1], 0x50
	s_waitcnt lgkmcnt(0)
	s_bitcmp1_b32 s3, 0
	s_cselect_b64 s[4:5], -1, 0
	s_bitcmp1_b32 s3, 16
	s_cselect_b64 s[10:11], -1, 0
	s_xor_b64 s[12:13], s[4:5], -1
	s_or_b64 s[12:13], s[10:11], s[12:13]
	s_and_b64 vcc, exec, s[12:13]
	s_cbranch_vccnz .LBB165_2
; %bb.1:
	s_load_dword s8, s[8:9], 0x0
	s_waitcnt lgkmcnt(0)
	v_mov_b32_e32 v11, s8
	s_branch .LBB165_3
.LBB165_2:
	v_mov_b32_e32 v1, s8
	v_cndmask_b32_e64 v11, 0, v1, s[4:5]
.LBB165_3:
	s_load_dwordx4 s[20:23], s[0:1], 0x88
	s_bitcmp1_b32 s3, 8
	s_cselect_b64 s[8:9], -1, 0
	s_xor_b64 s[12:13], s[8:9], -1
	s_or_b64 s[10:11], s[10:11], s[12:13]
	s_and_b64 vcc, exec, s[10:11]
	s_cbranch_vccnz .LBB165_5
; %bb.4:
	s_load_dword s3, s[6:7], 0x0
	s_waitcnt lgkmcnt(0)
	v_mov_b32_e32 v10, s3
	s_branch .LBB165_6
.LBB165_5:
	v_mov_b32_e32 v1, s6
	v_cndmask_b32_e64 v10, 0, v1, s[8:9]
.LBB165_6:
	s_load_dwordx2 s[10:11], s[0:1], 0x80
	s_load_dwordx2 s[34:35], s[0:1], 0x70
	;; [unrolled: 1-line block ×3, first 2 shown]
	s_load_dwordx8 s[12:19], s[0:1], 0x20
	s_load_dwordx4 s[36:39], s[0:1], 0x8
	s_load_dword s33, s[0:1], 0x0
	s_movk_i32 s3, 0x200
	v_cmp_gt_u32_e64 s[6:7], s3, v0
	v_lshl_add_u32 v1, v0, 2, 0
	s_and_saveexec_b64 s[24:25], s[6:7]
	s_cbranch_execz .LBB165_9
; %bb.7:
	v_or_b32_e32 v2, 0xffffff00, v0
	v_lshl_add_u32 v3, v0, 2, 0
	s_mov_b64 s[26:27], 0
	s_waitcnt lgkmcnt(0)
	v_mov_b32_e32 v4, s33
	v_mov_b32_e32 v5, 0
.LBB165_8:                              ; =>This Inner Loop Header: Depth=1
	v_add_co_u32_e32 v2, vcc, 0x100, v2
	s_xor_b64 s[28:29], vcc, -1
	s_and_b64 s[28:29], exec, s[28:29]
	ds_write2st64_b32 v3, v4, v5 offset1:8
	s_or_b64 s[26:27], s[28:29], s[26:27]
	v_add_u32_e32 v3, 0x400, v3
	s_andn2_b64 exec, exec, s[26:27]
	s_cbranch_execnz .LBB165_8
.LBB165_9:
	s_or_b64 exec, exec, s[24:25]
	s_load_dwordx4 s[24:27], s[0:1], 0x60
	s_load_dwordx4 s[28:31], s[0:1], 0x40
	s_waitcnt lgkmcnt(0)
	s_barrier
	s_load_dword s0, s[36:37], 0x0
	s_mov_b32 s1, 0
	s_waitcnt lgkmcnt(0)
	s_add_i32 s0, s0, s2
	s_lshl_b64 s[0:1], s[0:1], 2
	s_add_u32 s0, s38, s0
	s_addc_u32 s1, s39, s1
	s_load_dword s36, s[0:1], 0x0
	s_and_b64 vcc, exec, s[4:5]
	s_cbranch_vccz .LBB165_27
; %bb.10:
	s_waitcnt lgkmcnt(0)
	s_ashr_i32 s37, s36, 31
	s_lshl_b64 s[0:1], s[36:37], 3
	s_add_u32 s0, s12, s0
	s_addc_u32 s1, s13, s1
	s_load_dwordx4 s[44:47], s[0:1], 0x0
	v_lshrrev_b32_e32 v2, 5, v0
	v_subrev_co_u32_e32 v2, vcc, s20, v2
	s_waitcnt lgkmcnt(0)
	s_sub_u32 s0, s46, s20
	v_subb_co_u32_e64 v3, s[2:3], 0, 0, vcc
	s_subb_u32 s1, s47, 0
	v_lshl_add_u64 v[2:3], s[44:45], 0, v[2:3]
	v_cmp_gt_i64_e32 vcc, s[0:1], v[2:3]
	s_and_saveexec_b64 s[2:3], vcc
	s_cbranch_execz .LBB165_26
; %bb.11:
	v_and_b32_e32 v4, 31, v0
	v_subrev_co_u32_e32 v4, vcc, s21, v4
	s_mov_b32 s37, s21
	s_nop 0
	v_subb_co_u32_e64 v5, s[4:5], 0, 0, vcc
	s_mov_b64 s[4:5], 0
	s_movk_i32 s52, 0x89
	s_branch .LBB165_13
.LBB165_12:                             ;   in Loop: Header=BB165_13 Depth=1
	s_or_b64 exec, exec, s[12:13]
	v_lshl_add_u64 v[2:3], v[2:3], 0, 8
	v_cmp_le_i64_e32 vcc, s[0:1], v[2:3]
	s_or_b64 s[4:5], vcc, s[4:5]
	s_andn2_b64 exec, exec, s[4:5]
	s_cbranch_execz .LBB165_26
.LBB165_13:                             ; =>This Loop Header: Depth=1
                                        ;     Child Loop BB165_17 Depth 2
                                        ;       Child Loop BB165_20 Depth 3
	v_lshl_add_u64 v[6:7], v[2:3], 2, s[14:15]
	global_load_dword v6, v[6:7], off
	s_waitcnt vmcnt(0)
	v_subrev_u32_e32 v6, s20, v6
	v_ashrrev_i32_e32 v7, 31, v6
	v_lshl_add_u64 v[6:7], v[6:7], 3, s[18:19]
	global_load_dwordx4 v[12:15], v[6:7], off
	s_waitcnt vmcnt(0)
	v_subrev_co_u32_e32 v6, vcc, s37, v14
	s_nop 1
	v_subbrev_co_u32_e32 v7, vcc, 0, v15, vcc
	v_lshl_add_u64 v[8:9], v[12:13], 0, v[4:5]
	v_cmp_lt_i64_e32 vcc, v[8:9], v[6:7]
	s_and_saveexec_b64 s[12:13], vcc
	s_cbranch_execz .LBB165_12
; %bb.14:                               ;   in Loop: Header=BB165_13 Depth=1
	v_lshl_add_u64 v[12:13], v[2:3], 2, s[16:17]
	global_load_dword v12, v[12:13], off
	s_mov_b64 s[38:39], 0
	s_waitcnt vmcnt(0)
	v_mul_f32_e32 v12, v11, v12
	s_branch .LBB165_17
.LBB165_15:                             ;   in Loop: Header=BB165_17 Depth=2
	s_or_b64 exec, exec, s[44:45]
.LBB165_16:                             ;   in Loop: Header=BB165_17 Depth=2
	s_or_b64 exec, exec, s[42:43]
	s_waitcnt vmcnt(0)
	v_mul_f32_e32 v13, v12, v13
	v_lshl_add_u32 v14, v14, 2, 0
	ds_add_f32 v14, v13 offset:2048
	v_lshl_add_u64 v[8:9], v[8:9], 0, 32
	v_cmp_ge_i64_e32 vcc, v[8:9], v[6:7]
	s_or_b64 s[38:39], vcc, s[38:39]
	s_andn2_b64 exec, exec, s[38:39]
	s_cbranch_execz .LBB165_12
.LBB165_17:                             ;   Parent Loop BB165_13 Depth=1
                                        ; =>  This Loop Header: Depth=2
                                        ;       Child Loop BB165_20 Depth 3
	v_lshlrev_b64 v[14:15], 2, v[8:9]
	v_lshl_add_u64 v[16:17], s[28:29], 0, v[14:15]
	global_load_dword v16, v[16:17], off
	v_lshl_add_u64 v[14:15], s[30:31], 0, v[14:15]
	global_load_dword v13, v[14:15], off
	s_waitcnt vmcnt(1)
	v_subrev_u32_e32 v15, s21, v16
	v_mul_lo_u32 v14, v15, s52
	v_and_b32_e32 v14, 0x1ff, v14
	v_lshl_add_u32 v16, v14, 2, 0
	ds_read_b32 v17, v16
	s_waitcnt lgkmcnt(0)
	v_cmp_ne_u32_e32 vcc, v17, v15
	s_and_saveexec_b64 s[42:43], vcc
	s_cbranch_execz .LBB165_16
; %bb.18:                               ;   in Loop: Header=BB165_17 Depth=2
	s_mov_b64 s[44:45], 0
	s_branch .LBB165_20
.LBB165_19:                             ;   in Loop: Header=BB165_20 Depth=3
	s_or_b64 exec, exec, s[50:51]
	s_and_b64 s[46:47], exec, s[48:49]
	s_or_b64 s[44:45], s[46:47], s[44:45]
	s_andn2_b64 exec, exec, s[44:45]
	s_cbranch_execz .LBB165_15
.LBB165_20:                             ;   Parent Loop BB165_13 Depth=1
                                        ;     Parent Loop BB165_17 Depth=2
                                        ; =>    This Inner Loop Header: Depth=3
	v_cmp_ne_u32_e32 vcc, s33, v17
	s_mov_b64 s[46:47], 0
	s_and_saveexec_b64 s[48:49], vcc
	s_xor_b64 s[48:49], exec, s[48:49]
	s_cbranch_execz .LBB165_22
; %bb.21:                               ;   in Loop: Header=BB165_20 Depth=3
	v_add_u32_e32 v14, 1, v14
	s_mov_b64 s[46:47], exec
	v_and_b32_e32 v14, 0x1ff, v14
                                        ; implicit-def: $vgpr16
	s_andn2_saveexec_b64 s[48:49], s[48:49]
	s_cbranch_execz .LBB165_24
	s_branch .LBB165_23
.LBB165_22:                             ;   in Loop: Header=BB165_20 Depth=3
	s_andn2_saveexec_b64 s[48:49], s[48:49]
	s_cbranch_execz .LBB165_24
.LBB165_23:                             ;   in Loop: Header=BB165_20 Depth=3
	v_mov_b32_e32 v17, s33
	ds_cmpst_rtn_b32 v16, v16, v17, v15
	s_andn2_b64 s[46:47], s[46:47], exec
	s_waitcnt lgkmcnt(0)
	v_cmp_ne_u32_e32 vcc, s33, v16
	s_and_b64 s[50:51], vcc, exec
	s_or_b64 s[46:47], s[46:47], s[50:51]
.LBB165_24:                             ;   in Loop: Header=BB165_20 Depth=3
	s_or_b64 exec, exec, s[48:49]
	s_mov_b64 s[48:49], -1
                                        ; implicit-def: $vgpr16
                                        ; implicit-def: $vgpr17
	s_and_saveexec_b64 s[50:51], s[46:47]
	s_cbranch_execz .LBB165_19
; %bb.25:                               ;   in Loop: Header=BB165_20 Depth=3
	v_lshl_add_u32 v16, v14, 2, 0
	ds_read_b32 v17, v16
	s_waitcnt lgkmcnt(0)
	v_cmp_eq_u32_e32 vcc, v17, v15
	s_orn2_b64 s[48:49], vcc, exec
	s_branch .LBB165_19
.LBB165_26:
	s_or_b64 exec, exec, s[2:3]
.LBB165_27:
	s_andn2_b64 vcc, exec, s[8:9]
	s_cbranch_vccnz .LBB165_42
; %bb.28:
	s_waitcnt lgkmcnt(0)
	s_ashr_i32 s37, s36, 31
	s_lshl_b64 s[0:1], s[36:37], 3
	s_add_u32 s0, s40, s0
	s_addc_u32 s1, s41, s1
	s_load_dwordx4 s[12:15], s[0:1], 0x0
	v_subrev_co_u32_e32 v2, vcc, s23, v0
	s_nop 1
	v_subb_co_u32_e64 v3, s[0:1], 0, 0, vcc
	s_waitcnt lgkmcnt(0)
	s_sub_u32 s0, s14, s23
	s_subb_u32 s1, s15, 0
	v_lshl_add_u64 v[2:3], s[12:13], 0, v[2:3]
	v_cmp_gt_i64_e32 vcc, s[0:1], v[2:3]
	s_and_saveexec_b64 s[2:3], vcc
	s_cbranch_execz .LBB165_41
; %bb.29:
	s_mov_b64 s[4:5], 0
	s_movk_i32 s28, 0x89
	s_mov_b64 s[8:9], 0x100
	s_branch .LBB165_32
.LBB165_30:                             ;   in Loop: Header=BB165_32 Depth=1
	s_or_b64 exec, exec, s[14:15]
.LBB165_31:                             ;   in Loop: Header=BB165_32 Depth=1
	s_or_b64 exec, exec, s[12:13]
	s_waitcnt vmcnt(0)
	v_mul_f32_e32 v4, v10, v4
	v_lshl_add_u32 v5, v5, 2, 0
	ds_add_f32 v5, v4 offset:2048
	v_lshl_add_u64 v[2:3], v[2:3], 0, s[8:9]
	v_cmp_le_i64_e32 vcc, s[0:1], v[2:3]
	s_or_b64 s[4:5], vcc, s[4:5]
	s_andn2_b64 exec, exec, s[4:5]
	s_cbranch_execz .LBB165_41
.LBB165_32:                             ; =>This Loop Header: Depth=1
                                        ;     Child Loop BB165_35 Depth 2
	v_lshlrev_b64 v[4:5], 2, v[2:3]
	v_lshl_add_u64 v[6:7], s[24:25], 0, v[4:5]
	global_load_dword v6, v[6:7], off
	v_lshl_add_u64 v[4:5], s[26:27], 0, v[4:5]
	global_load_dword v4, v[4:5], off
	s_waitcnt vmcnt(1)
	v_subrev_u32_e32 v6, s23, v6
	v_mul_lo_u32 v5, v6, s28
	v_and_b32_e32 v5, 0x1ff, v5
	v_lshl_add_u32 v7, v5, 2, 0
	ds_read_b32 v8, v7
	s_waitcnt lgkmcnt(0)
	v_cmp_ne_u32_e32 vcc, v8, v6
	s_and_saveexec_b64 s[12:13], vcc
	s_cbranch_execz .LBB165_31
; %bb.33:                               ;   in Loop: Header=BB165_32 Depth=1
	s_mov_b64 s[14:15], 0
	s_branch .LBB165_35
.LBB165_34:                             ;   in Loop: Header=BB165_35 Depth=2
	s_or_b64 exec, exec, s[20:21]
	s_and_b64 s[16:17], exec, s[18:19]
	s_or_b64 s[14:15], s[16:17], s[14:15]
	s_andn2_b64 exec, exec, s[14:15]
	s_cbranch_execz .LBB165_30
.LBB165_35:                             ;   Parent Loop BB165_32 Depth=1
                                        ; =>  This Inner Loop Header: Depth=2
	v_cmp_ne_u32_e32 vcc, s33, v8
	s_mov_b64 s[16:17], 0
	s_and_saveexec_b64 s[18:19], vcc
	s_xor_b64 s[18:19], exec, s[18:19]
	s_cbranch_execz .LBB165_37
; %bb.36:                               ;   in Loop: Header=BB165_35 Depth=2
	v_add_u32_e32 v5, 1, v5
	s_mov_b64 s[16:17], exec
	v_and_b32_e32 v5, 0x1ff, v5
                                        ; implicit-def: $vgpr7
	s_andn2_saveexec_b64 s[18:19], s[18:19]
	s_cbranch_execz .LBB165_39
	s_branch .LBB165_38
.LBB165_37:                             ;   in Loop: Header=BB165_35 Depth=2
	s_andn2_saveexec_b64 s[18:19], s[18:19]
	s_cbranch_execz .LBB165_39
.LBB165_38:                             ;   in Loop: Header=BB165_35 Depth=2
	v_mov_b32_e32 v8, s33
	ds_cmpst_rtn_b32 v7, v7, v8, v6
	s_andn2_b64 s[16:17], s[16:17], exec
	s_waitcnt lgkmcnt(0)
	v_cmp_ne_u32_e32 vcc, s33, v7
	s_and_b64 s[20:21], vcc, exec
	s_or_b64 s[16:17], s[16:17], s[20:21]
.LBB165_39:                             ;   in Loop: Header=BB165_35 Depth=2
	s_or_b64 exec, exec, s[18:19]
	s_mov_b64 s[18:19], -1
                                        ; implicit-def: $vgpr7
                                        ; implicit-def: $vgpr8
	s_and_saveexec_b64 s[20:21], s[16:17]
	s_cbranch_execz .LBB165_34
; %bb.40:                               ;   in Loop: Header=BB165_35 Depth=2
	v_lshl_add_u32 v7, v5, 2, 0
	ds_read_b32 v8, v7
	s_waitcnt lgkmcnt(0)
	v_cmp_eq_u32_e32 vcc, v8, v6
	s_orn2_b64 s[18:19], vcc, exec
	s_branch .LBB165_34
.LBB165_41:
	s_or_b64 exec, exec, s[2:3]
.LBB165_42:
	s_waitcnt lgkmcnt(0)
	s_barrier
	s_and_saveexec_b64 s[8:9], s[6:7]
	s_cbranch_execz .LBB165_55
; %bb.43:
	v_mbcnt_lo_u32_b32 v2, -1, 0
	v_mbcnt_hi_u32_b32 v2, -1, v2
	v_lshrrev_b32_e32 v4, 4, v0
	v_sub_u32_e32 v2, 63, v2
	v_and_b32_e32 v4, 12, v4
	s_movk_i32 s0, 0xff
	s_movk_i32 s4, 0x7f
	;; [unrolled: 1-line block ×3, first 2 shown]
	v_mov_b32_e32 v6, 0
	v_lshrrev_b64 v[2:3], v2, -1
	v_add_u32_e32 v7, 0, v4
	v_cmp_eq_u32_e64 s[0:1], s0, v0
	v_cmp_lt_u32_e64 s[2:3], 63, v0
	v_cmp_lt_u32_e64 s[4:5], s4, v0
	;; [unrolled: 1-line block ×3, first 2 shown]
	v_or_b32_e32 v8, 0xffffff00, v0
	s_mov_b64 s[12:13], 0
	v_mov_b32_e32 v9, 0
	s_branch .LBB165_45
.LBB165_44:                             ;   in Loop: Header=BB165_45 Depth=1
	s_or_b64 exec, exec, s[14:15]
	s_waitcnt lgkmcnt(0)
	s_barrier
	ds_read_b32 v4, v6 offset:4108
	v_add_co_u32_e32 v8, vcc, 0x100, v8
	s_xor_b64 s[14:15], vcc, -1
	s_and_b64 s[14:15], exec, s[14:15]
	s_waitcnt lgkmcnt(0)
	v_add_u32_e32 v9, v4, v9
	s_or_b64 s[12:13], s[14:15], s[12:13]
	v_add_u32_e32 v1, 0x400, v1
	s_andn2_b64 exec, exec, s[12:13]
	s_cbranch_execz .LBB165_55
.LBB165_45:                             ; =>This Inner Loop Header: Depth=1
	ds_read2st64_b32 v[4:5], v1 offset1:8
	s_waitcnt lgkmcnt(0)
	s_barrier
	v_cmp_gt_i32_e32 vcc, s33, v4
	s_bcnt1_i32_b64 s14, vcc
	s_nop 0
	v_and_b32_e32 v11, vcc_lo, v2
	v_and_b32_e32 v10, vcc_hi, v3
	v_bcnt_u32_b32 v11, v11, 0
	v_bcnt_u32_b32 v10, v10, v11
	v_mov_b32_e32 v11, s14
	ds_write_b32 v7, v11 offset:4096
	s_waitcnt lgkmcnt(0)
	s_barrier
	s_and_saveexec_b64 s[14:15], s[2:3]
	s_cbranch_execz .LBB165_50
; %bb.46:                               ;   in Loop: Header=BB165_45 Depth=1
	ds_read_b32 v11, v6 offset:4096
	s_waitcnt lgkmcnt(0)
	v_add_u32_e32 v10, v11, v10
	s_or_b64 exec, exec, s[14:15]
	s_and_saveexec_b64 s[14:15], s[4:5]
	s_cbranch_execnz .LBB165_51
.LBB165_47:                             ;   in Loop: Header=BB165_45 Depth=1
	s_or_b64 exec, exec, s[14:15]
	s_and_saveexec_b64 s[14:15], s[6:7]
	s_cbranch_execz .LBB165_52
.LBB165_48:                             ;   in Loop: Header=BB165_45 Depth=1
	ds_read_b32 v11, v6 offset:4104
	s_waitcnt lgkmcnt(0)
	v_add_u32_e32 v10, v11, v10
	s_or_b64 exec, exec, s[14:15]
	s_and_saveexec_b64 s[14:15], vcc
	s_cbranch_execnz .LBB165_53
.LBB165_49:                             ;   in Loop: Header=BB165_45 Depth=1
	s_or_b64 exec, exec, s[14:15]
	s_and_saveexec_b64 s[14:15], s[0:1]
	s_cbranch_execz .LBB165_44
	s_branch .LBB165_54
.LBB165_50:                             ;   in Loop: Header=BB165_45 Depth=1
	s_or_b64 exec, exec, s[14:15]
	s_and_saveexec_b64 s[14:15], s[4:5]
	s_cbranch_execz .LBB165_47
.LBB165_51:                             ;   in Loop: Header=BB165_45 Depth=1
	ds_read_b32 v11, v6 offset:4100
	s_waitcnt lgkmcnt(0)
	v_add_u32_e32 v10, v11, v10
	s_or_b64 exec, exec, s[14:15]
	s_and_saveexec_b64 s[14:15], s[6:7]
	s_cbranch_execnz .LBB165_48
.LBB165_52:                             ;   in Loop: Header=BB165_45 Depth=1
	s_or_b64 exec, exec, s[14:15]
	s_and_saveexec_b64 s[14:15], vcc
	s_cbranch_execz .LBB165_49
.LBB165_53:                             ;   in Loop: Header=BB165_45 Depth=1
	v_add3_u32 v11, v9, -1, v10
	v_lshl_add_u32 v11, v11, 2, 0
	v_add_u32_e32 v12, v9, v10
	v_lshl_add_u32 v12, v12, 2, 0
	ds_write_b32 v11, v4
	ds_write_b32 v12, v5 offset:2044
	s_or_b64 exec, exec, s[14:15]
	s_and_saveexec_b64 s[14:15], s[0:1]
	s_cbranch_execz .LBB165_44
.LBB165_54:                             ;   in Loop: Header=BB165_45 Depth=1
	ds_write_b32 v6, v10 offset:4108
	s_branch .LBB165_44
.LBB165_55:
	s_or_b64 exec, exec, s[8:9]
	s_ashr_i32 s37, s36, 31
	s_lshl_b64 s[0:1], s[36:37], 3
	s_add_u32 s4, s34, s0
	s_addc_u32 s5, s35, s1
	s_load_dwordx4 s[0:3], s[4:5], 0x0
	s_waitcnt lgkmcnt(0)
	s_sub_i32 s8, s2, s0
	v_cmp_gt_i32_e32 vcc, s8, v0
	s_and_saveexec_b64 s[4:5], vcc
	s_cbranch_execz .LBB165_65
; %bb.56:
	s_sub_u32 s4, s0, s22
	s_subb_u32 s5, s1, 0
	s_and_b32 s12, s8, 7
	s_sub_i32 s0, s0, s2
	s_cmp_lt_u32 s0, -7
	s_cselect_b64 s[0:1], -1, 0
	s_and_b32 s13, s8, -8
	s_cmp_lg_u32 s12, 0
	v_cndmask_b32_e64 v1, 0, 1, s[0:1]
	s_cselect_b64 s[2:3], -1, 0
	v_cmp_ne_u32_e64 s[0:1], 1, v1
	v_cndmask_b32_e64 v1, 0, 1, s[2:3]
	s_mov_b32 s9, 0
	s_mov_b64 s[6:7], 0
	v_cmp_ne_u32_e64 s[2:3], 1, v1
	s_branch .LBB165_58
.LBB165_57:                             ;   in Loop: Header=BB165_58 Depth=1
	v_add_u32_e32 v0, 0x100, v0
	v_cmp_le_i32_e32 vcc, s8, v0
	v_lshl_add_u64 v[4:5], v[4:5], 2, s[10:11]
	s_or_b64 s[6:7], vcc, s[6:7]
	s_waitcnt lgkmcnt(0)
	global_store_dword v[4:5], v3, off
	s_andn2_b64 exec, exec, s[6:7]
	s_cbranch_execz .LBB165_65
.LBB165_58:                             ; =>This Loop Header: Depth=1
                                        ;     Child Loop BB165_60 Depth 2
                                        ;     Child Loop BB165_64 Depth 2
	v_lshl_add_u32 v1, v0, 2, 0
	ds_read2st64_b32 v[2:3], v1 offset1:8
	s_and_b64 vcc, exec, s[0:1]
	v_mov_b64_e32 v[4:5], s[4:5]
	s_mov_b32 s14, 0
	s_cbranch_vccnz .LBB165_62
; %bb.59:                               ;   in Loop: Header=BB165_58 Depth=1
	s_mov_b32 s15, 0
	v_mov_b64_e32 v[4:5], s[4:5]
.LBB165_60:                             ;   Parent Loop BB165_58 Depth=1
                                        ; =>  This Inner Loop Header: Depth=2
	v_mov_b32_e32 v1, s15
	ds_read2_b32 v[22:23], v1 offset1:1
	ds_read2_b32 v[24:25], v1 offset0:2 offset1:3
	ds_read2_b32 v[26:27], v1 offset0:4 offset1:5
	;; [unrolled: 1-line block ×3, first 2 shown]
	v_mov_b32_e32 v7, s9
	s_waitcnt lgkmcnt(3)
	v_cmp_gt_i32_e32 vcc, v2, v22
	v_mov_b32_e32 v9, s9
	v_mov_b32_e32 v11, s9
	v_cndmask_b32_e64 v6, 0, 1, vcc
	v_cmp_gt_i32_e32 vcc, v2, v23
	v_lshl_add_u64 v[4:5], v[4:5], 0, v[6:7]
	v_mov_b32_e32 v13, s9
	v_cndmask_b32_e64 v8, 0, 1, vcc
	s_waitcnt lgkmcnt(2)
	v_cmp_gt_i32_e32 vcc, v2, v24
	v_lshl_add_u64 v[4:5], v[4:5], 0, v[8:9]
	v_mov_b32_e32 v15, s9
	v_cndmask_b32_e64 v10, 0, 1, vcc
	v_cmp_gt_i32_e32 vcc, v2, v25
	v_lshl_add_u64 v[4:5], v[4:5], 0, v[10:11]
	v_mov_b32_e32 v17, s9
	v_cndmask_b32_e64 v12, 0, 1, vcc
	s_waitcnt lgkmcnt(1)
	v_cmp_gt_i32_e32 vcc, v2, v26
	v_lshl_add_u64 v[4:5], v[4:5], 0, v[12:13]
	;; [unrolled: 9-line block ×3, first 2 shown]
	s_add_i32 s14, s14, 8
	v_cndmask_b32_e64 v18, 0, 1, vcc
	v_cmp_gt_i32_e32 vcc, v2, v29
	s_add_i32 s15, s15, 32
	v_lshl_add_u64 v[4:5], v[4:5], 0, v[18:19]
	v_cndmask_b32_e64 v20, 0, 1, vcc
	s_cmp_eq_u32 s13, s14
	v_lshl_add_u64 v[4:5], v[4:5], 0, v[20:21]
	s_cbranch_scc0 .LBB165_60
; %bb.61:                               ;   in Loop: Header=BB165_58 Depth=1
	s_mov_b32 s14, s13
.LBB165_62:                             ;   in Loop: Header=BB165_58 Depth=1
	s_and_b64 vcc, exec, s[2:3]
	s_cbranch_vccnz .LBB165_57
; %bb.63:                               ;   in Loop: Header=BB165_58 Depth=1
	s_lshl_b32 s14, s14, 2
	s_add_i32 s14, s14, 0
	s_mov_b32 s15, s12
.LBB165_64:                             ;   Parent Loop BB165_58 Depth=1
                                        ; =>  This Inner Loop Header: Depth=2
	v_mov_b32_e32 v1, s14
	ds_read_b32 v1, v1
	v_mov_b32_e32 v7, s9
	s_add_i32 s14, s14, 4
	s_add_i32 s15, s15, -1
	s_cmp_lg_u32 s15, 0
	s_waitcnt lgkmcnt(0)
	v_cmp_gt_i32_e32 vcc, v2, v1
	s_nop 1
	v_cndmask_b32_e64 v6, 0, 1, vcc
	v_lshl_add_u64 v[4:5], v[4:5], 0, v[6:7]
	s_cbranch_scc1 .LBB165_64
	s_branch .LBB165_57
.LBB165_65:
	s_endpgm
	.section	.rodata,"a",@progbits
	.p2align	6, 0x0
	.amdhsa_kernel _ZN9rocsparseL41csrgemm_numeric_fill_block_per_row_kernelILj256ELj32ELj512ELj137ELj64ElifEEvT5_PKS1_S3_NS_24const_host_device_scalarIT6_EEPKT4_S3_PKS5_S9_S3_SB_S6_S9_S3_SB_S9_S3_PS5_21rocsparse_index_base_SD_SD_SD_bbb
		.amdhsa_group_segment_fixed_size 0
		.amdhsa_private_segment_fixed_size 0
		.amdhsa_kernarg_size 156
		.amdhsa_user_sgpr_count 2
		.amdhsa_user_sgpr_dispatch_ptr 0
		.amdhsa_user_sgpr_queue_ptr 0
		.amdhsa_user_sgpr_kernarg_segment_ptr 1
		.amdhsa_user_sgpr_dispatch_id 0
		.amdhsa_user_sgpr_kernarg_preload_length 0
		.amdhsa_user_sgpr_kernarg_preload_offset 0
		.amdhsa_user_sgpr_private_segment_size 0
		.amdhsa_uses_dynamic_stack 0
		.amdhsa_enable_private_segment 0
		.amdhsa_system_sgpr_workgroup_id_x 1
		.amdhsa_system_sgpr_workgroup_id_y 0
		.amdhsa_system_sgpr_workgroup_id_z 0
		.amdhsa_system_sgpr_workgroup_info 0
		.amdhsa_system_vgpr_workitem_id 0
		.amdhsa_next_free_vgpr 30
		.amdhsa_next_free_sgpr 53
		.amdhsa_accum_offset 32
		.amdhsa_reserve_vcc 1
		.amdhsa_float_round_mode_32 0
		.amdhsa_float_round_mode_16_64 0
		.amdhsa_float_denorm_mode_32 3
		.amdhsa_float_denorm_mode_16_64 3
		.amdhsa_dx10_clamp 1
		.amdhsa_ieee_mode 1
		.amdhsa_fp16_overflow 0
		.amdhsa_tg_split 0
		.amdhsa_exception_fp_ieee_invalid_op 0
		.amdhsa_exception_fp_denorm_src 0
		.amdhsa_exception_fp_ieee_div_zero 0
		.amdhsa_exception_fp_ieee_overflow 0
		.amdhsa_exception_fp_ieee_underflow 0
		.amdhsa_exception_fp_ieee_inexact 0
		.amdhsa_exception_int_div_zero 0
	.end_amdhsa_kernel
	.section	.text._ZN9rocsparseL41csrgemm_numeric_fill_block_per_row_kernelILj256ELj32ELj512ELj137ELj64ElifEEvT5_PKS1_S3_NS_24const_host_device_scalarIT6_EEPKT4_S3_PKS5_S9_S3_SB_S6_S9_S3_SB_S9_S3_PS5_21rocsparse_index_base_SD_SD_SD_bbb,"axG",@progbits,_ZN9rocsparseL41csrgemm_numeric_fill_block_per_row_kernelILj256ELj32ELj512ELj137ELj64ElifEEvT5_PKS1_S3_NS_24const_host_device_scalarIT6_EEPKT4_S3_PKS5_S9_S3_SB_S6_S9_S3_SB_S9_S3_PS5_21rocsparse_index_base_SD_SD_SD_bbb,comdat
.Lfunc_end165:
	.size	_ZN9rocsparseL41csrgemm_numeric_fill_block_per_row_kernelILj256ELj32ELj512ELj137ELj64ElifEEvT5_PKS1_S3_NS_24const_host_device_scalarIT6_EEPKT4_S3_PKS5_S9_S3_SB_S6_S9_S3_SB_S9_S3_PS5_21rocsparse_index_base_SD_SD_SD_bbb, .Lfunc_end165-_ZN9rocsparseL41csrgemm_numeric_fill_block_per_row_kernelILj256ELj32ELj512ELj137ELj64ElifEEvT5_PKS1_S3_NS_24const_host_device_scalarIT6_EEPKT4_S3_PKS5_S9_S3_SB_S6_S9_S3_SB_S9_S3_PS5_21rocsparse_index_base_SD_SD_SD_bbb
                                        ; -- End function
	.set _ZN9rocsparseL41csrgemm_numeric_fill_block_per_row_kernelILj256ELj32ELj512ELj137ELj64ElifEEvT5_PKS1_S3_NS_24const_host_device_scalarIT6_EEPKT4_S3_PKS5_S9_S3_SB_S6_S9_S3_SB_S9_S3_PS5_21rocsparse_index_base_SD_SD_SD_bbb.num_vgpr, 30
	.set _ZN9rocsparseL41csrgemm_numeric_fill_block_per_row_kernelILj256ELj32ELj512ELj137ELj64ElifEEvT5_PKS1_S3_NS_24const_host_device_scalarIT6_EEPKT4_S3_PKS5_S9_S3_SB_S6_S9_S3_SB_S9_S3_PS5_21rocsparse_index_base_SD_SD_SD_bbb.num_agpr, 0
	.set _ZN9rocsparseL41csrgemm_numeric_fill_block_per_row_kernelILj256ELj32ELj512ELj137ELj64ElifEEvT5_PKS1_S3_NS_24const_host_device_scalarIT6_EEPKT4_S3_PKS5_S9_S3_SB_S6_S9_S3_SB_S9_S3_PS5_21rocsparse_index_base_SD_SD_SD_bbb.numbered_sgpr, 53
	.set _ZN9rocsparseL41csrgemm_numeric_fill_block_per_row_kernelILj256ELj32ELj512ELj137ELj64ElifEEvT5_PKS1_S3_NS_24const_host_device_scalarIT6_EEPKT4_S3_PKS5_S9_S3_SB_S6_S9_S3_SB_S9_S3_PS5_21rocsparse_index_base_SD_SD_SD_bbb.num_named_barrier, 0
	.set _ZN9rocsparseL41csrgemm_numeric_fill_block_per_row_kernelILj256ELj32ELj512ELj137ELj64ElifEEvT5_PKS1_S3_NS_24const_host_device_scalarIT6_EEPKT4_S3_PKS5_S9_S3_SB_S6_S9_S3_SB_S9_S3_PS5_21rocsparse_index_base_SD_SD_SD_bbb.private_seg_size, 0
	.set _ZN9rocsparseL41csrgemm_numeric_fill_block_per_row_kernelILj256ELj32ELj512ELj137ELj64ElifEEvT5_PKS1_S3_NS_24const_host_device_scalarIT6_EEPKT4_S3_PKS5_S9_S3_SB_S6_S9_S3_SB_S9_S3_PS5_21rocsparse_index_base_SD_SD_SD_bbb.uses_vcc, 1
	.set _ZN9rocsparseL41csrgemm_numeric_fill_block_per_row_kernelILj256ELj32ELj512ELj137ELj64ElifEEvT5_PKS1_S3_NS_24const_host_device_scalarIT6_EEPKT4_S3_PKS5_S9_S3_SB_S6_S9_S3_SB_S9_S3_PS5_21rocsparse_index_base_SD_SD_SD_bbb.uses_flat_scratch, 0
	.set _ZN9rocsparseL41csrgemm_numeric_fill_block_per_row_kernelILj256ELj32ELj512ELj137ELj64ElifEEvT5_PKS1_S3_NS_24const_host_device_scalarIT6_EEPKT4_S3_PKS5_S9_S3_SB_S6_S9_S3_SB_S9_S3_PS5_21rocsparse_index_base_SD_SD_SD_bbb.has_dyn_sized_stack, 0
	.set _ZN9rocsparseL41csrgemm_numeric_fill_block_per_row_kernelILj256ELj32ELj512ELj137ELj64ElifEEvT5_PKS1_S3_NS_24const_host_device_scalarIT6_EEPKT4_S3_PKS5_S9_S3_SB_S6_S9_S3_SB_S9_S3_PS5_21rocsparse_index_base_SD_SD_SD_bbb.has_recursion, 0
	.set _ZN9rocsparseL41csrgemm_numeric_fill_block_per_row_kernelILj256ELj32ELj512ELj137ELj64ElifEEvT5_PKS1_S3_NS_24const_host_device_scalarIT6_EEPKT4_S3_PKS5_S9_S3_SB_S6_S9_S3_SB_S9_S3_PS5_21rocsparse_index_base_SD_SD_SD_bbb.has_indirect_call, 0
	.section	.AMDGPU.csdata,"",@progbits
; Kernel info:
; codeLenInByte = 2416
; TotalNumSgprs: 59
; NumVgprs: 30
; NumAgprs: 0
; TotalNumVgprs: 30
; ScratchSize: 0
; MemoryBound: 0
; FloatMode: 240
; IeeeMode: 1
; LDSByteSize: 0 bytes/workgroup (compile time only)
; SGPRBlocks: 7
; VGPRBlocks: 3
; NumSGPRsForWavesPerEU: 59
; NumVGPRsForWavesPerEU: 30
; AccumOffset: 32
; Occupancy: 8
; WaveLimiterHint : 1
; COMPUTE_PGM_RSRC2:SCRATCH_EN: 0
; COMPUTE_PGM_RSRC2:USER_SGPR: 2
; COMPUTE_PGM_RSRC2:TRAP_HANDLER: 0
; COMPUTE_PGM_RSRC2:TGID_X_EN: 1
; COMPUTE_PGM_RSRC2:TGID_Y_EN: 0
; COMPUTE_PGM_RSRC2:TGID_Z_EN: 0
; COMPUTE_PGM_RSRC2:TIDIG_COMP_CNT: 0
; COMPUTE_PGM_RSRC3_GFX90A:ACCUM_OFFSET: 7
; COMPUTE_PGM_RSRC3_GFX90A:TG_SPLIT: 0
	.section	.text._ZN9rocsparseL41csrgemm_numeric_fill_block_per_row_kernelILj512ELj32ELj1024ELj137ELj32ElifEEvT5_PKS1_S3_NS_24const_host_device_scalarIT6_EEPKT4_S3_PKS5_S9_S3_SB_S6_S9_S3_SB_S9_S3_PS5_21rocsparse_index_base_SD_SD_SD_bbb,"axG",@progbits,_ZN9rocsparseL41csrgemm_numeric_fill_block_per_row_kernelILj512ELj32ELj1024ELj137ELj32ElifEEvT5_PKS1_S3_NS_24const_host_device_scalarIT6_EEPKT4_S3_PKS5_S9_S3_SB_S6_S9_S3_SB_S9_S3_PS5_21rocsparse_index_base_SD_SD_SD_bbb,comdat
	.globl	_ZN9rocsparseL41csrgemm_numeric_fill_block_per_row_kernelILj512ELj32ELj1024ELj137ELj32ElifEEvT5_PKS1_S3_NS_24const_host_device_scalarIT6_EEPKT4_S3_PKS5_S9_S3_SB_S6_S9_S3_SB_S9_S3_PS5_21rocsparse_index_base_SD_SD_SD_bbb ; -- Begin function _ZN9rocsparseL41csrgemm_numeric_fill_block_per_row_kernelILj512ELj32ELj1024ELj137ELj32ElifEEvT5_PKS1_S3_NS_24const_host_device_scalarIT6_EEPKT4_S3_PKS5_S9_S3_SB_S6_S9_S3_SB_S9_S3_PS5_21rocsparse_index_base_SD_SD_SD_bbb
	.p2align	8
	.type	_ZN9rocsparseL41csrgemm_numeric_fill_block_per_row_kernelILj512ELj32ELj1024ELj137ELj32ElifEEvT5_PKS1_S3_NS_24const_host_device_scalarIT6_EEPKT4_S3_PKS5_S9_S3_SB_S6_S9_S3_SB_S9_S3_PS5_21rocsparse_index_base_SD_SD_SD_bbb,@function
_ZN9rocsparseL41csrgemm_numeric_fill_block_per_row_kernelILj512ELj32ELj1024ELj137ELj32ElifEEvT5_PKS1_S3_NS_24const_host_device_scalarIT6_EEPKT4_S3_PKS5_S9_S3_SB_S6_S9_S3_SB_S9_S3_PS5_21rocsparse_index_base_SD_SD_SD_bbb: ; @_ZN9rocsparseL41csrgemm_numeric_fill_block_per_row_kernelILj512ELj32ELj1024ELj137ELj32ElifEEvT5_PKS1_S3_NS_24const_host_device_scalarIT6_EEPKT4_S3_PKS5_S9_S3_SB_S6_S9_S3_SB_S9_S3_PS5_21rocsparse_index_base_SD_SD_SD_bbb
; %bb.0:
	s_load_dword s3, s[0:1], 0x98
	s_load_dwordx4 s[36:39], s[0:1], 0x88
	s_load_dwordx2 s[4:5], s[0:1], 0x18
	s_load_dwordx2 s[16:17], s[0:1], 0x50
	s_waitcnt lgkmcnt(0)
	s_bitcmp1_b32 s3, 0
	s_cselect_b64 s[6:7], -1, 0
	s_bitcmp1_b32 s3, 16
	s_cselect_b64 s[18:19], -1, 0
	s_xor_b64 s[8:9], s[6:7], -1
	s_or_b64 s[8:9], s[18:19], s[8:9]
	s_and_b64 vcc, exec, s[8:9]
	s_cbranch_vccnz .LBB166_2
; %bb.1:
	s_load_dword s4, s[4:5], 0x0
	s_waitcnt lgkmcnt(0)
	v_mov_b32_e32 v13, s4
	s_branch .LBB166_3
.LBB166_2:
	v_mov_b32_e32 v1, s4
	v_cndmask_b32_e64 v13, 0, v1, s[6:7]
.LBB166_3:
	s_load_dwordx2 s[34:35], s[0:1], 0x80
	s_load_dwordx2 s[40:41], s[0:1], 0x70
	;; [unrolled: 1-line block ×3, first 2 shown]
	s_load_dwordx4 s[24:27], s[0:1], 0x8
	s_load_dwordx8 s[8:15], s[0:1], 0x20
	s_bitcmp1_b32 s3, 8
	s_cselect_b64 s[4:5], -1, 0
	s_xor_b64 s[20:21], s[4:5], -1
	s_or_b64 s[18:19], s[18:19], s[20:21]
	s_and_b64 vcc, exec, s[18:19]
	s_cbranch_vccnz .LBB166_5
; %bb.4:
	s_load_dword s3, s[16:17], 0x0
	s_waitcnt lgkmcnt(0)
	v_mov_b32_e32 v11, s3
	s_branch .LBB166_6
.LBB166_5:
	v_mov_b32_e32 v1, s16
	v_cndmask_b32_e64 v11, 0, v1, s[4:5]
.LBB166_6:
	s_load_dwordx4 s[20:23], s[0:1], 0x40
	s_load_dword s33, s[0:1], 0x0
	s_load_dwordx4 s[16:19], s[0:1], 0x60
	v_or_b32_e32 v1, 0xfffffe00, v0
	v_lshl_add_u32 v10, v0, 2, 0
	s_mov_b64 s[0:1], 0
	s_waitcnt lgkmcnt(0)
	v_mov_b32_e32 v2, s33
	v_mov_b32_e32 v3, 0
	;; [unrolled: 1-line block ×4, first 2 shown]
.LBB166_7:                              ; =>This Inner Loop Header: Depth=1
	v_add_co_u32_e32 v5, vcc, 0x200, v5
	s_xor_b64 s[30:31], vcc, -1
	s_and_b64 s[30:31], exec, s[30:31]
	ds_write2st64_b32 v4, v2, v3 offset1:16
	s_or_b64 s[0:1], s[30:31], s[0:1]
	v_add_u32_e32 v4, 0x800, v4
	s_andn2_b64 exec, exec, s[0:1]
	s_cbranch_execnz .LBB166_7
; %bb.8:
	s_or_b64 exec, exec, s[0:1]
	s_waitcnt lgkmcnt(0)
	s_barrier
	s_load_dword s0, s[24:25], 0x0
	s_mov_b32 s1, 0
	v_lshrrev_b32_e32 v12, 5, v0
	s_waitcnt lgkmcnt(0)
	s_add_i32 s0, s0, s2
	s_lshl_b64 s[0:1], s[0:1], 2
	s_add_u32 s0, s26, s0
	s_addc_u32 s1, s27, s1
	s_load_dword s42, s[0:1], 0x0
	s_and_b64 vcc, exec, s[6:7]
	s_cbranch_vccz .LBB166_26
; %bb.9:
	s_waitcnt lgkmcnt(0)
	s_ashr_i32 s43, s42, 31
	s_lshl_b64 s[0:1], s[42:43], 3
	s_add_u32 s0, s8, s0
	s_addc_u32 s1, s9, s1
	s_load_dwordx4 s[24:27], s[0:1], 0x0
	v_subrev_co_u32_e32 v2, vcc, s36, v12
	s_nop 1
	v_subb_co_u32_e64 v3, s[0:1], 0, 0, vcc
	s_waitcnt lgkmcnt(0)
	s_sub_u32 s0, s26, s36
	s_subb_u32 s1, s27, 0
	v_lshl_add_u64 v[2:3], s[24:25], 0, v[2:3]
	v_cmp_gt_i64_e32 vcc, s[0:1], v[2:3]
	s_and_saveexec_b64 s[2:3], vcc
	s_cbranch_execz .LBB166_25
; %bb.10:
	v_and_b32_e32 v4, 31, v0
	v_subrev_co_u32_e32 v4, vcc, s37, v4
	s_mov_b32 s43, s37
	s_nop 0
	v_subb_co_u32_e64 v5, s[6:7], 0, 0, vcc
	s_mov_b64 s[6:7], 0
	s_movk_i32 s50, 0x89
	s_branch .LBB166_12
.LBB166_11:                             ;   in Loop: Header=BB166_12 Depth=1
	s_or_b64 exec, exec, s[8:9]
	v_lshl_add_u64 v[2:3], v[2:3], 0, 16
	v_cmp_le_i64_e32 vcc, s[0:1], v[2:3]
	s_or_b64 s[6:7], vcc, s[6:7]
	s_andn2_b64 exec, exec, s[6:7]
	s_cbranch_execz .LBB166_25
.LBB166_12:                             ; =>This Loop Header: Depth=1
                                        ;     Child Loop BB166_16 Depth 2
                                        ;       Child Loop BB166_19 Depth 3
	v_lshl_add_u64 v[6:7], v[2:3], 2, s[10:11]
	global_load_dword v6, v[6:7], off
	s_waitcnt vmcnt(0)
	v_subrev_u32_e32 v6, s36, v6
	v_ashrrev_i32_e32 v7, 31, v6
	v_lshl_add_u64 v[6:7], v[6:7], 3, s[14:15]
	global_load_dwordx4 v[14:17], v[6:7], off
	s_waitcnt vmcnt(0)
	v_subrev_co_u32_e32 v6, vcc, s43, v16
	s_nop 1
	v_subbrev_co_u32_e32 v7, vcc, 0, v17, vcc
	v_lshl_add_u64 v[8:9], v[14:15], 0, v[4:5]
	v_cmp_lt_i64_e32 vcc, v[8:9], v[6:7]
	s_and_saveexec_b64 s[8:9], vcc
	s_cbranch_execz .LBB166_11
; %bb.13:                               ;   in Loop: Header=BB166_12 Depth=1
	v_lshl_add_u64 v[14:15], v[2:3], 2, s[12:13]
	global_load_dword v14, v[14:15], off
	s_mov_b64 s[24:25], 0
	s_waitcnt vmcnt(0)
	v_mul_f32_e32 v14, v13, v14
	s_branch .LBB166_16
.LBB166_14:                             ;   in Loop: Header=BB166_16 Depth=2
	s_or_b64 exec, exec, s[30:31]
.LBB166_15:                             ;   in Loop: Header=BB166_16 Depth=2
	s_or_b64 exec, exec, s[26:27]
	s_waitcnt vmcnt(0)
	v_mul_f32_e32 v15, v14, v15
	v_lshl_add_u32 v16, v16, 2, 0
	ds_add_f32 v16, v15 offset:4096
	v_lshl_add_u64 v[8:9], v[8:9], 0, 32
	v_cmp_ge_i64_e32 vcc, v[8:9], v[6:7]
	s_or_b64 s[24:25], vcc, s[24:25]
	s_andn2_b64 exec, exec, s[24:25]
	s_cbranch_execz .LBB166_11
.LBB166_16:                             ;   Parent Loop BB166_12 Depth=1
                                        ; =>  This Loop Header: Depth=2
                                        ;       Child Loop BB166_19 Depth 3
	v_lshlrev_b64 v[16:17], 2, v[8:9]
	v_lshl_add_u64 v[18:19], s[20:21], 0, v[16:17]
	global_load_dword v18, v[18:19], off
	v_lshl_add_u64 v[16:17], s[22:23], 0, v[16:17]
	global_load_dword v15, v[16:17], off
	s_waitcnt vmcnt(1)
	v_subrev_u32_e32 v17, s37, v18
	v_mul_lo_u32 v16, v17, s50
	v_and_b32_e32 v16, 0x3ff, v16
	v_lshl_add_u32 v18, v16, 2, 0
	ds_read_b32 v19, v18
	s_waitcnt lgkmcnt(0)
	v_cmp_ne_u32_e32 vcc, v19, v17
	s_and_saveexec_b64 s[26:27], vcc
	s_cbranch_execz .LBB166_15
; %bb.17:                               ;   in Loop: Header=BB166_16 Depth=2
	s_mov_b64 s[30:31], 0
	s_branch .LBB166_19
.LBB166_18:                             ;   in Loop: Header=BB166_19 Depth=3
	s_or_b64 exec, exec, s[48:49]
	s_and_b64 s[44:45], exec, s[46:47]
	s_or_b64 s[30:31], s[44:45], s[30:31]
	s_andn2_b64 exec, exec, s[30:31]
	s_cbranch_execz .LBB166_14
.LBB166_19:                             ;   Parent Loop BB166_12 Depth=1
                                        ;     Parent Loop BB166_16 Depth=2
                                        ; =>    This Inner Loop Header: Depth=3
	v_cmp_ne_u32_e32 vcc, s33, v19
	s_mov_b64 s[44:45], 0
	s_and_saveexec_b64 s[46:47], vcc
	s_xor_b64 s[46:47], exec, s[46:47]
	s_cbranch_execz .LBB166_21
; %bb.20:                               ;   in Loop: Header=BB166_19 Depth=3
	v_add_u32_e32 v16, 1, v16
	s_mov_b64 s[44:45], exec
	v_and_b32_e32 v16, 0x3ff, v16
                                        ; implicit-def: $vgpr18
	s_andn2_saveexec_b64 s[46:47], s[46:47]
	s_cbranch_execz .LBB166_23
	s_branch .LBB166_22
.LBB166_21:                             ;   in Loop: Header=BB166_19 Depth=3
	s_andn2_saveexec_b64 s[46:47], s[46:47]
	s_cbranch_execz .LBB166_23
.LBB166_22:                             ;   in Loop: Header=BB166_19 Depth=3
	v_mov_b32_e32 v19, s33
	ds_cmpst_rtn_b32 v18, v18, v19, v17
	s_andn2_b64 s[44:45], s[44:45], exec
	s_waitcnt lgkmcnt(0)
	v_cmp_ne_u32_e32 vcc, s33, v18
	s_and_b64 s[48:49], vcc, exec
	s_or_b64 s[44:45], s[44:45], s[48:49]
.LBB166_23:                             ;   in Loop: Header=BB166_19 Depth=3
	s_or_b64 exec, exec, s[46:47]
	s_mov_b64 s[46:47], -1
                                        ; implicit-def: $vgpr18
                                        ; implicit-def: $vgpr19
	s_and_saveexec_b64 s[48:49], s[44:45]
	s_cbranch_execz .LBB166_18
; %bb.24:                               ;   in Loop: Header=BB166_19 Depth=3
	v_lshl_add_u32 v18, v16, 2, 0
	ds_read_b32 v19, v18
	s_waitcnt lgkmcnt(0)
	v_cmp_eq_u32_e32 vcc, v19, v17
	s_orn2_b64 s[46:47], vcc, exec
	s_branch .LBB166_18
.LBB166_25:
	s_or_b64 exec, exec, s[2:3]
.LBB166_26:
	s_andn2_b64 vcc, exec, s[4:5]
	s_cbranch_vccnz .LBB166_41
; %bb.27:
	s_waitcnt lgkmcnt(0)
	s_ashr_i32 s43, s42, 31
	s_lshl_b64 s[0:1], s[42:43], 3
	s_add_u32 s0, s28, s0
	s_addc_u32 s1, s29, s1
	s_load_dwordx4 s[4:7], s[0:1], 0x0
	v_subrev_co_u32_e32 v2, vcc, s39, v0
	s_nop 1
	v_subb_co_u32_e64 v3, s[0:1], 0, 0, vcc
	s_waitcnt lgkmcnt(0)
	s_sub_u32 s0, s6, s39
	s_subb_u32 s1, s7, 0
	v_lshl_add_u64 v[2:3], s[4:5], 0, v[2:3]
	v_cmp_gt_i64_e32 vcc, s[0:1], v[2:3]
	s_and_saveexec_b64 s[2:3], vcc
	s_cbranch_execz .LBB166_40
; %bb.28:
	s_mov_b64 s[4:5], 0
	s_movk_i32 s22, 0x89
	s_mov_b64 s[6:7], 0x200
	s_branch .LBB166_31
.LBB166_29:                             ;   in Loop: Header=BB166_31 Depth=1
	s_or_b64 exec, exec, s[10:11]
.LBB166_30:                             ;   in Loop: Header=BB166_31 Depth=1
	s_or_b64 exec, exec, s[8:9]
	s_waitcnt vmcnt(0)
	v_mul_f32_e32 v4, v11, v4
	v_lshl_add_u32 v5, v5, 2, 0
	ds_add_f32 v5, v4 offset:4096
	v_lshl_add_u64 v[2:3], v[2:3], 0, s[6:7]
	v_cmp_le_i64_e32 vcc, s[0:1], v[2:3]
	s_or_b64 s[4:5], vcc, s[4:5]
	s_andn2_b64 exec, exec, s[4:5]
	s_cbranch_execz .LBB166_40
.LBB166_31:                             ; =>This Loop Header: Depth=1
                                        ;     Child Loop BB166_34 Depth 2
	v_lshlrev_b64 v[4:5], 2, v[2:3]
	v_lshl_add_u64 v[6:7], s[16:17], 0, v[4:5]
	global_load_dword v6, v[6:7], off
	v_lshl_add_u64 v[4:5], s[18:19], 0, v[4:5]
	global_load_dword v4, v[4:5], off
	s_waitcnt vmcnt(1)
	v_subrev_u32_e32 v6, s39, v6
	v_mul_lo_u32 v5, v6, s22
	v_and_b32_e32 v5, 0x3ff, v5
	v_lshl_add_u32 v7, v5, 2, 0
	ds_read_b32 v8, v7
	s_waitcnt lgkmcnt(0)
	v_cmp_ne_u32_e32 vcc, v8, v6
	s_and_saveexec_b64 s[8:9], vcc
	s_cbranch_execz .LBB166_30
; %bb.32:                               ;   in Loop: Header=BB166_31 Depth=1
	s_mov_b64 s[10:11], 0
	s_branch .LBB166_34
.LBB166_33:                             ;   in Loop: Header=BB166_34 Depth=2
	s_or_b64 exec, exec, s[20:21]
	s_and_b64 s[12:13], exec, s[14:15]
	s_or_b64 s[10:11], s[12:13], s[10:11]
	s_andn2_b64 exec, exec, s[10:11]
	s_cbranch_execz .LBB166_29
.LBB166_34:                             ;   Parent Loop BB166_31 Depth=1
                                        ; =>  This Inner Loop Header: Depth=2
	v_cmp_ne_u32_e32 vcc, s33, v8
	s_mov_b64 s[12:13], 0
	s_and_saveexec_b64 s[14:15], vcc
	s_xor_b64 s[14:15], exec, s[14:15]
	s_cbranch_execz .LBB166_36
; %bb.35:                               ;   in Loop: Header=BB166_34 Depth=2
	v_add_u32_e32 v5, 1, v5
	s_mov_b64 s[12:13], exec
	v_and_b32_e32 v5, 0x3ff, v5
                                        ; implicit-def: $vgpr7
	s_andn2_saveexec_b64 s[14:15], s[14:15]
	s_cbranch_execz .LBB166_38
	s_branch .LBB166_37
.LBB166_36:                             ;   in Loop: Header=BB166_34 Depth=2
	s_andn2_saveexec_b64 s[14:15], s[14:15]
	s_cbranch_execz .LBB166_38
.LBB166_37:                             ;   in Loop: Header=BB166_34 Depth=2
	v_mov_b32_e32 v8, s33
	ds_cmpst_rtn_b32 v7, v7, v8, v6
	s_andn2_b64 s[12:13], s[12:13], exec
	s_waitcnt lgkmcnt(0)
	v_cmp_ne_u32_e32 vcc, s33, v7
	s_and_b64 s[20:21], vcc, exec
	s_or_b64 s[12:13], s[12:13], s[20:21]
.LBB166_38:                             ;   in Loop: Header=BB166_34 Depth=2
	s_or_b64 exec, exec, s[14:15]
	s_mov_b64 s[14:15], -1
                                        ; implicit-def: $vgpr7
                                        ; implicit-def: $vgpr8
	s_and_saveexec_b64 s[20:21], s[12:13]
	s_cbranch_execz .LBB166_33
; %bb.39:                               ;   in Loop: Header=BB166_34 Depth=2
	v_lshl_add_u32 v7, v5, 2, 0
	ds_read_b32 v8, v7
	s_waitcnt lgkmcnt(0)
	v_cmp_eq_u32_e32 vcc, v8, v6
	s_orn2_b64 s[14:15], vcc, exec
	s_branch .LBB166_33
.LBB166_40:
	s_or_b64 exec, exec, s[2:3]
.LBB166_41:
	v_mbcnt_lo_u32_b32 v2, -1, 0
	v_mbcnt_hi_u32_b32 v2, -1, v2
	v_sub_u32_e32 v2, 63, v2
	s_movk_i32 s0, 0x1ff
	s_movk_i32 s6, 0x5f
	;; [unrolled: 1-line block ×14, first 2 shown]
	v_mov_b32_e32 v6, 0
	v_lshrrev_b64 v[2:3], v2, -1
	v_lshl_add_u32 v7, v12, 2, 0
	v_cmp_eq_u32_e64 s[0:1], s0, v0
	v_cmp_lt_u32_e64 s[2:3], 31, v0
	v_cmp_lt_u32_e64 s[4:5], 63, v0
	;; [unrolled: 1-line block ×15, first 2 shown]
	s_mov_b64 s[36:37], 0
	v_mov_b32_e32 v8, 0
	s_waitcnt lgkmcnt(0)
	s_barrier
	s_branch .LBB166_43
.LBB166_42:                             ;   in Loop: Header=BB166_43 Depth=1
	s_or_b64 exec, exec, s[44:45]
	s_waitcnt lgkmcnt(0)
	s_barrier
	ds_read_b32 v4, v6 offset:8252
	v_add_co_u32_e32 v1, vcc, 0x200, v1
	s_xor_b64 s[44:45], vcc, -1
	s_and_b64 s[44:45], exec, s[44:45]
	s_waitcnt lgkmcnt(0)
	v_add_u32_e32 v8, v4, v8
	s_or_b64 s[36:37], s[44:45], s[36:37]
	v_add_u32_e32 v10, 0x800, v10
	s_andn2_b64 exec, exec, s[36:37]
	s_cbranch_execz .LBB166_77
.LBB166_43:                             ; =>This Inner Loop Header: Depth=1
	ds_read2st64_b32 v[4:5], v10 offset1:16
	s_waitcnt lgkmcnt(0)
	s_barrier
	v_cmp_gt_i32_e32 vcc, s33, v4
	s_bcnt1_i32_b64 s39, vcc
	s_nop 0
	v_and_b32_e32 v11, vcc_lo, v2
	v_and_b32_e32 v9, vcc_hi, v3
	v_bcnt_u32_b32 v11, v11, 0
	v_bcnt_u32_b32 v9, v9, v11
	v_mov_b32_e32 v11, s39
	ds_write_b32 v7, v11 offset:8192
	s_waitcnt lgkmcnt(0)
	s_barrier
	s_and_saveexec_b64 s[44:45], s[2:3]
	s_cbranch_execz .LBB166_60
; %bb.44:                               ;   in Loop: Header=BB166_43 Depth=1
	ds_read_b32 v11, v6 offset:8192
	s_waitcnt lgkmcnt(0)
	v_add_u32_e32 v9, v11, v9
	s_or_b64 exec, exec, s[44:45]
	s_and_saveexec_b64 s[44:45], s[4:5]
	s_cbranch_execnz .LBB166_61
.LBB166_45:                             ;   in Loop: Header=BB166_43 Depth=1
	s_or_b64 exec, exec, s[44:45]
	s_and_saveexec_b64 s[44:45], s[6:7]
	s_cbranch_execz .LBB166_62
.LBB166_46:                             ;   in Loop: Header=BB166_43 Depth=1
	ds_read_b32 v11, v6 offset:8200
	s_waitcnt lgkmcnt(0)
	v_add_u32_e32 v9, v11, v9
	s_or_b64 exec, exec, s[44:45]
	s_and_saveexec_b64 s[44:45], s[8:9]
	s_cbranch_execnz .LBB166_63
.LBB166_47:                             ;   in Loop: Header=BB166_43 Depth=1
	s_or_b64 exec, exec, s[44:45]
	s_and_saveexec_b64 s[44:45], s[10:11]
	s_cbranch_execz .LBB166_64
.LBB166_48:                             ;   in Loop: Header=BB166_43 Depth=1
	ds_read_b32 v11, v6 offset:8208
	s_waitcnt lgkmcnt(0)
	v_add_u32_e32 v9, v11, v9
	s_or_b64 exec, exec, s[44:45]
	s_and_saveexec_b64 s[44:45], s[12:13]
	s_cbranch_execnz .LBB166_65
.LBB166_49:                             ;   in Loop: Header=BB166_43 Depth=1
	s_or_b64 exec, exec, s[44:45]
	s_and_saveexec_b64 s[44:45], s[14:15]
	s_cbranch_execz .LBB166_66
.LBB166_50:                             ;   in Loop: Header=BB166_43 Depth=1
	ds_read_b32 v11, v6 offset:8216
	s_waitcnt lgkmcnt(0)
	v_add_u32_e32 v9, v11, v9
	s_or_b64 exec, exec, s[44:45]
	s_and_saveexec_b64 s[44:45], s[16:17]
	s_cbranch_execnz .LBB166_67
.LBB166_51:                             ;   in Loop: Header=BB166_43 Depth=1
	s_or_b64 exec, exec, s[44:45]
	s_and_saveexec_b64 s[44:45], s[18:19]
	s_cbranch_execz .LBB166_68
.LBB166_52:                             ;   in Loop: Header=BB166_43 Depth=1
	ds_read_b32 v11, v6 offset:8224
	s_waitcnt lgkmcnt(0)
	v_add_u32_e32 v9, v11, v9
	s_or_b64 exec, exec, s[44:45]
	s_and_saveexec_b64 s[44:45], s[20:21]
	s_cbranch_execnz .LBB166_69
.LBB166_53:                             ;   in Loop: Header=BB166_43 Depth=1
	s_or_b64 exec, exec, s[44:45]
	s_and_saveexec_b64 s[44:45], s[22:23]
	s_cbranch_execz .LBB166_70
.LBB166_54:                             ;   in Loop: Header=BB166_43 Depth=1
	ds_read_b32 v11, v6 offset:8232
	s_waitcnt lgkmcnt(0)
	v_add_u32_e32 v9, v11, v9
	s_or_b64 exec, exec, s[44:45]
	s_and_saveexec_b64 s[44:45], s[24:25]
	s_cbranch_execnz .LBB166_71
.LBB166_55:                             ;   in Loop: Header=BB166_43 Depth=1
	s_or_b64 exec, exec, s[44:45]
	s_and_saveexec_b64 s[44:45], s[26:27]
	s_cbranch_execz .LBB166_72
.LBB166_56:                             ;   in Loop: Header=BB166_43 Depth=1
	ds_read_b32 v11, v6 offset:8240
	s_waitcnt lgkmcnt(0)
	v_add_u32_e32 v9, v11, v9
	s_or_b64 exec, exec, s[44:45]
	s_and_saveexec_b64 s[44:45], s[28:29]
	s_cbranch_execnz .LBB166_73
.LBB166_57:                             ;   in Loop: Header=BB166_43 Depth=1
	s_or_b64 exec, exec, s[44:45]
	s_and_saveexec_b64 s[44:45], s[30:31]
	s_cbranch_execz .LBB166_74
.LBB166_58:                             ;   in Loop: Header=BB166_43 Depth=1
	ds_read_b32 v11, v6 offset:8248
	s_waitcnt lgkmcnt(0)
	v_add_u32_e32 v9, v11, v9
	s_or_b64 exec, exec, s[44:45]
	s_and_saveexec_b64 s[44:45], vcc
	s_cbranch_execnz .LBB166_75
.LBB166_59:                             ;   in Loop: Header=BB166_43 Depth=1
	s_or_b64 exec, exec, s[44:45]
	s_and_saveexec_b64 s[44:45], s[0:1]
	s_cbranch_execz .LBB166_42
	s_branch .LBB166_76
.LBB166_60:                             ;   in Loop: Header=BB166_43 Depth=1
	s_or_b64 exec, exec, s[44:45]
	s_and_saveexec_b64 s[44:45], s[4:5]
	s_cbranch_execz .LBB166_45
.LBB166_61:                             ;   in Loop: Header=BB166_43 Depth=1
	ds_read_b32 v11, v6 offset:8196
	s_waitcnt lgkmcnt(0)
	v_add_u32_e32 v9, v11, v9
	s_or_b64 exec, exec, s[44:45]
	s_and_saveexec_b64 s[44:45], s[6:7]
	s_cbranch_execnz .LBB166_46
.LBB166_62:                             ;   in Loop: Header=BB166_43 Depth=1
	s_or_b64 exec, exec, s[44:45]
	s_and_saveexec_b64 s[44:45], s[8:9]
	s_cbranch_execz .LBB166_47
.LBB166_63:                             ;   in Loop: Header=BB166_43 Depth=1
	ds_read_b32 v11, v6 offset:8204
	s_waitcnt lgkmcnt(0)
	v_add_u32_e32 v9, v11, v9
	s_or_b64 exec, exec, s[44:45]
	s_and_saveexec_b64 s[44:45], s[10:11]
	s_cbranch_execnz .LBB166_48
.LBB166_64:                             ;   in Loop: Header=BB166_43 Depth=1
	s_or_b64 exec, exec, s[44:45]
	s_and_saveexec_b64 s[44:45], s[12:13]
	s_cbranch_execz .LBB166_49
.LBB166_65:                             ;   in Loop: Header=BB166_43 Depth=1
	ds_read_b32 v11, v6 offset:8212
	s_waitcnt lgkmcnt(0)
	v_add_u32_e32 v9, v11, v9
	s_or_b64 exec, exec, s[44:45]
	s_and_saveexec_b64 s[44:45], s[14:15]
	s_cbranch_execnz .LBB166_50
.LBB166_66:                             ;   in Loop: Header=BB166_43 Depth=1
	s_or_b64 exec, exec, s[44:45]
	s_and_saveexec_b64 s[44:45], s[16:17]
	s_cbranch_execz .LBB166_51
.LBB166_67:                             ;   in Loop: Header=BB166_43 Depth=1
	ds_read_b32 v11, v6 offset:8220
	s_waitcnt lgkmcnt(0)
	v_add_u32_e32 v9, v11, v9
	s_or_b64 exec, exec, s[44:45]
	s_and_saveexec_b64 s[44:45], s[18:19]
	s_cbranch_execnz .LBB166_52
.LBB166_68:                             ;   in Loop: Header=BB166_43 Depth=1
	s_or_b64 exec, exec, s[44:45]
	s_and_saveexec_b64 s[44:45], s[20:21]
	s_cbranch_execz .LBB166_53
.LBB166_69:                             ;   in Loop: Header=BB166_43 Depth=1
	ds_read_b32 v11, v6 offset:8228
	s_waitcnt lgkmcnt(0)
	v_add_u32_e32 v9, v11, v9
	s_or_b64 exec, exec, s[44:45]
	s_and_saveexec_b64 s[44:45], s[22:23]
	s_cbranch_execnz .LBB166_54
.LBB166_70:                             ;   in Loop: Header=BB166_43 Depth=1
	s_or_b64 exec, exec, s[44:45]
	s_and_saveexec_b64 s[44:45], s[24:25]
	s_cbranch_execz .LBB166_55
.LBB166_71:                             ;   in Loop: Header=BB166_43 Depth=1
	ds_read_b32 v11, v6 offset:8236
	s_waitcnt lgkmcnt(0)
	v_add_u32_e32 v9, v11, v9
	s_or_b64 exec, exec, s[44:45]
	s_and_saveexec_b64 s[44:45], s[26:27]
	s_cbranch_execnz .LBB166_56
.LBB166_72:                             ;   in Loop: Header=BB166_43 Depth=1
	s_or_b64 exec, exec, s[44:45]
	s_and_saveexec_b64 s[44:45], s[28:29]
	s_cbranch_execz .LBB166_57
.LBB166_73:                             ;   in Loop: Header=BB166_43 Depth=1
	ds_read_b32 v11, v6 offset:8244
	s_waitcnt lgkmcnt(0)
	v_add_u32_e32 v9, v11, v9
	s_or_b64 exec, exec, s[44:45]
	s_and_saveexec_b64 s[44:45], s[30:31]
	s_cbranch_execnz .LBB166_58
.LBB166_74:                             ;   in Loop: Header=BB166_43 Depth=1
	s_or_b64 exec, exec, s[44:45]
	s_and_saveexec_b64 s[44:45], vcc
	s_cbranch_execz .LBB166_59
.LBB166_75:                             ;   in Loop: Header=BB166_43 Depth=1
	v_add3_u32 v11, v8, -1, v9
	v_lshl_add_u32 v11, v11, 2, 0
	v_add_u32_e32 v12, v8, v9
	v_lshl_add_u32 v12, v12, 2, 0
	ds_write_b32 v11, v4
	ds_write_b32 v12, v5 offset:4092
	s_or_b64 exec, exec, s[44:45]
	s_and_saveexec_b64 s[44:45], s[0:1]
	s_cbranch_execz .LBB166_42
.LBB166_76:                             ;   in Loop: Header=BB166_43 Depth=1
	ds_write_b32 v6, v9 offset:8252
	s_branch .LBB166_42
.LBB166_77:
	s_or_b64 exec, exec, s[36:37]
	s_ashr_i32 s43, s42, 31
	s_lshl_b64 s[0:1], s[42:43], 3
	s_add_u32 s4, s40, s0
	s_addc_u32 s5, s41, s1
	s_load_dwordx4 s[0:3], s[4:5], 0x0
	s_waitcnt lgkmcnt(0)
	s_sub_i32 s8, s2, s0
	v_cmp_gt_i32_e32 vcc, s8, v0
	s_and_saveexec_b64 s[4:5], vcc
	s_cbranch_execz .LBB166_87
; %bb.78:
	s_sub_u32 s4, s0, s38
	s_subb_u32 s5, s1, 0
	s_and_b32 s10, s8, 7
	s_sub_i32 s0, s0, s2
	s_cmp_lt_u32 s0, -7
	s_cselect_b64 s[0:1], -1, 0
	s_and_b32 s11, s8, -8
	s_cmp_lg_u32 s10, 0
	v_cndmask_b32_e64 v1, 0, 1, s[0:1]
	s_cselect_b64 s[2:3], -1, 0
	v_cmp_ne_u32_e64 s[0:1], 1, v1
	v_cndmask_b32_e64 v1, 0, 1, s[2:3]
	s_mov_b32 s9, 0
	s_mov_b64 s[6:7], 0
	v_cmp_ne_u32_e64 s[2:3], 1, v1
	s_branch .LBB166_80
.LBB166_79:                             ;   in Loop: Header=BB166_80 Depth=1
	v_add_u32_e32 v0, 0x200, v0
	v_cmp_le_i32_e32 vcc, s8, v0
	v_lshl_add_u64 v[4:5], v[4:5], 2, s[34:35]
	s_or_b64 s[6:7], vcc, s[6:7]
	s_waitcnt lgkmcnt(0)
	global_store_dword v[4:5], v3, off
	s_andn2_b64 exec, exec, s[6:7]
	s_cbranch_execz .LBB166_87
.LBB166_80:                             ; =>This Loop Header: Depth=1
                                        ;     Child Loop BB166_82 Depth 2
                                        ;     Child Loop BB166_86 Depth 2
	v_lshl_add_u32 v1, v0, 2, 0
	ds_read2st64_b32 v[2:3], v1 offset1:16
	s_and_b64 vcc, exec, s[0:1]
	v_mov_b64_e32 v[4:5], s[4:5]
	s_mov_b32 s12, 0
	s_cbranch_vccnz .LBB166_84
; %bb.81:                               ;   in Loop: Header=BB166_80 Depth=1
	s_mov_b32 s13, 0
	v_mov_b64_e32 v[4:5], s[4:5]
.LBB166_82:                             ;   Parent Loop BB166_80 Depth=1
                                        ; =>  This Inner Loop Header: Depth=2
	v_mov_b32_e32 v1, s13
	ds_read2_b32 v[22:23], v1 offset1:1
	ds_read2_b32 v[24:25], v1 offset0:2 offset1:3
	ds_read2_b32 v[26:27], v1 offset0:4 offset1:5
	ds_read2_b32 v[28:29], v1 offset0:6 offset1:7
	v_mov_b32_e32 v7, s9
	s_waitcnt lgkmcnt(3)
	v_cmp_gt_i32_e32 vcc, v2, v22
	v_mov_b32_e32 v9, s9
	v_mov_b32_e32 v11, s9
	v_cndmask_b32_e64 v6, 0, 1, vcc
	v_cmp_gt_i32_e32 vcc, v2, v23
	v_lshl_add_u64 v[4:5], v[4:5], 0, v[6:7]
	v_mov_b32_e32 v13, s9
	v_cndmask_b32_e64 v8, 0, 1, vcc
	s_waitcnt lgkmcnt(2)
	v_cmp_gt_i32_e32 vcc, v2, v24
	v_lshl_add_u64 v[4:5], v[4:5], 0, v[8:9]
	v_mov_b32_e32 v15, s9
	v_cndmask_b32_e64 v10, 0, 1, vcc
	v_cmp_gt_i32_e32 vcc, v2, v25
	v_lshl_add_u64 v[4:5], v[4:5], 0, v[10:11]
	v_mov_b32_e32 v17, s9
	v_cndmask_b32_e64 v12, 0, 1, vcc
	s_waitcnt lgkmcnt(1)
	v_cmp_gt_i32_e32 vcc, v2, v26
	v_lshl_add_u64 v[4:5], v[4:5], 0, v[12:13]
	;; [unrolled: 9-line block ×3, first 2 shown]
	s_add_i32 s12, s12, 8
	v_cndmask_b32_e64 v18, 0, 1, vcc
	v_cmp_gt_i32_e32 vcc, v2, v29
	s_add_i32 s13, s13, 32
	v_lshl_add_u64 v[4:5], v[4:5], 0, v[18:19]
	v_cndmask_b32_e64 v20, 0, 1, vcc
	s_cmp_eq_u32 s11, s12
	v_lshl_add_u64 v[4:5], v[4:5], 0, v[20:21]
	s_cbranch_scc0 .LBB166_82
; %bb.83:                               ;   in Loop: Header=BB166_80 Depth=1
	s_mov_b32 s12, s11
.LBB166_84:                             ;   in Loop: Header=BB166_80 Depth=1
	s_and_b64 vcc, exec, s[2:3]
	s_cbranch_vccnz .LBB166_79
; %bb.85:                               ;   in Loop: Header=BB166_80 Depth=1
	s_lshl_b32 s12, s12, 2
	s_add_i32 s12, s12, 0
	s_mov_b32 s13, s10
.LBB166_86:                             ;   Parent Loop BB166_80 Depth=1
                                        ; =>  This Inner Loop Header: Depth=2
	v_mov_b32_e32 v1, s12
	ds_read_b32 v1, v1
	v_mov_b32_e32 v7, s9
	s_add_i32 s12, s12, 4
	s_add_i32 s13, s13, -1
	s_cmp_lg_u32 s13, 0
	s_waitcnt lgkmcnt(0)
	v_cmp_gt_i32_e32 vcc, v2, v1
	s_nop 1
	v_cndmask_b32_e64 v6, 0, 1, vcc
	v_lshl_add_u64 v[4:5], v[4:5], 0, v[6:7]
	s_cbranch_scc1 .LBB166_86
	s_branch .LBB166_79
.LBB166_87:
	s_endpgm
	.section	.rodata,"a",@progbits
	.p2align	6, 0x0
	.amdhsa_kernel _ZN9rocsparseL41csrgemm_numeric_fill_block_per_row_kernelILj512ELj32ELj1024ELj137ELj32ElifEEvT5_PKS1_S3_NS_24const_host_device_scalarIT6_EEPKT4_S3_PKS5_S9_S3_SB_S6_S9_S3_SB_S9_S3_PS5_21rocsparse_index_base_SD_SD_SD_bbb
		.amdhsa_group_segment_fixed_size 0
		.amdhsa_private_segment_fixed_size 0
		.amdhsa_kernarg_size 156
		.amdhsa_user_sgpr_count 2
		.amdhsa_user_sgpr_dispatch_ptr 0
		.amdhsa_user_sgpr_queue_ptr 0
		.amdhsa_user_sgpr_kernarg_segment_ptr 1
		.amdhsa_user_sgpr_dispatch_id 0
		.amdhsa_user_sgpr_kernarg_preload_length 0
		.amdhsa_user_sgpr_kernarg_preload_offset 0
		.amdhsa_user_sgpr_private_segment_size 0
		.amdhsa_uses_dynamic_stack 0
		.amdhsa_enable_private_segment 0
		.amdhsa_system_sgpr_workgroup_id_x 1
		.amdhsa_system_sgpr_workgroup_id_y 0
		.amdhsa_system_sgpr_workgroup_id_z 0
		.amdhsa_system_sgpr_workgroup_info 0
		.amdhsa_system_vgpr_workitem_id 0
		.amdhsa_next_free_vgpr 30
		.amdhsa_next_free_sgpr 51
		.amdhsa_accum_offset 32
		.amdhsa_reserve_vcc 1
		.amdhsa_float_round_mode_32 0
		.amdhsa_float_round_mode_16_64 0
		.amdhsa_float_denorm_mode_32 3
		.amdhsa_float_denorm_mode_16_64 3
		.amdhsa_dx10_clamp 1
		.amdhsa_ieee_mode 1
		.amdhsa_fp16_overflow 0
		.amdhsa_tg_split 0
		.amdhsa_exception_fp_ieee_invalid_op 0
		.amdhsa_exception_fp_denorm_src 0
		.amdhsa_exception_fp_ieee_div_zero 0
		.amdhsa_exception_fp_ieee_overflow 0
		.amdhsa_exception_fp_ieee_underflow 0
		.amdhsa_exception_fp_ieee_inexact 0
		.amdhsa_exception_int_div_zero 0
	.end_amdhsa_kernel
	.section	.text._ZN9rocsparseL41csrgemm_numeric_fill_block_per_row_kernelILj512ELj32ELj1024ELj137ELj32ElifEEvT5_PKS1_S3_NS_24const_host_device_scalarIT6_EEPKT4_S3_PKS5_S9_S3_SB_S6_S9_S3_SB_S9_S3_PS5_21rocsparse_index_base_SD_SD_SD_bbb,"axG",@progbits,_ZN9rocsparseL41csrgemm_numeric_fill_block_per_row_kernelILj512ELj32ELj1024ELj137ELj32ElifEEvT5_PKS1_S3_NS_24const_host_device_scalarIT6_EEPKT4_S3_PKS5_S9_S3_SB_S6_S9_S3_SB_S9_S3_PS5_21rocsparse_index_base_SD_SD_SD_bbb,comdat
.Lfunc_end166:
	.size	_ZN9rocsparseL41csrgemm_numeric_fill_block_per_row_kernelILj512ELj32ELj1024ELj137ELj32ElifEEvT5_PKS1_S3_NS_24const_host_device_scalarIT6_EEPKT4_S3_PKS5_S9_S3_SB_S6_S9_S3_SB_S9_S3_PS5_21rocsparse_index_base_SD_SD_SD_bbb, .Lfunc_end166-_ZN9rocsparseL41csrgemm_numeric_fill_block_per_row_kernelILj512ELj32ELj1024ELj137ELj32ElifEEvT5_PKS1_S3_NS_24const_host_device_scalarIT6_EEPKT4_S3_PKS5_S9_S3_SB_S6_S9_S3_SB_S9_S3_PS5_21rocsparse_index_base_SD_SD_SD_bbb
                                        ; -- End function
	.set _ZN9rocsparseL41csrgemm_numeric_fill_block_per_row_kernelILj512ELj32ELj1024ELj137ELj32ElifEEvT5_PKS1_S3_NS_24const_host_device_scalarIT6_EEPKT4_S3_PKS5_S9_S3_SB_S6_S9_S3_SB_S9_S3_PS5_21rocsparse_index_base_SD_SD_SD_bbb.num_vgpr, 30
	.set _ZN9rocsparseL41csrgemm_numeric_fill_block_per_row_kernelILj512ELj32ELj1024ELj137ELj32ElifEEvT5_PKS1_S3_NS_24const_host_device_scalarIT6_EEPKT4_S3_PKS5_S9_S3_SB_S6_S9_S3_SB_S9_S3_PS5_21rocsparse_index_base_SD_SD_SD_bbb.num_agpr, 0
	.set _ZN9rocsparseL41csrgemm_numeric_fill_block_per_row_kernelILj512ELj32ELj1024ELj137ELj32ElifEEvT5_PKS1_S3_NS_24const_host_device_scalarIT6_EEPKT4_S3_PKS5_S9_S3_SB_S6_S9_S3_SB_S9_S3_PS5_21rocsparse_index_base_SD_SD_SD_bbb.numbered_sgpr, 51
	.set _ZN9rocsparseL41csrgemm_numeric_fill_block_per_row_kernelILj512ELj32ELj1024ELj137ELj32ElifEEvT5_PKS1_S3_NS_24const_host_device_scalarIT6_EEPKT4_S3_PKS5_S9_S3_SB_S6_S9_S3_SB_S9_S3_PS5_21rocsparse_index_base_SD_SD_SD_bbb.num_named_barrier, 0
	.set _ZN9rocsparseL41csrgemm_numeric_fill_block_per_row_kernelILj512ELj32ELj1024ELj137ELj32ElifEEvT5_PKS1_S3_NS_24const_host_device_scalarIT6_EEPKT4_S3_PKS5_S9_S3_SB_S6_S9_S3_SB_S9_S3_PS5_21rocsparse_index_base_SD_SD_SD_bbb.private_seg_size, 0
	.set _ZN9rocsparseL41csrgemm_numeric_fill_block_per_row_kernelILj512ELj32ELj1024ELj137ELj32ElifEEvT5_PKS1_S3_NS_24const_host_device_scalarIT6_EEPKT4_S3_PKS5_S9_S3_SB_S6_S9_S3_SB_S9_S3_PS5_21rocsparse_index_base_SD_SD_SD_bbb.uses_vcc, 1
	.set _ZN9rocsparseL41csrgemm_numeric_fill_block_per_row_kernelILj512ELj32ELj1024ELj137ELj32ElifEEvT5_PKS1_S3_NS_24const_host_device_scalarIT6_EEPKT4_S3_PKS5_S9_S3_SB_S6_S9_S3_SB_S9_S3_PS5_21rocsparse_index_base_SD_SD_SD_bbb.uses_flat_scratch, 0
	.set _ZN9rocsparseL41csrgemm_numeric_fill_block_per_row_kernelILj512ELj32ELj1024ELj137ELj32ElifEEvT5_PKS1_S3_NS_24const_host_device_scalarIT6_EEPKT4_S3_PKS5_S9_S3_SB_S6_S9_S3_SB_S9_S3_PS5_21rocsparse_index_base_SD_SD_SD_bbb.has_dyn_sized_stack, 0
	.set _ZN9rocsparseL41csrgemm_numeric_fill_block_per_row_kernelILj512ELj32ELj1024ELj137ELj32ElifEEvT5_PKS1_S3_NS_24const_host_device_scalarIT6_EEPKT4_S3_PKS5_S9_S3_SB_S6_S9_S3_SB_S9_S3_PS5_21rocsparse_index_base_SD_SD_SD_bbb.has_recursion, 0
	.set _ZN9rocsparseL41csrgemm_numeric_fill_block_per_row_kernelILj512ELj32ELj1024ELj137ELj32ElifEEvT5_PKS1_S3_NS_24const_host_device_scalarIT6_EEPKT4_S3_PKS5_S9_S3_SB_S6_S9_S3_SB_S9_S3_PS5_21rocsparse_index_base_SD_SD_SD_bbb.has_indirect_call, 0
	.section	.AMDGPU.csdata,"",@progbits
; Kernel info:
; codeLenInByte = 3000
; TotalNumSgprs: 57
; NumVgprs: 30
; NumAgprs: 0
; TotalNumVgprs: 30
; ScratchSize: 0
; MemoryBound: 0
; FloatMode: 240
; IeeeMode: 1
; LDSByteSize: 0 bytes/workgroup (compile time only)
; SGPRBlocks: 7
; VGPRBlocks: 3
; NumSGPRsForWavesPerEU: 57
; NumVGPRsForWavesPerEU: 30
; AccumOffset: 32
; Occupancy: 8
; WaveLimiterHint : 1
; COMPUTE_PGM_RSRC2:SCRATCH_EN: 0
; COMPUTE_PGM_RSRC2:USER_SGPR: 2
; COMPUTE_PGM_RSRC2:TRAP_HANDLER: 0
; COMPUTE_PGM_RSRC2:TGID_X_EN: 1
; COMPUTE_PGM_RSRC2:TGID_Y_EN: 0
; COMPUTE_PGM_RSRC2:TGID_Z_EN: 0
; COMPUTE_PGM_RSRC2:TIDIG_COMP_CNT: 0
; COMPUTE_PGM_RSRC3_GFX90A:ACCUM_OFFSET: 7
; COMPUTE_PGM_RSRC3_GFX90A:TG_SPLIT: 0
	.section	.text._ZN9rocsparseL41csrgemm_numeric_fill_block_per_row_kernelILj512ELj32ELj1024ELj137ELj64ElifEEvT5_PKS1_S3_NS_24const_host_device_scalarIT6_EEPKT4_S3_PKS5_S9_S3_SB_S6_S9_S3_SB_S9_S3_PS5_21rocsparse_index_base_SD_SD_SD_bbb,"axG",@progbits,_ZN9rocsparseL41csrgemm_numeric_fill_block_per_row_kernelILj512ELj32ELj1024ELj137ELj64ElifEEvT5_PKS1_S3_NS_24const_host_device_scalarIT6_EEPKT4_S3_PKS5_S9_S3_SB_S6_S9_S3_SB_S9_S3_PS5_21rocsparse_index_base_SD_SD_SD_bbb,comdat
	.globl	_ZN9rocsparseL41csrgemm_numeric_fill_block_per_row_kernelILj512ELj32ELj1024ELj137ELj64ElifEEvT5_PKS1_S3_NS_24const_host_device_scalarIT6_EEPKT4_S3_PKS5_S9_S3_SB_S6_S9_S3_SB_S9_S3_PS5_21rocsparse_index_base_SD_SD_SD_bbb ; -- Begin function _ZN9rocsparseL41csrgemm_numeric_fill_block_per_row_kernelILj512ELj32ELj1024ELj137ELj64ElifEEvT5_PKS1_S3_NS_24const_host_device_scalarIT6_EEPKT4_S3_PKS5_S9_S3_SB_S6_S9_S3_SB_S9_S3_PS5_21rocsparse_index_base_SD_SD_SD_bbb
	.p2align	8
	.type	_ZN9rocsparseL41csrgemm_numeric_fill_block_per_row_kernelILj512ELj32ELj1024ELj137ELj64ElifEEvT5_PKS1_S3_NS_24const_host_device_scalarIT6_EEPKT4_S3_PKS5_S9_S3_SB_S6_S9_S3_SB_S9_S3_PS5_21rocsparse_index_base_SD_SD_SD_bbb,@function
_ZN9rocsparseL41csrgemm_numeric_fill_block_per_row_kernelILj512ELj32ELj1024ELj137ELj64ElifEEvT5_PKS1_S3_NS_24const_host_device_scalarIT6_EEPKT4_S3_PKS5_S9_S3_SB_S6_S9_S3_SB_S9_S3_PS5_21rocsparse_index_base_SD_SD_SD_bbb: ; @_ZN9rocsparseL41csrgemm_numeric_fill_block_per_row_kernelILj512ELj32ELj1024ELj137ELj64ElifEEvT5_PKS1_S3_NS_24const_host_device_scalarIT6_EEPKT4_S3_PKS5_S9_S3_SB_S6_S9_S3_SB_S9_S3_PS5_21rocsparse_index_base_SD_SD_SD_bbb
; %bb.0:
	s_load_dword s3, s[0:1], 0x98
	s_load_dwordx4 s[16:19], s[0:1], 0x88
	s_load_dwordx2 s[4:5], s[0:1], 0x18
	s_load_dwordx2 s[20:21], s[0:1], 0x50
	s_waitcnt lgkmcnt(0)
	s_bitcmp1_b32 s3, 0
	s_cselect_b64 s[6:7], -1, 0
	s_bitcmp1_b32 s3, 16
	s_cselect_b64 s[22:23], -1, 0
	s_xor_b64 s[8:9], s[6:7], -1
	s_or_b64 s[8:9], s[22:23], s[8:9]
	s_and_b64 vcc, exec, s[8:9]
	s_cbranch_vccnz .LBB167_2
; %bb.1:
	s_load_dword s4, s[4:5], 0x0
	s_waitcnt lgkmcnt(0)
	v_mov_b32_e32 v12, s4
	s_branch .LBB167_3
.LBB167_2:
	v_mov_b32_e32 v1, s4
	v_cndmask_b32_e64 v12, 0, v1, s[6:7]
.LBB167_3:
	s_load_dwordx2 s[34:35], s[0:1], 0x80
	s_load_dwordx2 s[36:37], s[0:1], 0x70
	;; [unrolled: 1-line block ×3, first 2 shown]
	s_load_dwordx4 s[28:31], s[0:1], 0x8
	s_load_dwordx8 s[8:15], s[0:1], 0x20
	s_bitcmp1_b32 s3, 8
	s_cselect_b64 s[4:5], -1, 0
	s_xor_b64 s[24:25], s[4:5], -1
	s_or_b64 s[22:23], s[22:23], s[24:25]
	s_and_b64 vcc, exec, s[22:23]
	s_cbranch_vccnz .LBB167_5
; %bb.4:
	s_load_dword s3, s[20:21], 0x0
	s_waitcnt lgkmcnt(0)
	v_mov_b32_e32 v11, s3
	s_branch .LBB167_6
.LBB167_5:
	v_mov_b32_e32 v1, s20
	v_cndmask_b32_e64 v11, 0, v1, s[4:5]
.LBB167_6:
	s_load_dwordx4 s[24:27], s[0:1], 0x40
	s_load_dword s33, s[0:1], 0x0
	s_load_dwordx4 s[20:23], s[0:1], 0x60
	v_or_b32_e32 v1, 0xfffffe00, v0
	v_lshl_add_u32 v10, v0, 2, 0
	s_mov_b64 s[0:1], 0
	s_waitcnt lgkmcnt(0)
	v_mov_b32_e32 v2, s33
	v_mov_b32_e32 v3, 0
	;; [unrolled: 1-line block ×4, first 2 shown]
.LBB167_7:                              ; =>This Inner Loop Header: Depth=1
	v_add_co_u32_e32 v5, vcc, 0x200, v5
	s_xor_b64 s[40:41], vcc, -1
	s_and_b64 s[40:41], exec, s[40:41]
	ds_write2st64_b32 v4, v2, v3 offset1:16
	s_or_b64 s[0:1], s[40:41], s[0:1]
	v_add_u32_e32 v4, 0x800, v4
	s_andn2_b64 exec, exec, s[0:1]
	s_cbranch_execnz .LBB167_7
; %bb.8:
	s_or_b64 exec, exec, s[0:1]
	s_waitcnt lgkmcnt(0)
	s_barrier
	s_load_dword s0, s[28:29], 0x0
	s_mov_b32 s1, 0
	s_waitcnt lgkmcnt(0)
	s_add_i32 s0, s0, s2
	s_lshl_b64 s[0:1], s[0:1], 2
	s_add_u32 s0, s30, s0
	s_addc_u32 s1, s31, s1
	s_load_dword s28, s[0:1], 0x0
	s_and_b64 vcc, exec, s[6:7]
	s_cbranch_vccz .LBB167_26
; %bb.9:
	s_waitcnt lgkmcnt(0)
	s_ashr_i32 s29, s28, 31
	s_lshl_b64 s[0:1], s[28:29], 3
	s_add_u32 s0, s8, s0
	s_addc_u32 s1, s9, s1
	s_load_dwordx4 s[40:43], s[0:1], 0x0
	v_lshrrev_b32_e32 v2, 5, v0
	v_subrev_co_u32_e32 v2, vcc, s16, v2
	s_waitcnt lgkmcnt(0)
	s_sub_u32 s0, s42, s16
	v_subb_co_u32_e64 v3, s[2:3], 0, 0, vcc
	s_subb_u32 s1, s43, 0
	v_lshl_add_u64 v[2:3], s[40:41], 0, v[2:3]
	v_cmp_gt_i64_e32 vcc, s[0:1], v[2:3]
	s_and_saveexec_b64 s[2:3], vcc
	s_cbranch_execz .LBB167_25
; %bb.10:
	v_and_b32_e32 v4, 31, v0
	v_subrev_co_u32_e32 v4, vcc, s17, v4
	s_mov_b32 s29, s17
	s_nop 0
	v_subb_co_u32_e64 v5, s[6:7], 0, 0, vcc
	s_mov_b64 s[6:7], 0
	s_movk_i32 s50, 0x89
	s_branch .LBB167_12
.LBB167_11:                             ;   in Loop: Header=BB167_12 Depth=1
	s_or_b64 exec, exec, s[8:9]
	v_lshl_add_u64 v[2:3], v[2:3], 0, 16
	v_cmp_le_i64_e32 vcc, s[0:1], v[2:3]
	s_or_b64 s[6:7], vcc, s[6:7]
	s_andn2_b64 exec, exec, s[6:7]
	s_cbranch_execz .LBB167_25
.LBB167_12:                             ; =>This Loop Header: Depth=1
                                        ;     Child Loop BB167_16 Depth 2
                                        ;       Child Loop BB167_19 Depth 3
	v_lshl_add_u64 v[6:7], v[2:3], 2, s[10:11]
	global_load_dword v6, v[6:7], off
	s_waitcnt vmcnt(0)
	v_subrev_u32_e32 v6, s16, v6
	v_ashrrev_i32_e32 v7, 31, v6
	v_lshl_add_u64 v[6:7], v[6:7], 3, s[14:15]
	global_load_dwordx4 v[14:17], v[6:7], off
	s_waitcnt vmcnt(0)
	v_subrev_co_u32_e32 v6, vcc, s29, v16
	s_nop 1
	v_subbrev_co_u32_e32 v7, vcc, 0, v17, vcc
	v_lshl_add_u64 v[8:9], v[14:15], 0, v[4:5]
	v_cmp_lt_i64_e32 vcc, v[8:9], v[6:7]
	s_and_saveexec_b64 s[8:9], vcc
	s_cbranch_execz .LBB167_11
; %bb.13:                               ;   in Loop: Header=BB167_12 Depth=1
	v_lshl_add_u64 v[14:15], v[2:3], 2, s[12:13]
	global_load_dword v13, v[14:15], off
	s_mov_b64 s[30:31], 0
	s_waitcnt vmcnt(0)
	v_mul_f32_e32 v13, v12, v13
	s_branch .LBB167_16
.LBB167_14:                             ;   in Loop: Header=BB167_16 Depth=2
	s_or_b64 exec, exec, s[42:43]
.LBB167_15:                             ;   in Loop: Header=BB167_16 Depth=2
	s_or_b64 exec, exec, s[40:41]
	s_waitcnt vmcnt(0)
	v_mul_f32_e32 v14, v13, v14
	v_lshl_add_u32 v15, v15, 2, 0
	ds_add_f32 v15, v14 offset:4096
	v_lshl_add_u64 v[8:9], v[8:9], 0, 32
	v_cmp_ge_i64_e32 vcc, v[8:9], v[6:7]
	s_or_b64 s[30:31], vcc, s[30:31]
	s_andn2_b64 exec, exec, s[30:31]
	s_cbranch_execz .LBB167_11
.LBB167_16:                             ;   Parent Loop BB167_12 Depth=1
                                        ; =>  This Loop Header: Depth=2
                                        ;       Child Loop BB167_19 Depth 3
	v_lshlrev_b64 v[14:15], 2, v[8:9]
	v_lshl_add_u64 v[16:17], s[24:25], 0, v[14:15]
	global_load_dword v16, v[16:17], off
	v_lshl_add_u64 v[14:15], s[26:27], 0, v[14:15]
	global_load_dword v14, v[14:15], off
	s_waitcnt vmcnt(1)
	v_subrev_u32_e32 v16, s17, v16
	v_mul_lo_u32 v15, v16, s50
	v_and_b32_e32 v15, 0x3ff, v15
	v_lshl_add_u32 v17, v15, 2, 0
	ds_read_b32 v18, v17
	s_waitcnt lgkmcnt(0)
	v_cmp_ne_u32_e32 vcc, v18, v16
	s_and_saveexec_b64 s[40:41], vcc
	s_cbranch_execz .LBB167_15
; %bb.17:                               ;   in Loop: Header=BB167_16 Depth=2
	s_mov_b64 s[42:43], 0
	s_branch .LBB167_19
.LBB167_18:                             ;   in Loop: Header=BB167_19 Depth=3
	s_or_b64 exec, exec, s[48:49]
	s_and_b64 s[44:45], exec, s[46:47]
	s_or_b64 s[42:43], s[44:45], s[42:43]
	s_andn2_b64 exec, exec, s[42:43]
	s_cbranch_execz .LBB167_14
.LBB167_19:                             ;   Parent Loop BB167_12 Depth=1
                                        ;     Parent Loop BB167_16 Depth=2
                                        ; =>    This Inner Loop Header: Depth=3
	v_cmp_ne_u32_e32 vcc, s33, v18
	s_mov_b64 s[44:45], 0
	s_and_saveexec_b64 s[46:47], vcc
	s_xor_b64 s[46:47], exec, s[46:47]
	s_cbranch_execz .LBB167_21
; %bb.20:                               ;   in Loop: Header=BB167_19 Depth=3
	v_add_u32_e32 v15, 1, v15
	s_mov_b64 s[44:45], exec
	v_and_b32_e32 v15, 0x3ff, v15
                                        ; implicit-def: $vgpr17
	s_andn2_saveexec_b64 s[46:47], s[46:47]
	s_cbranch_execz .LBB167_23
	s_branch .LBB167_22
.LBB167_21:                             ;   in Loop: Header=BB167_19 Depth=3
	s_andn2_saveexec_b64 s[46:47], s[46:47]
	s_cbranch_execz .LBB167_23
.LBB167_22:                             ;   in Loop: Header=BB167_19 Depth=3
	v_mov_b32_e32 v18, s33
	ds_cmpst_rtn_b32 v17, v17, v18, v16
	s_andn2_b64 s[44:45], s[44:45], exec
	s_waitcnt lgkmcnt(0)
	v_cmp_ne_u32_e32 vcc, s33, v17
	s_and_b64 s[48:49], vcc, exec
	s_or_b64 s[44:45], s[44:45], s[48:49]
.LBB167_23:                             ;   in Loop: Header=BB167_19 Depth=3
	s_or_b64 exec, exec, s[46:47]
	s_mov_b64 s[46:47], -1
                                        ; implicit-def: $vgpr17
                                        ; implicit-def: $vgpr18
	s_and_saveexec_b64 s[48:49], s[44:45]
	s_cbranch_execz .LBB167_18
; %bb.24:                               ;   in Loop: Header=BB167_19 Depth=3
	v_lshl_add_u32 v17, v15, 2, 0
	ds_read_b32 v18, v17
	s_waitcnt lgkmcnt(0)
	v_cmp_eq_u32_e32 vcc, v18, v16
	s_orn2_b64 s[46:47], vcc, exec
	s_branch .LBB167_18
.LBB167_25:
	s_or_b64 exec, exec, s[2:3]
.LBB167_26:
	s_andn2_b64 vcc, exec, s[4:5]
	s_cbranch_vccnz .LBB167_41
; %bb.27:
	s_waitcnt lgkmcnt(0)
	s_ashr_i32 s29, s28, 31
	s_lshl_b64 s[0:1], s[28:29], 3
	s_add_u32 s0, s38, s0
	s_addc_u32 s1, s39, s1
	s_load_dwordx4 s[4:7], s[0:1], 0x0
	v_subrev_co_u32_e32 v2, vcc, s19, v0
	s_nop 1
	v_subb_co_u32_e64 v3, s[0:1], 0, 0, vcc
	s_waitcnt lgkmcnt(0)
	s_sub_u32 s0, s6, s19
	s_subb_u32 s1, s7, 0
	v_lshl_add_u64 v[2:3], s[4:5], 0, v[2:3]
	v_cmp_gt_i64_e32 vcc, s[0:1], v[2:3]
	s_and_saveexec_b64 s[2:3], vcc
	s_cbranch_execz .LBB167_40
; %bb.28:
	s_mov_b64 s[4:5], 0
	s_movk_i32 s24, 0x89
	s_mov_b64 s[6:7], 0x200
	s_branch .LBB167_31
.LBB167_29:                             ;   in Loop: Header=BB167_31 Depth=1
	s_or_b64 exec, exec, s[10:11]
.LBB167_30:                             ;   in Loop: Header=BB167_31 Depth=1
	s_or_b64 exec, exec, s[8:9]
	s_waitcnt vmcnt(0)
	v_mul_f32_e32 v4, v11, v4
	v_lshl_add_u32 v5, v5, 2, 0
	ds_add_f32 v5, v4 offset:4096
	v_lshl_add_u64 v[2:3], v[2:3], 0, s[6:7]
	v_cmp_le_i64_e32 vcc, s[0:1], v[2:3]
	s_or_b64 s[4:5], vcc, s[4:5]
	s_andn2_b64 exec, exec, s[4:5]
	s_cbranch_execz .LBB167_40
.LBB167_31:                             ; =>This Loop Header: Depth=1
                                        ;     Child Loop BB167_34 Depth 2
	v_lshlrev_b64 v[4:5], 2, v[2:3]
	v_lshl_add_u64 v[6:7], s[20:21], 0, v[4:5]
	global_load_dword v6, v[6:7], off
	v_lshl_add_u64 v[4:5], s[22:23], 0, v[4:5]
	global_load_dword v4, v[4:5], off
	s_waitcnt vmcnt(1)
	v_subrev_u32_e32 v6, s19, v6
	v_mul_lo_u32 v5, v6, s24
	v_and_b32_e32 v5, 0x3ff, v5
	v_lshl_add_u32 v7, v5, 2, 0
	ds_read_b32 v8, v7
	s_waitcnt lgkmcnt(0)
	v_cmp_ne_u32_e32 vcc, v8, v6
	s_and_saveexec_b64 s[8:9], vcc
	s_cbranch_execz .LBB167_30
; %bb.32:                               ;   in Loop: Header=BB167_31 Depth=1
	s_mov_b64 s[10:11], 0
	s_branch .LBB167_34
.LBB167_33:                             ;   in Loop: Header=BB167_34 Depth=2
	s_or_b64 exec, exec, s[16:17]
	s_and_b64 s[12:13], exec, s[14:15]
	s_or_b64 s[10:11], s[12:13], s[10:11]
	s_andn2_b64 exec, exec, s[10:11]
	s_cbranch_execz .LBB167_29
.LBB167_34:                             ;   Parent Loop BB167_31 Depth=1
                                        ; =>  This Inner Loop Header: Depth=2
	v_cmp_ne_u32_e32 vcc, s33, v8
	s_mov_b64 s[12:13], 0
	s_and_saveexec_b64 s[14:15], vcc
	s_xor_b64 s[14:15], exec, s[14:15]
	s_cbranch_execz .LBB167_36
; %bb.35:                               ;   in Loop: Header=BB167_34 Depth=2
	v_add_u32_e32 v5, 1, v5
	s_mov_b64 s[12:13], exec
	v_and_b32_e32 v5, 0x3ff, v5
                                        ; implicit-def: $vgpr7
	s_andn2_saveexec_b64 s[14:15], s[14:15]
	s_cbranch_execz .LBB167_38
	s_branch .LBB167_37
.LBB167_36:                             ;   in Loop: Header=BB167_34 Depth=2
	s_andn2_saveexec_b64 s[14:15], s[14:15]
	s_cbranch_execz .LBB167_38
.LBB167_37:                             ;   in Loop: Header=BB167_34 Depth=2
	v_mov_b32_e32 v8, s33
	ds_cmpst_rtn_b32 v7, v7, v8, v6
	s_andn2_b64 s[12:13], s[12:13], exec
	s_waitcnt lgkmcnt(0)
	v_cmp_ne_u32_e32 vcc, s33, v7
	s_and_b64 s[16:17], vcc, exec
	s_or_b64 s[12:13], s[12:13], s[16:17]
.LBB167_38:                             ;   in Loop: Header=BB167_34 Depth=2
	s_or_b64 exec, exec, s[14:15]
	s_mov_b64 s[14:15], -1
                                        ; implicit-def: $vgpr7
                                        ; implicit-def: $vgpr8
	s_and_saveexec_b64 s[16:17], s[12:13]
	s_cbranch_execz .LBB167_33
; %bb.39:                               ;   in Loop: Header=BB167_34 Depth=2
	v_lshl_add_u32 v7, v5, 2, 0
	ds_read_b32 v8, v7
	s_waitcnt lgkmcnt(0)
	v_cmp_eq_u32_e32 vcc, v8, v6
	s_orn2_b64 s[14:15], vcc, exec
	s_branch .LBB167_33
.LBB167_40:
	s_or_b64 exec, exec, s[2:3]
.LBB167_41:
	v_mbcnt_lo_u32_b32 v2, -1, 0
	v_mbcnt_hi_u32_b32 v2, -1, v2
	v_lshrrev_b32_e32 v4, 4, v0
	v_sub_u32_e32 v2, 63, v2
	v_and_b32_e32 v4, 28, v4
	s_movk_i32 s0, 0x1ff
	s_movk_i32 s4, 0x7f
	;; [unrolled: 1-line block ×7, first 2 shown]
	v_mov_b32_e32 v6, 0
	v_lshrrev_b64 v[2:3], v2, -1
	v_add_u32_e32 v7, 0, v4
	v_cmp_eq_u32_e64 s[0:1], s0, v0
	v_cmp_lt_u32_e64 s[2:3], 63, v0
	v_cmp_lt_u32_e64 s[4:5], s4, v0
	;; [unrolled: 1-line block ×7, first 2 shown]
	s_mov_b64 s[16:17], 0
	v_mov_b32_e32 v8, 0
	s_waitcnt lgkmcnt(0)
	s_barrier
	s_branch .LBB167_43
.LBB167_42:                             ;   in Loop: Header=BB167_43 Depth=1
	s_or_b64 exec, exec, s[20:21]
	s_waitcnt lgkmcnt(0)
	s_barrier
	ds_read_b32 v4, v6 offset:8220
	v_add_co_u32_e32 v1, vcc, 0x200, v1
	s_xor_b64 s[20:21], vcc, -1
	s_and_b64 s[20:21], exec, s[20:21]
	s_waitcnt lgkmcnt(0)
	v_add_u32_e32 v8, v4, v8
	s_or_b64 s[16:17], s[20:21], s[16:17]
	v_add_u32_e32 v10, 0x800, v10
	s_andn2_b64 exec, exec, s[16:17]
	s_cbranch_execz .LBB167_61
.LBB167_43:                             ; =>This Inner Loop Header: Depth=1
	ds_read2st64_b32 v[4:5], v10 offset1:16
	s_waitcnt lgkmcnt(0)
	s_barrier
	v_cmp_gt_i32_e32 vcc, s33, v4
	s_bcnt1_i32_b64 s19, vcc
	s_nop 0
	v_and_b32_e32 v11, vcc_lo, v2
	v_and_b32_e32 v9, vcc_hi, v3
	v_bcnt_u32_b32 v11, v11, 0
	v_bcnt_u32_b32 v9, v9, v11
	v_mov_b32_e32 v11, s19
	ds_write_b32 v7, v11 offset:8192
	s_waitcnt lgkmcnt(0)
	s_barrier
	s_and_saveexec_b64 s[20:21], s[2:3]
	s_cbranch_execz .LBB167_52
; %bb.44:                               ;   in Loop: Header=BB167_43 Depth=1
	ds_read_b32 v11, v6 offset:8192
	s_waitcnt lgkmcnt(0)
	v_add_u32_e32 v9, v11, v9
	s_or_b64 exec, exec, s[20:21]
	s_and_saveexec_b64 s[20:21], s[4:5]
	s_cbranch_execnz .LBB167_53
.LBB167_45:                             ;   in Loop: Header=BB167_43 Depth=1
	s_or_b64 exec, exec, s[20:21]
	s_and_saveexec_b64 s[20:21], s[6:7]
	s_cbranch_execz .LBB167_54
.LBB167_46:                             ;   in Loop: Header=BB167_43 Depth=1
	ds_read_b32 v11, v6 offset:8200
	s_waitcnt lgkmcnt(0)
	v_add_u32_e32 v9, v11, v9
	s_or_b64 exec, exec, s[20:21]
	s_and_saveexec_b64 s[20:21], s[8:9]
	s_cbranch_execnz .LBB167_55
.LBB167_47:                             ;   in Loop: Header=BB167_43 Depth=1
	s_or_b64 exec, exec, s[20:21]
	s_and_saveexec_b64 s[20:21], s[10:11]
	s_cbranch_execz .LBB167_56
.LBB167_48:                             ;   in Loop: Header=BB167_43 Depth=1
	ds_read_b32 v11, v6 offset:8208
	s_waitcnt lgkmcnt(0)
	v_add_u32_e32 v9, v11, v9
	s_or_b64 exec, exec, s[20:21]
	s_and_saveexec_b64 s[20:21], s[12:13]
	s_cbranch_execnz .LBB167_57
.LBB167_49:                             ;   in Loop: Header=BB167_43 Depth=1
	s_or_b64 exec, exec, s[20:21]
	s_and_saveexec_b64 s[20:21], s[14:15]
	s_cbranch_execz .LBB167_58
.LBB167_50:                             ;   in Loop: Header=BB167_43 Depth=1
	ds_read_b32 v11, v6 offset:8216
	s_waitcnt lgkmcnt(0)
	v_add_u32_e32 v9, v11, v9
	s_or_b64 exec, exec, s[20:21]
	s_and_saveexec_b64 s[20:21], vcc
	s_cbranch_execnz .LBB167_59
.LBB167_51:                             ;   in Loop: Header=BB167_43 Depth=1
	s_or_b64 exec, exec, s[20:21]
	s_and_saveexec_b64 s[20:21], s[0:1]
	s_cbranch_execz .LBB167_42
	s_branch .LBB167_60
.LBB167_52:                             ;   in Loop: Header=BB167_43 Depth=1
	s_or_b64 exec, exec, s[20:21]
	s_and_saveexec_b64 s[20:21], s[4:5]
	s_cbranch_execz .LBB167_45
.LBB167_53:                             ;   in Loop: Header=BB167_43 Depth=1
	ds_read_b32 v11, v6 offset:8196
	s_waitcnt lgkmcnt(0)
	v_add_u32_e32 v9, v11, v9
	s_or_b64 exec, exec, s[20:21]
	s_and_saveexec_b64 s[20:21], s[6:7]
	s_cbranch_execnz .LBB167_46
.LBB167_54:                             ;   in Loop: Header=BB167_43 Depth=1
	s_or_b64 exec, exec, s[20:21]
	s_and_saveexec_b64 s[20:21], s[8:9]
	s_cbranch_execz .LBB167_47
.LBB167_55:                             ;   in Loop: Header=BB167_43 Depth=1
	ds_read_b32 v11, v6 offset:8204
	s_waitcnt lgkmcnt(0)
	v_add_u32_e32 v9, v11, v9
	s_or_b64 exec, exec, s[20:21]
	s_and_saveexec_b64 s[20:21], s[10:11]
	s_cbranch_execnz .LBB167_48
.LBB167_56:                             ;   in Loop: Header=BB167_43 Depth=1
	s_or_b64 exec, exec, s[20:21]
	s_and_saveexec_b64 s[20:21], s[12:13]
	s_cbranch_execz .LBB167_49
.LBB167_57:                             ;   in Loop: Header=BB167_43 Depth=1
	ds_read_b32 v11, v6 offset:8212
	s_waitcnt lgkmcnt(0)
	v_add_u32_e32 v9, v11, v9
	s_or_b64 exec, exec, s[20:21]
	s_and_saveexec_b64 s[20:21], s[14:15]
	s_cbranch_execnz .LBB167_50
.LBB167_58:                             ;   in Loop: Header=BB167_43 Depth=1
	s_or_b64 exec, exec, s[20:21]
	s_and_saveexec_b64 s[20:21], vcc
	s_cbranch_execz .LBB167_51
.LBB167_59:                             ;   in Loop: Header=BB167_43 Depth=1
	v_add3_u32 v11, v8, -1, v9
	v_lshl_add_u32 v11, v11, 2, 0
	v_add_u32_e32 v12, v8, v9
	v_lshl_add_u32 v12, v12, 2, 0
	ds_write_b32 v11, v4
	ds_write_b32 v12, v5 offset:4092
	s_or_b64 exec, exec, s[20:21]
	s_and_saveexec_b64 s[20:21], s[0:1]
	s_cbranch_execz .LBB167_42
.LBB167_60:                             ;   in Loop: Header=BB167_43 Depth=1
	ds_write_b32 v6, v9 offset:8220
	s_branch .LBB167_42
.LBB167_61:
	s_or_b64 exec, exec, s[16:17]
	s_ashr_i32 s29, s28, 31
	s_lshl_b64 s[0:1], s[28:29], 3
	s_add_u32 s4, s36, s0
	s_addc_u32 s5, s37, s1
	s_load_dwordx4 s[0:3], s[4:5], 0x0
	s_waitcnt lgkmcnt(0)
	s_sub_i32 s8, s2, s0
	v_cmp_gt_i32_e32 vcc, s8, v0
	s_and_saveexec_b64 s[4:5], vcc
	s_cbranch_execz .LBB167_71
; %bb.62:
	s_sub_u32 s4, s0, s18
	s_subb_u32 s5, s1, 0
	s_and_b32 s10, s8, 7
	s_sub_i32 s0, s0, s2
	s_cmp_lt_u32 s0, -7
	s_cselect_b64 s[0:1], -1, 0
	s_and_b32 s11, s8, -8
	s_cmp_lg_u32 s10, 0
	v_cndmask_b32_e64 v1, 0, 1, s[0:1]
	s_cselect_b64 s[2:3], -1, 0
	v_cmp_ne_u32_e64 s[0:1], 1, v1
	v_cndmask_b32_e64 v1, 0, 1, s[2:3]
	s_mov_b32 s9, 0
	s_mov_b64 s[6:7], 0
	v_cmp_ne_u32_e64 s[2:3], 1, v1
	s_branch .LBB167_64
.LBB167_63:                             ;   in Loop: Header=BB167_64 Depth=1
	v_add_u32_e32 v0, 0x200, v0
	v_cmp_le_i32_e32 vcc, s8, v0
	v_lshl_add_u64 v[4:5], v[4:5], 2, s[34:35]
	s_or_b64 s[6:7], vcc, s[6:7]
	s_waitcnt lgkmcnt(0)
	global_store_dword v[4:5], v3, off
	s_andn2_b64 exec, exec, s[6:7]
	s_cbranch_execz .LBB167_71
.LBB167_64:                             ; =>This Loop Header: Depth=1
                                        ;     Child Loop BB167_66 Depth 2
                                        ;     Child Loop BB167_70 Depth 2
	v_lshl_add_u32 v1, v0, 2, 0
	ds_read2st64_b32 v[2:3], v1 offset1:16
	s_and_b64 vcc, exec, s[0:1]
	v_mov_b64_e32 v[4:5], s[4:5]
	s_mov_b32 s12, 0
	s_cbranch_vccnz .LBB167_68
; %bb.65:                               ;   in Loop: Header=BB167_64 Depth=1
	s_mov_b32 s13, 0
	v_mov_b64_e32 v[4:5], s[4:5]
.LBB167_66:                             ;   Parent Loop BB167_64 Depth=1
                                        ; =>  This Inner Loop Header: Depth=2
	v_mov_b32_e32 v1, s13
	ds_read2_b32 v[22:23], v1 offset1:1
	ds_read2_b32 v[24:25], v1 offset0:2 offset1:3
	ds_read2_b32 v[26:27], v1 offset0:4 offset1:5
	;; [unrolled: 1-line block ×3, first 2 shown]
	v_mov_b32_e32 v7, s9
	s_waitcnt lgkmcnt(3)
	v_cmp_gt_i32_e32 vcc, v2, v22
	v_mov_b32_e32 v9, s9
	v_mov_b32_e32 v11, s9
	v_cndmask_b32_e64 v6, 0, 1, vcc
	v_cmp_gt_i32_e32 vcc, v2, v23
	v_lshl_add_u64 v[4:5], v[4:5], 0, v[6:7]
	v_mov_b32_e32 v13, s9
	v_cndmask_b32_e64 v8, 0, 1, vcc
	s_waitcnt lgkmcnt(2)
	v_cmp_gt_i32_e32 vcc, v2, v24
	v_lshl_add_u64 v[4:5], v[4:5], 0, v[8:9]
	v_mov_b32_e32 v15, s9
	v_cndmask_b32_e64 v10, 0, 1, vcc
	v_cmp_gt_i32_e32 vcc, v2, v25
	v_lshl_add_u64 v[4:5], v[4:5], 0, v[10:11]
	v_mov_b32_e32 v17, s9
	v_cndmask_b32_e64 v12, 0, 1, vcc
	s_waitcnt lgkmcnt(1)
	v_cmp_gt_i32_e32 vcc, v2, v26
	v_lshl_add_u64 v[4:5], v[4:5], 0, v[12:13]
	;; [unrolled: 9-line block ×3, first 2 shown]
	s_add_i32 s12, s12, 8
	v_cndmask_b32_e64 v18, 0, 1, vcc
	v_cmp_gt_i32_e32 vcc, v2, v29
	s_add_i32 s13, s13, 32
	v_lshl_add_u64 v[4:5], v[4:5], 0, v[18:19]
	v_cndmask_b32_e64 v20, 0, 1, vcc
	s_cmp_eq_u32 s11, s12
	v_lshl_add_u64 v[4:5], v[4:5], 0, v[20:21]
	s_cbranch_scc0 .LBB167_66
; %bb.67:                               ;   in Loop: Header=BB167_64 Depth=1
	s_mov_b32 s12, s11
.LBB167_68:                             ;   in Loop: Header=BB167_64 Depth=1
	s_and_b64 vcc, exec, s[2:3]
	s_cbranch_vccnz .LBB167_63
; %bb.69:                               ;   in Loop: Header=BB167_64 Depth=1
	s_lshl_b32 s12, s12, 2
	s_add_i32 s12, s12, 0
	s_mov_b32 s13, s10
.LBB167_70:                             ;   Parent Loop BB167_64 Depth=1
                                        ; =>  This Inner Loop Header: Depth=2
	v_mov_b32_e32 v1, s12
	ds_read_b32 v1, v1
	v_mov_b32_e32 v7, s9
	s_add_i32 s12, s12, 4
	s_add_i32 s13, s13, -1
	s_cmp_lg_u32 s13, 0
	s_waitcnt lgkmcnt(0)
	v_cmp_gt_i32_e32 vcc, v2, v1
	s_nop 1
	v_cndmask_b32_e64 v6, 0, 1, vcc
	v_lshl_add_u64 v[4:5], v[4:5], 0, v[6:7]
	s_cbranch_scc1 .LBB167_70
	s_branch .LBB167_63
.LBB167_71:
	s_endpgm
	.section	.rodata,"a",@progbits
	.p2align	6, 0x0
	.amdhsa_kernel _ZN9rocsparseL41csrgemm_numeric_fill_block_per_row_kernelILj512ELj32ELj1024ELj137ELj64ElifEEvT5_PKS1_S3_NS_24const_host_device_scalarIT6_EEPKT4_S3_PKS5_S9_S3_SB_S6_S9_S3_SB_S9_S3_PS5_21rocsparse_index_base_SD_SD_SD_bbb
		.amdhsa_group_segment_fixed_size 0
		.amdhsa_private_segment_fixed_size 0
		.amdhsa_kernarg_size 156
		.amdhsa_user_sgpr_count 2
		.amdhsa_user_sgpr_dispatch_ptr 0
		.amdhsa_user_sgpr_queue_ptr 0
		.amdhsa_user_sgpr_kernarg_segment_ptr 1
		.amdhsa_user_sgpr_dispatch_id 0
		.amdhsa_user_sgpr_kernarg_preload_length 0
		.amdhsa_user_sgpr_kernarg_preload_offset 0
		.amdhsa_user_sgpr_private_segment_size 0
		.amdhsa_uses_dynamic_stack 0
		.amdhsa_enable_private_segment 0
		.amdhsa_system_sgpr_workgroup_id_x 1
		.amdhsa_system_sgpr_workgroup_id_y 0
		.amdhsa_system_sgpr_workgroup_id_z 0
		.amdhsa_system_sgpr_workgroup_info 0
		.amdhsa_system_vgpr_workitem_id 0
		.amdhsa_next_free_vgpr 30
		.amdhsa_next_free_sgpr 51
		.amdhsa_accum_offset 32
		.amdhsa_reserve_vcc 1
		.amdhsa_float_round_mode_32 0
		.amdhsa_float_round_mode_16_64 0
		.amdhsa_float_denorm_mode_32 3
		.amdhsa_float_denorm_mode_16_64 3
		.amdhsa_dx10_clamp 1
		.amdhsa_ieee_mode 1
		.amdhsa_fp16_overflow 0
		.amdhsa_tg_split 0
		.amdhsa_exception_fp_ieee_invalid_op 0
		.amdhsa_exception_fp_denorm_src 0
		.amdhsa_exception_fp_ieee_div_zero 0
		.amdhsa_exception_fp_ieee_overflow 0
		.amdhsa_exception_fp_ieee_underflow 0
		.amdhsa_exception_fp_ieee_inexact 0
		.amdhsa_exception_int_div_zero 0
	.end_amdhsa_kernel
	.section	.text._ZN9rocsparseL41csrgemm_numeric_fill_block_per_row_kernelILj512ELj32ELj1024ELj137ELj64ElifEEvT5_PKS1_S3_NS_24const_host_device_scalarIT6_EEPKT4_S3_PKS5_S9_S3_SB_S6_S9_S3_SB_S9_S3_PS5_21rocsparse_index_base_SD_SD_SD_bbb,"axG",@progbits,_ZN9rocsparseL41csrgemm_numeric_fill_block_per_row_kernelILj512ELj32ELj1024ELj137ELj64ElifEEvT5_PKS1_S3_NS_24const_host_device_scalarIT6_EEPKT4_S3_PKS5_S9_S3_SB_S6_S9_S3_SB_S9_S3_PS5_21rocsparse_index_base_SD_SD_SD_bbb,comdat
.Lfunc_end167:
	.size	_ZN9rocsparseL41csrgemm_numeric_fill_block_per_row_kernelILj512ELj32ELj1024ELj137ELj64ElifEEvT5_PKS1_S3_NS_24const_host_device_scalarIT6_EEPKT4_S3_PKS5_S9_S3_SB_S6_S9_S3_SB_S9_S3_PS5_21rocsparse_index_base_SD_SD_SD_bbb, .Lfunc_end167-_ZN9rocsparseL41csrgemm_numeric_fill_block_per_row_kernelILj512ELj32ELj1024ELj137ELj64ElifEEvT5_PKS1_S3_NS_24const_host_device_scalarIT6_EEPKT4_S3_PKS5_S9_S3_SB_S6_S9_S3_SB_S9_S3_PS5_21rocsparse_index_base_SD_SD_SD_bbb
                                        ; -- End function
	.set _ZN9rocsparseL41csrgemm_numeric_fill_block_per_row_kernelILj512ELj32ELj1024ELj137ELj64ElifEEvT5_PKS1_S3_NS_24const_host_device_scalarIT6_EEPKT4_S3_PKS5_S9_S3_SB_S6_S9_S3_SB_S9_S3_PS5_21rocsparse_index_base_SD_SD_SD_bbb.num_vgpr, 30
	.set _ZN9rocsparseL41csrgemm_numeric_fill_block_per_row_kernelILj512ELj32ELj1024ELj137ELj64ElifEEvT5_PKS1_S3_NS_24const_host_device_scalarIT6_EEPKT4_S3_PKS5_S9_S3_SB_S6_S9_S3_SB_S9_S3_PS5_21rocsparse_index_base_SD_SD_SD_bbb.num_agpr, 0
	.set _ZN9rocsparseL41csrgemm_numeric_fill_block_per_row_kernelILj512ELj32ELj1024ELj137ELj64ElifEEvT5_PKS1_S3_NS_24const_host_device_scalarIT6_EEPKT4_S3_PKS5_S9_S3_SB_S6_S9_S3_SB_S9_S3_PS5_21rocsparse_index_base_SD_SD_SD_bbb.numbered_sgpr, 51
	.set _ZN9rocsparseL41csrgemm_numeric_fill_block_per_row_kernelILj512ELj32ELj1024ELj137ELj64ElifEEvT5_PKS1_S3_NS_24const_host_device_scalarIT6_EEPKT4_S3_PKS5_S9_S3_SB_S6_S9_S3_SB_S9_S3_PS5_21rocsparse_index_base_SD_SD_SD_bbb.num_named_barrier, 0
	.set _ZN9rocsparseL41csrgemm_numeric_fill_block_per_row_kernelILj512ELj32ELj1024ELj137ELj64ElifEEvT5_PKS1_S3_NS_24const_host_device_scalarIT6_EEPKT4_S3_PKS5_S9_S3_SB_S6_S9_S3_SB_S9_S3_PS5_21rocsparse_index_base_SD_SD_SD_bbb.private_seg_size, 0
	.set _ZN9rocsparseL41csrgemm_numeric_fill_block_per_row_kernelILj512ELj32ELj1024ELj137ELj64ElifEEvT5_PKS1_S3_NS_24const_host_device_scalarIT6_EEPKT4_S3_PKS5_S9_S3_SB_S6_S9_S3_SB_S9_S3_PS5_21rocsparse_index_base_SD_SD_SD_bbb.uses_vcc, 1
	.set _ZN9rocsparseL41csrgemm_numeric_fill_block_per_row_kernelILj512ELj32ELj1024ELj137ELj64ElifEEvT5_PKS1_S3_NS_24const_host_device_scalarIT6_EEPKT4_S3_PKS5_S9_S3_SB_S6_S9_S3_SB_S9_S3_PS5_21rocsparse_index_base_SD_SD_SD_bbb.uses_flat_scratch, 0
	.set _ZN9rocsparseL41csrgemm_numeric_fill_block_per_row_kernelILj512ELj32ELj1024ELj137ELj64ElifEEvT5_PKS1_S3_NS_24const_host_device_scalarIT6_EEPKT4_S3_PKS5_S9_S3_SB_S6_S9_S3_SB_S9_S3_PS5_21rocsparse_index_base_SD_SD_SD_bbb.has_dyn_sized_stack, 0
	.set _ZN9rocsparseL41csrgemm_numeric_fill_block_per_row_kernelILj512ELj32ELj1024ELj137ELj64ElifEEvT5_PKS1_S3_NS_24const_host_device_scalarIT6_EEPKT4_S3_PKS5_S9_S3_SB_S6_S9_S3_SB_S9_S3_PS5_21rocsparse_index_base_SD_SD_SD_bbb.has_recursion, 0
	.set _ZN9rocsparseL41csrgemm_numeric_fill_block_per_row_kernelILj512ELj32ELj1024ELj137ELj64ElifEEvT5_PKS1_S3_NS_24const_host_device_scalarIT6_EEPKT4_S3_PKS5_S9_S3_SB_S6_S9_S3_SB_S9_S3_PS5_21rocsparse_index_base_SD_SD_SD_bbb.has_indirect_call, 0
	.section	.AMDGPU.csdata,"",@progbits
; Kernel info:
; codeLenInByte = 2588
; TotalNumSgprs: 57
; NumVgprs: 30
; NumAgprs: 0
; TotalNumVgprs: 30
; ScratchSize: 0
; MemoryBound: 0
; FloatMode: 240
; IeeeMode: 1
; LDSByteSize: 0 bytes/workgroup (compile time only)
; SGPRBlocks: 7
; VGPRBlocks: 3
; NumSGPRsForWavesPerEU: 57
; NumVGPRsForWavesPerEU: 30
; AccumOffset: 32
; Occupancy: 8
; WaveLimiterHint : 1
; COMPUTE_PGM_RSRC2:SCRATCH_EN: 0
; COMPUTE_PGM_RSRC2:USER_SGPR: 2
; COMPUTE_PGM_RSRC2:TRAP_HANDLER: 0
; COMPUTE_PGM_RSRC2:TGID_X_EN: 1
; COMPUTE_PGM_RSRC2:TGID_Y_EN: 0
; COMPUTE_PGM_RSRC2:TGID_Z_EN: 0
; COMPUTE_PGM_RSRC2:TIDIG_COMP_CNT: 0
; COMPUTE_PGM_RSRC3_GFX90A:ACCUM_OFFSET: 7
; COMPUTE_PGM_RSRC3_GFX90A:TG_SPLIT: 0
	.section	.text._ZN9rocsparseL41csrgemm_numeric_fill_block_per_row_kernelILj1024ELj32ELj2048ELj137ELj32ElifEEvT5_PKS1_S3_NS_24const_host_device_scalarIT6_EEPKT4_S3_PKS5_S9_S3_SB_S6_S9_S3_SB_S9_S3_PS5_21rocsparse_index_base_SD_SD_SD_bbb,"axG",@progbits,_ZN9rocsparseL41csrgemm_numeric_fill_block_per_row_kernelILj1024ELj32ELj2048ELj137ELj32ElifEEvT5_PKS1_S3_NS_24const_host_device_scalarIT6_EEPKT4_S3_PKS5_S9_S3_SB_S6_S9_S3_SB_S9_S3_PS5_21rocsparse_index_base_SD_SD_SD_bbb,comdat
	.globl	_ZN9rocsparseL41csrgemm_numeric_fill_block_per_row_kernelILj1024ELj32ELj2048ELj137ELj32ElifEEvT5_PKS1_S3_NS_24const_host_device_scalarIT6_EEPKT4_S3_PKS5_S9_S3_SB_S6_S9_S3_SB_S9_S3_PS5_21rocsparse_index_base_SD_SD_SD_bbb ; -- Begin function _ZN9rocsparseL41csrgemm_numeric_fill_block_per_row_kernelILj1024ELj32ELj2048ELj137ELj32ElifEEvT5_PKS1_S3_NS_24const_host_device_scalarIT6_EEPKT4_S3_PKS5_S9_S3_SB_S6_S9_S3_SB_S9_S3_PS5_21rocsparse_index_base_SD_SD_SD_bbb
	.p2align	8
	.type	_ZN9rocsparseL41csrgemm_numeric_fill_block_per_row_kernelILj1024ELj32ELj2048ELj137ELj32ElifEEvT5_PKS1_S3_NS_24const_host_device_scalarIT6_EEPKT4_S3_PKS5_S9_S3_SB_S6_S9_S3_SB_S9_S3_PS5_21rocsparse_index_base_SD_SD_SD_bbb,@function
_ZN9rocsparseL41csrgemm_numeric_fill_block_per_row_kernelILj1024ELj32ELj2048ELj137ELj32ElifEEvT5_PKS1_S3_NS_24const_host_device_scalarIT6_EEPKT4_S3_PKS5_S9_S3_SB_S6_S9_S3_SB_S9_S3_PS5_21rocsparse_index_base_SD_SD_SD_bbb: ; @_ZN9rocsparseL41csrgemm_numeric_fill_block_per_row_kernelILj1024ELj32ELj2048ELj137ELj32ElifEEvT5_PKS1_S3_NS_24const_host_device_scalarIT6_EEPKT4_S3_PKS5_S9_S3_SB_S6_S9_S3_SB_S9_S3_PS5_21rocsparse_index_base_SD_SD_SD_bbb
; %bb.0:
	s_load_dword s3, s[0:1], 0x98
	s_load_dwordx4 s[64:67], s[0:1], 0x88
	s_load_dwordx2 s[4:5], s[0:1], 0x18
	s_load_dwordx2 s[16:17], s[0:1], 0x50
	s_waitcnt lgkmcnt(0)
	s_bitcmp1_b32 s3, 0
	s_cselect_b64 s[6:7], -1, 0
	s_bitcmp1_b32 s3, 16
	s_cselect_b64 s[18:19], -1, 0
	s_xor_b64 s[8:9], s[6:7], -1
	s_or_b64 s[8:9], s[18:19], s[8:9]
	s_and_b64 vcc, exec, s[8:9]
	s_cbranch_vccnz .LBB168_2
; %bb.1:
	s_load_dword s4, s[4:5], 0x0
	s_waitcnt lgkmcnt(0)
	v_mov_b32_e32 v13, s4
	s_branch .LBB168_3
.LBB168_2:
	v_mov_b32_e32 v1, s4
	v_cndmask_b32_e64 v13, 0, v1, s[6:7]
.LBB168_3:
	s_load_dwordx2 s[68:69], s[0:1], 0x80
	s_load_dwordx2 s[70:71], s[0:1], 0x70
	;; [unrolled: 1-line block ×3, first 2 shown]
	s_load_dwordx4 s[24:27], s[0:1], 0x8
	s_load_dwordx8 s[8:15], s[0:1], 0x20
	s_bitcmp1_b32 s3, 8
	s_cselect_b64 s[4:5], -1, 0
	s_xor_b64 s[20:21], s[4:5], -1
	s_or_b64 s[18:19], s[18:19], s[20:21]
	s_and_b64 vcc, exec, s[18:19]
	s_cbranch_vccnz .LBB168_5
; %bb.4:
	s_load_dword s3, s[16:17], 0x0
	s_waitcnt lgkmcnt(0)
	v_mov_b32_e32 v11, s3
	s_branch .LBB168_6
.LBB168_5:
	v_mov_b32_e32 v1, s16
	v_cndmask_b32_e64 v11, 0, v1, s[4:5]
.LBB168_6:
	s_load_dwordx4 s[20:23], s[0:1], 0x40
	s_load_dword s33, s[0:1], 0x0
	s_load_dwordx4 s[16:19], s[0:1], 0x60
	v_or_b32_e32 v1, 0xfffffc00, v0
	v_lshl_add_u32 v10, v0, 2, 0
	s_mov_b64 s[0:1], 0
	s_waitcnt lgkmcnt(0)
	v_mov_b32_e32 v2, s33
	v_mov_b32_e32 v3, 0
	;; [unrolled: 1-line block ×4, first 2 shown]
.LBB168_7:                              ; =>This Inner Loop Header: Depth=1
	v_add_co_u32_e32 v5, vcc, 0x400, v5
	s_xor_b64 s[30:31], vcc, -1
	s_and_b64 s[30:31], exec, s[30:31]
	ds_write2st64_b32 v4, v2, v3 offset1:32
	s_or_b64 s[0:1], s[30:31], s[0:1]
	v_add_u32_e32 v4, 0x1000, v4
	s_andn2_b64 exec, exec, s[0:1]
	s_cbranch_execnz .LBB168_7
; %bb.8:
	s_or_b64 exec, exec, s[0:1]
	s_waitcnt lgkmcnt(0)
	s_barrier
	s_load_dword s0, s[24:25], 0x0
	s_mov_b32 s1, 0
	v_lshrrev_b32_e32 v12, 5, v0
	s_waitcnt lgkmcnt(0)
	s_add_i32 s0, s0, s2
	s_lshl_b64 s[0:1], s[0:1], 2
	s_add_u32 s0, s26, s0
	s_addc_u32 s1, s27, s1
	s_load_dword s72, s[0:1], 0x0
	s_and_b64 vcc, exec, s[6:7]
	s_cbranch_vccz .LBB168_26
; %bb.9:
	s_waitcnt lgkmcnt(0)
	s_ashr_i32 s73, s72, 31
	s_lshl_b64 s[0:1], s[72:73], 3
	s_add_u32 s0, s8, s0
	s_addc_u32 s1, s9, s1
	s_load_dwordx4 s[24:27], s[0:1], 0x0
	v_subrev_co_u32_e32 v2, vcc, s64, v12
	s_nop 1
	v_subb_co_u32_e64 v3, s[0:1], 0, 0, vcc
	s_waitcnt lgkmcnt(0)
	s_sub_u32 s0, s26, s64
	s_subb_u32 s1, s27, 0
	v_lshl_add_u64 v[2:3], s[24:25], 0, v[2:3]
	v_cmp_gt_i64_e32 vcc, s[0:1], v[2:3]
	s_and_saveexec_b64 s[2:3], vcc
	s_cbranch_execz .LBB168_25
; %bb.10:
	v_and_b32_e32 v4, 31, v0
	v_subrev_co_u32_e32 v4, vcc, s65, v4
	s_mov_b32 s40, s65
	s_nop 0
	v_subb_co_u32_e64 v5, s[6:7], 0, 0, vcc
	s_mov_b64 s[6:7], 0
	s_movk_i32 s41, 0x89
	s_branch .LBB168_12
.LBB168_11:                             ;   in Loop: Header=BB168_12 Depth=1
	s_or_b64 exec, exec, s[8:9]
	v_lshl_add_u64 v[2:3], v[2:3], 0, 32
	v_cmp_le_i64_e32 vcc, s[0:1], v[2:3]
	s_or_b64 s[6:7], vcc, s[6:7]
	s_andn2_b64 exec, exec, s[6:7]
	s_cbranch_execz .LBB168_25
.LBB168_12:                             ; =>This Loop Header: Depth=1
                                        ;     Child Loop BB168_16 Depth 2
                                        ;       Child Loop BB168_19 Depth 3
	v_lshl_add_u64 v[6:7], v[2:3], 2, s[10:11]
	global_load_dword v6, v[6:7], off
	s_waitcnt vmcnt(0)
	v_subrev_u32_e32 v6, s64, v6
	v_ashrrev_i32_e32 v7, 31, v6
	v_lshl_add_u64 v[6:7], v[6:7], 3, s[14:15]
	global_load_dwordx4 v[14:17], v[6:7], off
	s_waitcnt vmcnt(0)
	v_subrev_co_u32_e32 v6, vcc, s40, v16
	s_nop 1
	v_subbrev_co_u32_e32 v7, vcc, 0, v17, vcc
	v_lshl_add_u64 v[8:9], v[14:15], 0, v[4:5]
	v_cmp_lt_i64_e32 vcc, v[8:9], v[6:7]
	s_and_saveexec_b64 s[8:9], vcc
	s_cbranch_execz .LBB168_11
; %bb.13:                               ;   in Loop: Header=BB168_12 Depth=1
	v_lshl_add_u64 v[14:15], v[2:3], 2, s[12:13]
	global_load_dword v14, v[14:15], off
	s_mov_b64 s[24:25], 0
	s_waitcnt vmcnt(0)
	v_mul_f32_e32 v14, v13, v14
	s_branch .LBB168_16
.LBB168_14:                             ;   in Loop: Header=BB168_16 Depth=2
	s_or_b64 exec, exec, s[30:31]
.LBB168_15:                             ;   in Loop: Header=BB168_16 Depth=2
	s_or_b64 exec, exec, s[26:27]
	s_waitcnt vmcnt(0)
	v_mul_f32_e32 v15, v14, v15
	v_lshl_add_u32 v16, v16, 2, 0
	ds_add_f32 v16, v15 offset:8192
	v_lshl_add_u64 v[8:9], v[8:9], 0, 32
	v_cmp_ge_i64_e32 vcc, v[8:9], v[6:7]
	s_or_b64 s[24:25], vcc, s[24:25]
	s_andn2_b64 exec, exec, s[24:25]
	s_cbranch_execz .LBB168_11
.LBB168_16:                             ;   Parent Loop BB168_12 Depth=1
                                        ; =>  This Loop Header: Depth=2
                                        ;       Child Loop BB168_19 Depth 3
	v_lshlrev_b64 v[16:17], 2, v[8:9]
	v_lshl_add_u64 v[18:19], s[20:21], 0, v[16:17]
	global_load_dword v18, v[18:19], off
	v_lshl_add_u64 v[16:17], s[22:23], 0, v[16:17]
	global_load_dword v15, v[16:17], off
	s_waitcnt vmcnt(1)
	v_subrev_u32_e32 v17, s65, v18
	v_mul_lo_u32 v16, v17, s41
	v_and_b32_e32 v16, 0x7ff, v16
	v_lshl_add_u32 v18, v16, 2, 0
	ds_read_b32 v19, v18
	s_waitcnt lgkmcnt(0)
	v_cmp_ne_u32_e32 vcc, v19, v17
	s_and_saveexec_b64 s[26:27], vcc
	s_cbranch_execz .LBB168_15
; %bb.17:                               ;   in Loop: Header=BB168_16 Depth=2
	s_mov_b64 s[30:31], 0
	s_branch .LBB168_19
.LBB168_18:                             ;   in Loop: Header=BB168_19 Depth=3
	s_or_b64 exec, exec, s[38:39]
	s_and_b64 s[34:35], exec, s[36:37]
	s_or_b64 s[30:31], s[34:35], s[30:31]
	s_andn2_b64 exec, exec, s[30:31]
	s_cbranch_execz .LBB168_14
.LBB168_19:                             ;   Parent Loop BB168_12 Depth=1
                                        ;     Parent Loop BB168_16 Depth=2
                                        ; =>    This Inner Loop Header: Depth=3
	v_cmp_ne_u32_e32 vcc, s33, v19
	s_mov_b64 s[34:35], 0
	s_and_saveexec_b64 s[36:37], vcc
	s_xor_b64 s[36:37], exec, s[36:37]
	s_cbranch_execz .LBB168_21
; %bb.20:                               ;   in Loop: Header=BB168_19 Depth=3
	v_add_u32_e32 v16, 1, v16
	s_mov_b64 s[34:35], exec
	v_and_b32_e32 v16, 0x7ff, v16
                                        ; implicit-def: $vgpr18
	s_andn2_saveexec_b64 s[36:37], s[36:37]
	s_cbranch_execz .LBB168_23
	s_branch .LBB168_22
.LBB168_21:                             ;   in Loop: Header=BB168_19 Depth=3
	s_andn2_saveexec_b64 s[36:37], s[36:37]
	s_cbranch_execz .LBB168_23
.LBB168_22:                             ;   in Loop: Header=BB168_19 Depth=3
	v_mov_b32_e32 v19, s33
	ds_cmpst_rtn_b32 v18, v18, v19, v17
	s_andn2_b64 s[34:35], s[34:35], exec
	s_waitcnt lgkmcnt(0)
	v_cmp_ne_u32_e32 vcc, s33, v18
	s_and_b64 s[38:39], vcc, exec
	s_or_b64 s[34:35], s[34:35], s[38:39]
.LBB168_23:                             ;   in Loop: Header=BB168_19 Depth=3
	s_or_b64 exec, exec, s[36:37]
	s_mov_b64 s[36:37], -1
                                        ; implicit-def: $vgpr18
                                        ; implicit-def: $vgpr19
	s_and_saveexec_b64 s[38:39], s[34:35]
	s_cbranch_execz .LBB168_18
; %bb.24:                               ;   in Loop: Header=BB168_19 Depth=3
	v_lshl_add_u32 v18, v16, 2, 0
	ds_read_b32 v19, v18
	s_waitcnt lgkmcnt(0)
	v_cmp_eq_u32_e32 vcc, v19, v17
	s_orn2_b64 s[36:37], vcc, exec
	s_branch .LBB168_18
.LBB168_25:
	s_or_b64 exec, exec, s[2:3]
.LBB168_26:
	s_andn2_b64 vcc, exec, s[4:5]
	s_cbranch_vccnz .LBB168_41
; %bb.27:
	s_waitcnt lgkmcnt(0)
	s_ashr_i32 s73, s72, 31
	s_lshl_b64 s[0:1], s[72:73], 3
	s_add_u32 s0, s28, s0
	s_addc_u32 s1, s29, s1
	s_load_dwordx4 s[4:7], s[0:1], 0x0
	v_subrev_co_u32_e32 v2, vcc, s67, v0
	s_nop 1
	v_subb_co_u32_e64 v3, s[0:1], 0, 0, vcc
	s_waitcnt lgkmcnt(0)
	s_sub_u32 s0, s6, s67
	s_subb_u32 s1, s7, 0
	v_lshl_add_u64 v[2:3], s[4:5], 0, v[2:3]
	v_cmp_gt_i64_e32 vcc, s[0:1], v[2:3]
	s_and_saveexec_b64 s[2:3], vcc
	s_cbranch_execz .LBB168_40
; %bb.28:
	s_mov_b64 s[4:5], 0
	s_movk_i32 s22, 0x89
	s_mov_b64 s[6:7], 0x400
	s_branch .LBB168_31
.LBB168_29:                             ;   in Loop: Header=BB168_31 Depth=1
	s_or_b64 exec, exec, s[10:11]
.LBB168_30:                             ;   in Loop: Header=BB168_31 Depth=1
	s_or_b64 exec, exec, s[8:9]
	s_waitcnt vmcnt(0)
	v_mul_f32_e32 v4, v11, v4
	v_lshl_add_u32 v5, v5, 2, 0
	ds_add_f32 v5, v4 offset:8192
	v_lshl_add_u64 v[2:3], v[2:3], 0, s[6:7]
	v_cmp_le_i64_e32 vcc, s[0:1], v[2:3]
	s_or_b64 s[4:5], vcc, s[4:5]
	s_andn2_b64 exec, exec, s[4:5]
	s_cbranch_execz .LBB168_40
.LBB168_31:                             ; =>This Loop Header: Depth=1
                                        ;     Child Loop BB168_34 Depth 2
	v_lshlrev_b64 v[4:5], 2, v[2:3]
	v_lshl_add_u64 v[6:7], s[16:17], 0, v[4:5]
	global_load_dword v6, v[6:7], off
	v_lshl_add_u64 v[4:5], s[18:19], 0, v[4:5]
	global_load_dword v4, v[4:5], off
	s_waitcnt vmcnt(1)
	v_subrev_u32_e32 v6, s67, v6
	v_mul_lo_u32 v5, v6, s22
	v_and_b32_e32 v5, 0x7ff, v5
	v_lshl_add_u32 v7, v5, 2, 0
	ds_read_b32 v8, v7
	s_waitcnt lgkmcnt(0)
	v_cmp_ne_u32_e32 vcc, v8, v6
	s_and_saveexec_b64 s[8:9], vcc
	s_cbranch_execz .LBB168_30
; %bb.32:                               ;   in Loop: Header=BB168_31 Depth=1
	s_mov_b64 s[10:11], 0
	s_branch .LBB168_34
.LBB168_33:                             ;   in Loop: Header=BB168_34 Depth=2
	s_or_b64 exec, exec, s[20:21]
	s_and_b64 s[12:13], exec, s[14:15]
	s_or_b64 s[10:11], s[12:13], s[10:11]
	s_andn2_b64 exec, exec, s[10:11]
	s_cbranch_execz .LBB168_29
.LBB168_34:                             ;   Parent Loop BB168_31 Depth=1
                                        ; =>  This Inner Loop Header: Depth=2
	v_cmp_ne_u32_e32 vcc, s33, v8
	s_mov_b64 s[12:13], 0
	s_and_saveexec_b64 s[14:15], vcc
	s_xor_b64 s[14:15], exec, s[14:15]
	s_cbranch_execz .LBB168_36
; %bb.35:                               ;   in Loop: Header=BB168_34 Depth=2
	v_add_u32_e32 v5, 1, v5
	s_mov_b64 s[12:13], exec
	v_and_b32_e32 v5, 0x7ff, v5
                                        ; implicit-def: $vgpr7
	s_andn2_saveexec_b64 s[14:15], s[14:15]
	s_cbranch_execz .LBB168_38
	s_branch .LBB168_37
.LBB168_36:                             ;   in Loop: Header=BB168_34 Depth=2
	s_andn2_saveexec_b64 s[14:15], s[14:15]
	s_cbranch_execz .LBB168_38
.LBB168_37:                             ;   in Loop: Header=BB168_34 Depth=2
	v_mov_b32_e32 v8, s33
	ds_cmpst_rtn_b32 v7, v7, v8, v6
	s_andn2_b64 s[12:13], s[12:13], exec
	s_waitcnt lgkmcnt(0)
	v_cmp_ne_u32_e32 vcc, s33, v7
	s_and_b64 s[20:21], vcc, exec
	s_or_b64 s[12:13], s[12:13], s[20:21]
.LBB168_38:                             ;   in Loop: Header=BB168_34 Depth=2
	s_or_b64 exec, exec, s[14:15]
	s_mov_b64 s[14:15], -1
                                        ; implicit-def: $vgpr7
                                        ; implicit-def: $vgpr8
	s_and_saveexec_b64 s[20:21], s[12:13]
	s_cbranch_execz .LBB168_33
; %bb.39:                               ;   in Loop: Header=BB168_34 Depth=2
	v_lshl_add_u32 v7, v5, 2, 0
	ds_read_b32 v8, v7
	s_waitcnt lgkmcnt(0)
	v_cmp_eq_u32_e32 vcc, v8, v6
	s_orn2_b64 s[14:15], vcc, exec
	s_branch .LBB168_33
.LBB168_40:
	s_or_b64 exec, exec, s[2:3]
.LBB168_41:
	v_mbcnt_lo_u32_b32 v2, -1, 0
	v_mbcnt_hi_u32_b32 v2, -1, v2
	v_sub_u32_e32 v2, 63, v2
	s_movk_i32 s0, 0x3ff
	s_movk_i32 s6, 0x5f
	;; [unrolled: 1-line block ×30, first 2 shown]
	v_mov_b32_e32 v6, 0
	v_lshrrev_b64 v[2:3], v2, -1
	v_lshl_add_u32 v7, v12, 2, 0
	v_cmp_eq_u32_e64 s[0:1], s0, v0
	v_cmp_lt_u32_e64 s[2:3], 31, v0
	v_cmp_lt_u32_e64 s[4:5], 63, v0
	;; [unrolled: 1-line block ×31, first 2 shown]
	s_mov_b64 s[74:75], 0
	v_mov_b32_e32 v8, 0
	s_waitcnt lgkmcnt(0)
	s_barrier
	s_branch .LBB168_43
.LBB168_42:                             ;   in Loop: Header=BB168_43 Depth=1
	s_or_b64 exec, exec, s[76:77]
	s_waitcnt lgkmcnt(0)
	s_barrier
	ds_read_b32 v4, v6 offset:16508
	v_add_co_u32_e32 v1, vcc, 0x400, v1
	s_xor_b64 s[76:77], vcc, -1
	s_and_b64 s[76:77], exec, s[76:77]
	s_waitcnt lgkmcnt(0)
	v_add_u32_e32 v8, v4, v8
	s_or_b64 s[74:75], s[76:77], s[74:75]
	v_add_u32_e32 v10, 0x1000, v10
	s_andn2_b64 exec, exec, s[74:75]
	s_cbranch_execz .LBB168_109
.LBB168_43:                             ; =>This Inner Loop Header: Depth=1
	ds_read2st64_b32 v[4:5], v10 offset1:32
	s_waitcnt lgkmcnt(0)
	s_barrier
	v_cmp_gt_i32_e32 vcc, s33, v4
	s_bcnt1_i32_b64 s67, vcc
	s_nop 0
	v_and_b32_e32 v11, vcc_lo, v2
	v_and_b32_e32 v9, vcc_hi, v3
	v_bcnt_u32_b32 v11, v11, 0
	v_bcnt_u32_b32 v9, v9, v11
	v_mov_b32_e32 v11, s67
	ds_write_b32 v7, v11 offset:16384
	s_waitcnt lgkmcnt(0)
	s_barrier
	s_and_saveexec_b64 s[76:77], s[2:3]
	s_cbranch_execz .LBB168_76
; %bb.44:                               ;   in Loop: Header=BB168_43 Depth=1
	ds_read_b32 v11, v6 offset:16384
	s_waitcnt lgkmcnt(0)
	v_add_u32_e32 v9, v11, v9
	s_or_b64 exec, exec, s[76:77]
	s_and_saveexec_b64 s[76:77], s[4:5]
	s_cbranch_execnz .LBB168_77
.LBB168_45:                             ;   in Loop: Header=BB168_43 Depth=1
	s_or_b64 exec, exec, s[76:77]
	s_and_saveexec_b64 s[76:77], s[6:7]
	s_cbranch_execz .LBB168_78
.LBB168_46:                             ;   in Loop: Header=BB168_43 Depth=1
	ds_read_b32 v11, v6 offset:16392
	s_waitcnt lgkmcnt(0)
	v_add_u32_e32 v9, v11, v9
	s_or_b64 exec, exec, s[76:77]
	s_and_saveexec_b64 s[76:77], s[8:9]
	s_cbranch_execnz .LBB168_79
.LBB168_47:                             ;   in Loop: Header=BB168_43 Depth=1
	s_or_b64 exec, exec, s[76:77]
	s_and_saveexec_b64 s[76:77], s[10:11]
	s_cbranch_execz .LBB168_80
.LBB168_48:                             ;   in Loop: Header=BB168_43 Depth=1
	ds_read_b32 v11, v6 offset:16400
	s_waitcnt lgkmcnt(0)
	v_add_u32_e32 v9, v11, v9
	s_or_b64 exec, exec, s[76:77]
	s_and_saveexec_b64 s[76:77], s[12:13]
	s_cbranch_execnz .LBB168_81
.LBB168_49:                             ;   in Loop: Header=BB168_43 Depth=1
	s_or_b64 exec, exec, s[76:77]
	s_and_saveexec_b64 s[76:77], s[14:15]
	s_cbranch_execz .LBB168_82
.LBB168_50:                             ;   in Loop: Header=BB168_43 Depth=1
	ds_read_b32 v11, v6 offset:16408
	s_waitcnt lgkmcnt(0)
	v_add_u32_e32 v9, v11, v9
	s_or_b64 exec, exec, s[76:77]
	s_and_saveexec_b64 s[76:77], s[16:17]
	s_cbranch_execnz .LBB168_83
.LBB168_51:                             ;   in Loop: Header=BB168_43 Depth=1
	s_or_b64 exec, exec, s[76:77]
	s_and_saveexec_b64 s[76:77], s[18:19]
	s_cbranch_execz .LBB168_84
.LBB168_52:                             ;   in Loop: Header=BB168_43 Depth=1
	ds_read_b32 v11, v6 offset:16416
	s_waitcnt lgkmcnt(0)
	v_add_u32_e32 v9, v11, v9
	s_or_b64 exec, exec, s[76:77]
	s_and_saveexec_b64 s[76:77], s[20:21]
	s_cbranch_execnz .LBB168_85
.LBB168_53:                             ;   in Loop: Header=BB168_43 Depth=1
	s_or_b64 exec, exec, s[76:77]
	s_and_saveexec_b64 s[76:77], s[22:23]
	s_cbranch_execz .LBB168_86
.LBB168_54:                             ;   in Loop: Header=BB168_43 Depth=1
	ds_read_b32 v11, v6 offset:16424
	s_waitcnt lgkmcnt(0)
	v_add_u32_e32 v9, v11, v9
	s_or_b64 exec, exec, s[76:77]
	s_and_saveexec_b64 s[76:77], s[24:25]
	s_cbranch_execnz .LBB168_87
.LBB168_55:                             ;   in Loop: Header=BB168_43 Depth=1
	s_or_b64 exec, exec, s[76:77]
	s_and_saveexec_b64 s[76:77], s[26:27]
	s_cbranch_execz .LBB168_88
.LBB168_56:                             ;   in Loop: Header=BB168_43 Depth=1
	ds_read_b32 v11, v6 offset:16432
	s_waitcnt lgkmcnt(0)
	v_add_u32_e32 v9, v11, v9
	s_or_b64 exec, exec, s[76:77]
	s_and_saveexec_b64 s[76:77], s[28:29]
	s_cbranch_execnz .LBB168_89
.LBB168_57:                             ;   in Loop: Header=BB168_43 Depth=1
	s_or_b64 exec, exec, s[76:77]
	s_and_saveexec_b64 s[76:77], s[30:31]
	s_cbranch_execz .LBB168_90
.LBB168_58:                             ;   in Loop: Header=BB168_43 Depth=1
	ds_read_b32 v11, v6 offset:16440
	s_waitcnt lgkmcnt(0)
	v_add_u32_e32 v9, v11, v9
	s_or_b64 exec, exec, s[76:77]
	s_and_saveexec_b64 s[76:77], s[34:35]
	s_cbranch_execnz .LBB168_91
.LBB168_59:                             ;   in Loop: Header=BB168_43 Depth=1
	s_or_b64 exec, exec, s[76:77]
	s_and_saveexec_b64 s[76:77], s[36:37]
	s_cbranch_execz .LBB168_92
.LBB168_60:                             ;   in Loop: Header=BB168_43 Depth=1
	ds_read_b32 v11, v6 offset:16448
	s_waitcnt lgkmcnt(0)
	v_add_u32_e32 v9, v11, v9
	s_or_b64 exec, exec, s[76:77]
	s_and_saveexec_b64 s[76:77], s[38:39]
	s_cbranch_execnz .LBB168_93
.LBB168_61:                             ;   in Loop: Header=BB168_43 Depth=1
	s_or_b64 exec, exec, s[76:77]
	s_and_saveexec_b64 s[76:77], s[40:41]
	s_cbranch_execz .LBB168_94
.LBB168_62:                             ;   in Loop: Header=BB168_43 Depth=1
	ds_read_b32 v11, v6 offset:16456
	s_waitcnt lgkmcnt(0)
	v_add_u32_e32 v9, v11, v9
	s_or_b64 exec, exec, s[76:77]
	s_and_saveexec_b64 s[76:77], s[42:43]
	s_cbranch_execnz .LBB168_95
.LBB168_63:                             ;   in Loop: Header=BB168_43 Depth=1
	s_or_b64 exec, exec, s[76:77]
	s_and_saveexec_b64 s[76:77], s[44:45]
	s_cbranch_execz .LBB168_96
.LBB168_64:                             ;   in Loop: Header=BB168_43 Depth=1
	ds_read_b32 v11, v6 offset:16464
	s_waitcnt lgkmcnt(0)
	v_add_u32_e32 v9, v11, v9
	s_or_b64 exec, exec, s[76:77]
	s_and_saveexec_b64 s[76:77], s[46:47]
	s_cbranch_execnz .LBB168_97
.LBB168_65:                             ;   in Loop: Header=BB168_43 Depth=1
	s_or_b64 exec, exec, s[76:77]
	s_and_saveexec_b64 s[76:77], s[48:49]
	s_cbranch_execz .LBB168_98
.LBB168_66:                             ;   in Loop: Header=BB168_43 Depth=1
	ds_read_b32 v11, v6 offset:16472
	s_waitcnt lgkmcnt(0)
	v_add_u32_e32 v9, v11, v9
	s_or_b64 exec, exec, s[76:77]
	s_and_saveexec_b64 s[76:77], s[50:51]
	s_cbranch_execnz .LBB168_99
.LBB168_67:                             ;   in Loop: Header=BB168_43 Depth=1
	s_or_b64 exec, exec, s[76:77]
	s_and_saveexec_b64 s[76:77], s[52:53]
	s_cbranch_execz .LBB168_100
.LBB168_68:                             ;   in Loop: Header=BB168_43 Depth=1
	ds_read_b32 v11, v6 offset:16480
	s_waitcnt lgkmcnt(0)
	v_add_u32_e32 v9, v11, v9
	s_or_b64 exec, exec, s[76:77]
	s_and_saveexec_b64 s[76:77], s[54:55]
	s_cbranch_execnz .LBB168_101
.LBB168_69:                             ;   in Loop: Header=BB168_43 Depth=1
	s_or_b64 exec, exec, s[76:77]
	s_and_saveexec_b64 s[76:77], s[56:57]
	s_cbranch_execz .LBB168_102
.LBB168_70:                             ;   in Loop: Header=BB168_43 Depth=1
	ds_read_b32 v11, v6 offset:16488
	s_waitcnt lgkmcnt(0)
	v_add_u32_e32 v9, v11, v9
	s_or_b64 exec, exec, s[76:77]
	s_and_saveexec_b64 s[76:77], s[58:59]
	s_cbranch_execnz .LBB168_103
.LBB168_71:                             ;   in Loop: Header=BB168_43 Depth=1
	s_or_b64 exec, exec, s[76:77]
	s_and_saveexec_b64 s[76:77], s[60:61]
	s_cbranch_execz .LBB168_104
.LBB168_72:                             ;   in Loop: Header=BB168_43 Depth=1
	ds_read_b32 v11, v6 offset:16496
	s_waitcnt lgkmcnt(0)
	v_add_u32_e32 v9, v11, v9
	s_or_b64 exec, exec, s[76:77]
	s_and_saveexec_b64 s[76:77], s[62:63]
	s_cbranch_execnz .LBB168_105
.LBB168_73:                             ;   in Loop: Header=BB168_43 Depth=1
	s_or_b64 exec, exec, s[76:77]
	s_and_saveexec_b64 s[76:77], s[64:65]
	s_cbranch_execz .LBB168_106
.LBB168_74:                             ;   in Loop: Header=BB168_43 Depth=1
	ds_read_b32 v11, v6 offset:16504
	s_waitcnt lgkmcnt(0)
	v_add_u32_e32 v9, v11, v9
	s_or_b64 exec, exec, s[76:77]
	s_and_saveexec_b64 s[76:77], vcc
	s_cbranch_execnz .LBB168_107
.LBB168_75:                             ;   in Loop: Header=BB168_43 Depth=1
	s_or_b64 exec, exec, s[76:77]
	s_and_saveexec_b64 s[76:77], s[0:1]
	s_cbranch_execz .LBB168_42
	s_branch .LBB168_108
.LBB168_76:                             ;   in Loop: Header=BB168_43 Depth=1
	s_or_b64 exec, exec, s[76:77]
	s_and_saveexec_b64 s[76:77], s[4:5]
	s_cbranch_execz .LBB168_45
.LBB168_77:                             ;   in Loop: Header=BB168_43 Depth=1
	ds_read_b32 v11, v6 offset:16388
	s_waitcnt lgkmcnt(0)
	v_add_u32_e32 v9, v11, v9
	s_or_b64 exec, exec, s[76:77]
	s_and_saveexec_b64 s[76:77], s[6:7]
	s_cbranch_execnz .LBB168_46
.LBB168_78:                             ;   in Loop: Header=BB168_43 Depth=1
	s_or_b64 exec, exec, s[76:77]
	s_and_saveexec_b64 s[76:77], s[8:9]
	s_cbranch_execz .LBB168_47
.LBB168_79:                             ;   in Loop: Header=BB168_43 Depth=1
	ds_read_b32 v11, v6 offset:16396
	s_waitcnt lgkmcnt(0)
	v_add_u32_e32 v9, v11, v9
	s_or_b64 exec, exec, s[76:77]
	s_and_saveexec_b64 s[76:77], s[10:11]
	s_cbranch_execnz .LBB168_48
.LBB168_80:                             ;   in Loop: Header=BB168_43 Depth=1
	s_or_b64 exec, exec, s[76:77]
	s_and_saveexec_b64 s[76:77], s[12:13]
	s_cbranch_execz .LBB168_49
.LBB168_81:                             ;   in Loop: Header=BB168_43 Depth=1
	ds_read_b32 v11, v6 offset:16404
	s_waitcnt lgkmcnt(0)
	v_add_u32_e32 v9, v11, v9
	s_or_b64 exec, exec, s[76:77]
	s_and_saveexec_b64 s[76:77], s[14:15]
	s_cbranch_execnz .LBB168_50
.LBB168_82:                             ;   in Loop: Header=BB168_43 Depth=1
	s_or_b64 exec, exec, s[76:77]
	s_and_saveexec_b64 s[76:77], s[16:17]
	s_cbranch_execz .LBB168_51
.LBB168_83:                             ;   in Loop: Header=BB168_43 Depth=1
	ds_read_b32 v11, v6 offset:16412
	s_waitcnt lgkmcnt(0)
	v_add_u32_e32 v9, v11, v9
	s_or_b64 exec, exec, s[76:77]
	s_and_saveexec_b64 s[76:77], s[18:19]
	s_cbranch_execnz .LBB168_52
.LBB168_84:                             ;   in Loop: Header=BB168_43 Depth=1
	s_or_b64 exec, exec, s[76:77]
	s_and_saveexec_b64 s[76:77], s[20:21]
	s_cbranch_execz .LBB168_53
.LBB168_85:                             ;   in Loop: Header=BB168_43 Depth=1
	ds_read_b32 v11, v6 offset:16420
	s_waitcnt lgkmcnt(0)
	v_add_u32_e32 v9, v11, v9
	s_or_b64 exec, exec, s[76:77]
	s_and_saveexec_b64 s[76:77], s[22:23]
	s_cbranch_execnz .LBB168_54
.LBB168_86:                             ;   in Loop: Header=BB168_43 Depth=1
	s_or_b64 exec, exec, s[76:77]
	s_and_saveexec_b64 s[76:77], s[24:25]
	s_cbranch_execz .LBB168_55
.LBB168_87:                             ;   in Loop: Header=BB168_43 Depth=1
	ds_read_b32 v11, v6 offset:16428
	s_waitcnt lgkmcnt(0)
	v_add_u32_e32 v9, v11, v9
	s_or_b64 exec, exec, s[76:77]
	s_and_saveexec_b64 s[76:77], s[26:27]
	s_cbranch_execnz .LBB168_56
.LBB168_88:                             ;   in Loop: Header=BB168_43 Depth=1
	s_or_b64 exec, exec, s[76:77]
	s_and_saveexec_b64 s[76:77], s[28:29]
	s_cbranch_execz .LBB168_57
.LBB168_89:                             ;   in Loop: Header=BB168_43 Depth=1
	ds_read_b32 v11, v6 offset:16436
	s_waitcnt lgkmcnt(0)
	v_add_u32_e32 v9, v11, v9
	s_or_b64 exec, exec, s[76:77]
	s_and_saveexec_b64 s[76:77], s[30:31]
	s_cbranch_execnz .LBB168_58
.LBB168_90:                             ;   in Loop: Header=BB168_43 Depth=1
	s_or_b64 exec, exec, s[76:77]
	s_and_saveexec_b64 s[76:77], s[34:35]
	s_cbranch_execz .LBB168_59
.LBB168_91:                             ;   in Loop: Header=BB168_43 Depth=1
	ds_read_b32 v11, v6 offset:16444
	s_waitcnt lgkmcnt(0)
	v_add_u32_e32 v9, v11, v9
	s_or_b64 exec, exec, s[76:77]
	s_and_saveexec_b64 s[76:77], s[36:37]
	s_cbranch_execnz .LBB168_60
.LBB168_92:                             ;   in Loop: Header=BB168_43 Depth=1
	s_or_b64 exec, exec, s[76:77]
	s_and_saveexec_b64 s[76:77], s[38:39]
	s_cbranch_execz .LBB168_61
.LBB168_93:                             ;   in Loop: Header=BB168_43 Depth=1
	ds_read_b32 v11, v6 offset:16452
	s_waitcnt lgkmcnt(0)
	v_add_u32_e32 v9, v11, v9
	s_or_b64 exec, exec, s[76:77]
	s_and_saveexec_b64 s[76:77], s[40:41]
	s_cbranch_execnz .LBB168_62
.LBB168_94:                             ;   in Loop: Header=BB168_43 Depth=1
	s_or_b64 exec, exec, s[76:77]
	s_and_saveexec_b64 s[76:77], s[42:43]
	s_cbranch_execz .LBB168_63
.LBB168_95:                             ;   in Loop: Header=BB168_43 Depth=1
	ds_read_b32 v11, v6 offset:16460
	s_waitcnt lgkmcnt(0)
	v_add_u32_e32 v9, v11, v9
	s_or_b64 exec, exec, s[76:77]
	s_and_saveexec_b64 s[76:77], s[44:45]
	s_cbranch_execnz .LBB168_64
.LBB168_96:                             ;   in Loop: Header=BB168_43 Depth=1
	s_or_b64 exec, exec, s[76:77]
	s_and_saveexec_b64 s[76:77], s[46:47]
	s_cbranch_execz .LBB168_65
.LBB168_97:                             ;   in Loop: Header=BB168_43 Depth=1
	ds_read_b32 v11, v6 offset:16468
	s_waitcnt lgkmcnt(0)
	v_add_u32_e32 v9, v11, v9
	s_or_b64 exec, exec, s[76:77]
	s_and_saveexec_b64 s[76:77], s[48:49]
	s_cbranch_execnz .LBB168_66
.LBB168_98:                             ;   in Loop: Header=BB168_43 Depth=1
	s_or_b64 exec, exec, s[76:77]
	s_and_saveexec_b64 s[76:77], s[50:51]
	s_cbranch_execz .LBB168_67
.LBB168_99:                             ;   in Loop: Header=BB168_43 Depth=1
	ds_read_b32 v11, v6 offset:16476
	s_waitcnt lgkmcnt(0)
	v_add_u32_e32 v9, v11, v9
	s_or_b64 exec, exec, s[76:77]
	s_and_saveexec_b64 s[76:77], s[52:53]
	s_cbranch_execnz .LBB168_68
.LBB168_100:                            ;   in Loop: Header=BB168_43 Depth=1
	s_or_b64 exec, exec, s[76:77]
	s_and_saveexec_b64 s[76:77], s[54:55]
	s_cbranch_execz .LBB168_69
.LBB168_101:                            ;   in Loop: Header=BB168_43 Depth=1
	ds_read_b32 v11, v6 offset:16484
	s_waitcnt lgkmcnt(0)
	v_add_u32_e32 v9, v11, v9
	s_or_b64 exec, exec, s[76:77]
	s_and_saveexec_b64 s[76:77], s[56:57]
	s_cbranch_execnz .LBB168_70
.LBB168_102:                            ;   in Loop: Header=BB168_43 Depth=1
	s_or_b64 exec, exec, s[76:77]
	s_and_saveexec_b64 s[76:77], s[58:59]
	s_cbranch_execz .LBB168_71
.LBB168_103:                            ;   in Loop: Header=BB168_43 Depth=1
	ds_read_b32 v11, v6 offset:16492
	s_waitcnt lgkmcnt(0)
	v_add_u32_e32 v9, v11, v9
	s_or_b64 exec, exec, s[76:77]
	s_and_saveexec_b64 s[76:77], s[60:61]
	s_cbranch_execnz .LBB168_72
.LBB168_104:                            ;   in Loop: Header=BB168_43 Depth=1
	s_or_b64 exec, exec, s[76:77]
	s_and_saveexec_b64 s[76:77], s[62:63]
	s_cbranch_execz .LBB168_73
.LBB168_105:                            ;   in Loop: Header=BB168_43 Depth=1
	ds_read_b32 v11, v6 offset:16500
	s_waitcnt lgkmcnt(0)
	v_add_u32_e32 v9, v11, v9
	s_or_b64 exec, exec, s[76:77]
	s_and_saveexec_b64 s[76:77], s[64:65]
	s_cbranch_execnz .LBB168_74
.LBB168_106:                            ;   in Loop: Header=BB168_43 Depth=1
	s_or_b64 exec, exec, s[76:77]
	s_and_saveexec_b64 s[76:77], vcc
	s_cbranch_execz .LBB168_75
.LBB168_107:                            ;   in Loop: Header=BB168_43 Depth=1
	v_add3_u32 v11, v8, -1, v9
	v_lshl_add_u32 v11, v11, 2, 0
	v_add_u32_e32 v12, v8, v9
	v_lshl_add_u32 v12, v12, 2, 0
	ds_write_b32 v11, v4
	ds_write_b32 v12, v5 offset:8188
	s_or_b64 exec, exec, s[76:77]
	s_and_saveexec_b64 s[76:77], s[0:1]
	s_cbranch_execz .LBB168_42
.LBB168_108:                            ;   in Loop: Header=BB168_43 Depth=1
	ds_write_b32 v6, v9 offset:16508
	s_branch .LBB168_42
.LBB168_109:
	s_or_b64 exec, exec, s[74:75]
	s_ashr_i32 s73, s72, 31
	s_lshl_b64 s[0:1], s[72:73], 3
	s_add_u32 s4, s70, s0
	s_addc_u32 s5, s71, s1
	s_load_dwordx4 s[0:3], s[4:5], 0x0
	s_waitcnt lgkmcnt(0)
	s_sub_i32 s8, s2, s0
	v_cmp_gt_i32_e32 vcc, s8, v0
	s_and_saveexec_b64 s[4:5], vcc
	s_cbranch_execz .LBB168_119
; %bb.110:
	s_sub_u32 s4, s0, s66
	s_subb_u32 s5, s1, 0
	s_and_b32 s10, s8, 7
	s_sub_i32 s0, s0, s2
	s_cmp_lt_u32 s0, -7
	s_cselect_b64 s[0:1], -1, 0
	s_and_b32 s11, s8, -8
	s_cmp_lg_u32 s10, 0
	v_cndmask_b32_e64 v1, 0, 1, s[0:1]
	s_cselect_b64 s[2:3], -1, 0
	v_cmp_ne_u32_e64 s[0:1], 1, v1
	v_cndmask_b32_e64 v1, 0, 1, s[2:3]
	s_mov_b32 s9, 0
	s_mov_b64 s[6:7], 0
	v_cmp_ne_u32_e64 s[2:3], 1, v1
	s_branch .LBB168_112
.LBB168_111:                            ;   in Loop: Header=BB168_112 Depth=1
	v_add_u32_e32 v0, 0x400, v0
	v_cmp_le_i32_e32 vcc, s8, v0
	v_lshl_add_u64 v[4:5], v[4:5], 2, s[68:69]
	s_or_b64 s[6:7], vcc, s[6:7]
	s_waitcnt lgkmcnt(0)
	global_store_dword v[4:5], v3, off
	s_andn2_b64 exec, exec, s[6:7]
	s_cbranch_execz .LBB168_119
.LBB168_112:                            ; =>This Loop Header: Depth=1
                                        ;     Child Loop BB168_114 Depth 2
                                        ;     Child Loop BB168_118 Depth 2
	v_lshl_add_u32 v1, v0, 2, 0
	ds_read2st64_b32 v[2:3], v1 offset1:32
	s_and_b64 vcc, exec, s[0:1]
	v_mov_b64_e32 v[4:5], s[4:5]
	s_mov_b32 s12, 0
	s_cbranch_vccnz .LBB168_116
; %bb.113:                              ;   in Loop: Header=BB168_112 Depth=1
	s_mov_b32 s13, 0
	v_mov_b64_e32 v[4:5], s[4:5]
.LBB168_114:                            ;   Parent Loop BB168_112 Depth=1
                                        ; =>  This Inner Loop Header: Depth=2
	v_mov_b32_e32 v1, s13
	ds_read2_b32 v[22:23], v1 offset1:1
	ds_read2_b32 v[24:25], v1 offset0:2 offset1:3
	ds_read2_b32 v[26:27], v1 offset0:4 offset1:5
	ds_read2_b32 v[28:29], v1 offset0:6 offset1:7
	v_mov_b32_e32 v7, s9
	s_waitcnt lgkmcnt(3)
	v_cmp_gt_i32_e32 vcc, v2, v22
	v_mov_b32_e32 v9, s9
	v_mov_b32_e32 v11, s9
	v_cndmask_b32_e64 v6, 0, 1, vcc
	v_cmp_gt_i32_e32 vcc, v2, v23
	v_lshl_add_u64 v[4:5], v[4:5], 0, v[6:7]
	v_mov_b32_e32 v13, s9
	v_cndmask_b32_e64 v8, 0, 1, vcc
	s_waitcnt lgkmcnt(2)
	v_cmp_gt_i32_e32 vcc, v2, v24
	v_lshl_add_u64 v[4:5], v[4:5], 0, v[8:9]
	v_mov_b32_e32 v15, s9
	v_cndmask_b32_e64 v10, 0, 1, vcc
	v_cmp_gt_i32_e32 vcc, v2, v25
	v_lshl_add_u64 v[4:5], v[4:5], 0, v[10:11]
	v_mov_b32_e32 v17, s9
	v_cndmask_b32_e64 v12, 0, 1, vcc
	s_waitcnt lgkmcnt(1)
	v_cmp_gt_i32_e32 vcc, v2, v26
	v_lshl_add_u64 v[4:5], v[4:5], 0, v[12:13]
	;; [unrolled: 9-line block ×3, first 2 shown]
	s_add_i32 s12, s12, 8
	v_cndmask_b32_e64 v18, 0, 1, vcc
	v_cmp_gt_i32_e32 vcc, v2, v29
	s_add_i32 s13, s13, 32
	v_lshl_add_u64 v[4:5], v[4:5], 0, v[18:19]
	v_cndmask_b32_e64 v20, 0, 1, vcc
	s_cmp_eq_u32 s11, s12
	v_lshl_add_u64 v[4:5], v[4:5], 0, v[20:21]
	s_cbranch_scc0 .LBB168_114
; %bb.115:                              ;   in Loop: Header=BB168_112 Depth=1
	s_mov_b32 s12, s11
.LBB168_116:                            ;   in Loop: Header=BB168_112 Depth=1
	s_and_b64 vcc, exec, s[2:3]
	s_cbranch_vccnz .LBB168_111
; %bb.117:                              ;   in Loop: Header=BB168_112 Depth=1
	s_lshl_b32 s12, s12, 2
	s_add_i32 s12, s12, 0
	s_mov_b32 s13, s10
.LBB168_118:                            ;   Parent Loop BB168_112 Depth=1
                                        ; =>  This Inner Loop Header: Depth=2
	v_mov_b32_e32 v1, s12
	ds_read_b32 v1, v1
	v_mov_b32_e32 v7, s9
	s_add_i32 s12, s12, 4
	s_add_i32 s13, s13, -1
	s_cmp_lg_u32 s13, 0
	s_waitcnt lgkmcnt(0)
	v_cmp_gt_i32_e32 vcc, v2, v1
	s_nop 1
	v_cndmask_b32_e64 v6, 0, 1, vcc
	v_lshl_add_u64 v[4:5], v[4:5], 0, v[6:7]
	s_cbranch_scc1 .LBB168_118
	s_branch .LBB168_111
.LBB168_119:
	s_endpgm
	.section	.rodata,"a",@progbits
	.p2align	6, 0x0
	.amdhsa_kernel _ZN9rocsparseL41csrgemm_numeric_fill_block_per_row_kernelILj1024ELj32ELj2048ELj137ELj32ElifEEvT5_PKS1_S3_NS_24const_host_device_scalarIT6_EEPKT4_S3_PKS5_S9_S3_SB_S6_S9_S3_SB_S9_S3_PS5_21rocsparse_index_base_SD_SD_SD_bbb
		.amdhsa_group_segment_fixed_size 0
		.amdhsa_private_segment_fixed_size 0
		.amdhsa_kernarg_size 156
		.amdhsa_user_sgpr_count 2
		.amdhsa_user_sgpr_dispatch_ptr 0
		.amdhsa_user_sgpr_queue_ptr 0
		.amdhsa_user_sgpr_kernarg_segment_ptr 1
		.amdhsa_user_sgpr_dispatch_id 0
		.amdhsa_user_sgpr_kernarg_preload_length 0
		.amdhsa_user_sgpr_kernarg_preload_offset 0
		.amdhsa_user_sgpr_private_segment_size 0
		.amdhsa_uses_dynamic_stack 0
		.amdhsa_enable_private_segment 0
		.amdhsa_system_sgpr_workgroup_id_x 1
		.amdhsa_system_sgpr_workgroup_id_y 0
		.amdhsa_system_sgpr_workgroup_id_z 0
		.amdhsa_system_sgpr_workgroup_info 0
		.amdhsa_system_vgpr_workitem_id 0
		.amdhsa_next_free_vgpr 30
		.amdhsa_next_free_sgpr 78
		.amdhsa_accum_offset 32
		.amdhsa_reserve_vcc 1
		.amdhsa_float_round_mode_32 0
		.amdhsa_float_round_mode_16_64 0
		.amdhsa_float_denorm_mode_32 3
		.amdhsa_float_denorm_mode_16_64 3
		.amdhsa_dx10_clamp 1
		.amdhsa_ieee_mode 1
		.amdhsa_fp16_overflow 0
		.amdhsa_tg_split 0
		.amdhsa_exception_fp_ieee_invalid_op 0
		.amdhsa_exception_fp_denorm_src 0
		.amdhsa_exception_fp_ieee_div_zero 0
		.amdhsa_exception_fp_ieee_overflow 0
		.amdhsa_exception_fp_ieee_underflow 0
		.amdhsa_exception_fp_ieee_inexact 0
		.amdhsa_exception_int_div_zero 0
	.end_amdhsa_kernel
	.section	.text._ZN9rocsparseL41csrgemm_numeric_fill_block_per_row_kernelILj1024ELj32ELj2048ELj137ELj32ElifEEvT5_PKS1_S3_NS_24const_host_device_scalarIT6_EEPKT4_S3_PKS5_S9_S3_SB_S6_S9_S3_SB_S9_S3_PS5_21rocsparse_index_base_SD_SD_SD_bbb,"axG",@progbits,_ZN9rocsparseL41csrgemm_numeric_fill_block_per_row_kernelILj1024ELj32ELj2048ELj137ELj32ElifEEvT5_PKS1_S3_NS_24const_host_device_scalarIT6_EEPKT4_S3_PKS5_S9_S3_SB_S6_S9_S3_SB_S9_S3_PS5_21rocsparse_index_base_SD_SD_SD_bbb,comdat
.Lfunc_end168:
	.size	_ZN9rocsparseL41csrgemm_numeric_fill_block_per_row_kernelILj1024ELj32ELj2048ELj137ELj32ElifEEvT5_PKS1_S3_NS_24const_host_device_scalarIT6_EEPKT4_S3_PKS5_S9_S3_SB_S6_S9_S3_SB_S9_S3_PS5_21rocsparse_index_base_SD_SD_SD_bbb, .Lfunc_end168-_ZN9rocsparseL41csrgemm_numeric_fill_block_per_row_kernelILj1024ELj32ELj2048ELj137ELj32ElifEEvT5_PKS1_S3_NS_24const_host_device_scalarIT6_EEPKT4_S3_PKS5_S9_S3_SB_S6_S9_S3_SB_S9_S3_PS5_21rocsparse_index_base_SD_SD_SD_bbb
                                        ; -- End function
	.set _ZN9rocsparseL41csrgemm_numeric_fill_block_per_row_kernelILj1024ELj32ELj2048ELj137ELj32ElifEEvT5_PKS1_S3_NS_24const_host_device_scalarIT6_EEPKT4_S3_PKS5_S9_S3_SB_S6_S9_S3_SB_S9_S3_PS5_21rocsparse_index_base_SD_SD_SD_bbb.num_vgpr, 30
	.set _ZN9rocsparseL41csrgemm_numeric_fill_block_per_row_kernelILj1024ELj32ELj2048ELj137ELj32ElifEEvT5_PKS1_S3_NS_24const_host_device_scalarIT6_EEPKT4_S3_PKS5_S9_S3_SB_S6_S9_S3_SB_S9_S3_PS5_21rocsparse_index_base_SD_SD_SD_bbb.num_agpr, 0
	.set _ZN9rocsparseL41csrgemm_numeric_fill_block_per_row_kernelILj1024ELj32ELj2048ELj137ELj32ElifEEvT5_PKS1_S3_NS_24const_host_device_scalarIT6_EEPKT4_S3_PKS5_S9_S3_SB_S6_S9_S3_SB_S9_S3_PS5_21rocsparse_index_base_SD_SD_SD_bbb.numbered_sgpr, 78
	.set _ZN9rocsparseL41csrgemm_numeric_fill_block_per_row_kernelILj1024ELj32ELj2048ELj137ELj32ElifEEvT5_PKS1_S3_NS_24const_host_device_scalarIT6_EEPKT4_S3_PKS5_S9_S3_SB_S6_S9_S3_SB_S9_S3_PS5_21rocsparse_index_base_SD_SD_SD_bbb.num_named_barrier, 0
	.set _ZN9rocsparseL41csrgemm_numeric_fill_block_per_row_kernelILj1024ELj32ELj2048ELj137ELj32ElifEEvT5_PKS1_S3_NS_24const_host_device_scalarIT6_EEPKT4_S3_PKS5_S9_S3_SB_S6_S9_S3_SB_S9_S3_PS5_21rocsparse_index_base_SD_SD_SD_bbb.private_seg_size, 0
	.set _ZN9rocsparseL41csrgemm_numeric_fill_block_per_row_kernelILj1024ELj32ELj2048ELj137ELj32ElifEEvT5_PKS1_S3_NS_24const_host_device_scalarIT6_EEPKT4_S3_PKS5_S9_S3_SB_S6_S9_S3_SB_S9_S3_PS5_21rocsparse_index_base_SD_SD_SD_bbb.uses_vcc, 1
	.set _ZN9rocsparseL41csrgemm_numeric_fill_block_per_row_kernelILj1024ELj32ELj2048ELj137ELj32ElifEEvT5_PKS1_S3_NS_24const_host_device_scalarIT6_EEPKT4_S3_PKS5_S9_S3_SB_S6_S9_S3_SB_S9_S3_PS5_21rocsparse_index_base_SD_SD_SD_bbb.uses_flat_scratch, 0
	.set _ZN9rocsparseL41csrgemm_numeric_fill_block_per_row_kernelILj1024ELj32ELj2048ELj137ELj32ElifEEvT5_PKS1_S3_NS_24const_host_device_scalarIT6_EEPKT4_S3_PKS5_S9_S3_SB_S6_S9_S3_SB_S9_S3_PS5_21rocsparse_index_base_SD_SD_SD_bbb.has_dyn_sized_stack, 0
	.set _ZN9rocsparseL41csrgemm_numeric_fill_block_per_row_kernelILj1024ELj32ELj2048ELj137ELj32ElifEEvT5_PKS1_S3_NS_24const_host_device_scalarIT6_EEPKT4_S3_PKS5_S9_S3_SB_S6_S9_S3_SB_S9_S3_PS5_21rocsparse_index_base_SD_SD_SD_bbb.has_recursion, 0
	.set _ZN9rocsparseL41csrgemm_numeric_fill_block_per_row_kernelILj1024ELj32ELj2048ELj137ELj32ElifEEvT5_PKS1_S3_NS_24const_host_device_scalarIT6_EEPKT4_S3_PKS5_S9_S3_SB_S6_S9_S3_SB_S9_S3_PS5_21rocsparse_index_base_SD_SD_SD_bbb.has_indirect_call, 0
	.section	.AMDGPU.csdata,"",@progbits
; Kernel info:
; codeLenInByte = 3832
; TotalNumSgprs: 84
; NumVgprs: 30
; NumAgprs: 0
; TotalNumVgprs: 30
; ScratchSize: 0
; MemoryBound: 0
; FloatMode: 240
; IeeeMode: 1
; LDSByteSize: 0 bytes/workgroup (compile time only)
; SGPRBlocks: 10
; VGPRBlocks: 3
; NumSGPRsForWavesPerEU: 84
; NumVGPRsForWavesPerEU: 30
; AccumOffset: 32
; Occupancy: 8
; WaveLimiterHint : 1
; COMPUTE_PGM_RSRC2:SCRATCH_EN: 0
; COMPUTE_PGM_RSRC2:USER_SGPR: 2
; COMPUTE_PGM_RSRC2:TRAP_HANDLER: 0
; COMPUTE_PGM_RSRC2:TGID_X_EN: 1
; COMPUTE_PGM_RSRC2:TGID_Y_EN: 0
; COMPUTE_PGM_RSRC2:TGID_Z_EN: 0
; COMPUTE_PGM_RSRC2:TIDIG_COMP_CNT: 0
; COMPUTE_PGM_RSRC3_GFX90A:ACCUM_OFFSET: 7
; COMPUTE_PGM_RSRC3_GFX90A:TG_SPLIT: 0
	.section	.text._ZN9rocsparseL41csrgemm_numeric_fill_block_per_row_kernelILj1024ELj32ELj2048ELj137ELj64ElifEEvT5_PKS1_S3_NS_24const_host_device_scalarIT6_EEPKT4_S3_PKS5_S9_S3_SB_S6_S9_S3_SB_S9_S3_PS5_21rocsparse_index_base_SD_SD_SD_bbb,"axG",@progbits,_ZN9rocsparseL41csrgemm_numeric_fill_block_per_row_kernelILj1024ELj32ELj2048ELj137ELj64ElifEEvT5_PKS1_S3_NS_24const_host_device_scalarIT6_EEPKT4_S3_PKS5_S9_S3_SB_S6_S9_S3_SB_S9_S3_PS5_21rocsparse_index_base_SD_SD_SD_bbb,comdat
	.globl	_ZN9rocsparseL41csrgemm_numeric_fill_block_per_row_kernelILj1024ELj32ELj2048ELj137ELj64ElifEEvT5_PKS1_S3_NS_24const_host_device_scalarIT6_EEPKT4_S3_PKS5_S9_S3_SB_S6_S9_S3_SB_S9_S3_PS5_21rocsparse_index_base_SD_SD_SD_bbb ; -- Begin function _ZN9rocsparseL41csrgemm_numeric_fill_block_per_row_kernelILj1024ELj32ELj2048ELj137ELj64ElifEEvT5_PKS1_S3_NS_24const_host_device_scalarIT6_EEPKT4_S3_PKS5_S9_S3_SB_S6_S9_S3_SB_S9_S3_PS5_21rocsparse_index_base_SD_SD_SD_bbb
	.p2align	8
	.type	_ZN9rocsparseL41csrgemm_numeric_fill_block_per_row_kernelILj1024ELj32ELj2048ELj137ELj64ElifEEvT5_PKS1_S3_NS_24const_host_device_scalarIT6_EEPKT4_S3_PKS5_S9_S3_SB_S6_S9_S3_SB_S9_S3_PS5_21rocsparse_index_base_SD_SD_SD_bbb,@function
_ZN9rocsparseL41csrgemm_numeric_fill_block_per_row_kernelILj1024ELj32ELj2048ELj137ELj64ElifEEvT5_PKS1_S3_NS_24const_host_device_scalarIT6_EEPKT4_S3_PKS5_S9_S3_SB_S6_S9_S3_SB_S9_S3_PS5_21rocsparse_index_base_SD_SD_SD_bbb: ; @_ZN9rocsparseL41csrgemm_numeric_fill_block_per_row_kernelILj1024ELj32ELj2048ELj137ELj64ElifEEvT5_PKS1_S3_NS_24const_host_device_scalarIT6_EEPKT4_S3_PKS5_S9_S3_SB_S6_S9_S3_SB_S9_S3_PS5_21rocsparse_index_base_SD_SD_SD_bbb
; %bb.0:
	s_load_dword s3, s[0:1], 0x98
	s_load_dwordx4 s[36:39], s[0:1], 0x88
	s_load_dwordx2 s[4:5], s[0:1], 0x18
	s_load_dwordx2 s[16:17], s[0:1], 0x50
	s_waitcnt lgkmcnt(0)
	s_bitcmp1_b32 s3, 0
	s_cselect_b64 s[6:7], -1, 0
	s_bitcmp1_b32 s3, 16
	s_cselect_b64 s[18:19], -1, 0
	s_xor_b64 s[8:9], s[6:7], -1
	s_or_b64 s[8:9], s[18:19], s[8:9]
	s_and_b64 vcc, exec, s[8:9]
	s_cbranch_vccnz .LBB169_2
; %bb.1:
	s_load_dword s4, s[4:5], 0x0
	s_waitcnt lgkmcnt(0)
	v_mov_b32_e32 v12, s4
	s_branch .LBB169_3
.LBB169_2:
	v_mov_b32_e32 v1, s4
	v_cndmask_b32_e64 v12, 0, v1, s[6:7]
.LBB169_3:
	s_load_dwordx2 s[34:35], s[0:1], 0x80
	s_load_dwordx2 s[40:41], s[0:1], 0x70
	;; [unrolled: 1-line block ×3, first 2 shown]
	s_load_dwordx4 s[24:27], s[0:1], 0x8
	s_load_dwordx8 s[8:15], s[0:1], 0x20
	s_bitcmp1_b32 s3, 8
	s_cselect_b64 s[4:5], -1, 0
	s_xor_b64 s[20:21], s[4:5], -1
	s_or_b64 s[18:19], s[18:19], s[20:21]
	s_and_b64 vcc, exec, s[18:19]
	s_cbranch_vccnz .LBB169_5
; %bb.4:
	s_load_dword s3, s[16:17], 0x0
	s_waitcnt lgkmcnt(0)
	v_mov_b32_e32 v11, s3
	s_branch .LBB169_6
.LBB169_5:
	v_mov_b32_e32 v1, s16
	v_cndmask_b32_e64 v11, 0, v1, s[4:5]
.LBB169_6:
	s_load_dwordx4 s[20:23], s[0:1], 0x40
	s_load_dword s33, s[0:1], 0x0
	s_load_dwordx4 s[16:19], s[0:1], 0x60
	v_or_b32_e32 v1, 0xfffffc00, v0
	v_lshl_add_u32 v10, v0, 2, 0
	s_mov_b64 s[0:1], 0
	s_waitcnt lgkmcnt(0)
	v_mov_b32_e32 v2, s33
	v_mov_b32_e32 v3, 0
	;; [unrolled: 1-line block ×4, first 2 shown]
.LBB169_7:                              ; =>This Inner Loop Header: Depth=1
	v_add_co_u32_e32 v5, vcc, 0x400, v5
	s_xor_b64 s[30:31], vcc, -1
	s_and_b64 s[30:31], exec, s[30:31]
	ds_write2st64_b32 v4, v2, v3 offset1:32
	s_or_b64 s[0:1], s[30:31], s[0:1]
	v_add_u32_e32 v4, 0x1000, v4
	s_andn2_b64 exec, exec, s[0:1]
	s_cbranch_execnz .LBB169_7
; %bb.8:
	s_or_b64 exec, exec, s[0:1]
	s_waitcnt lgkmcnt(0)
	s_barrier
	s_load_dword s0, s[24:25], 0x0
	s_mov_b32 s1, 0
	s_waitcnt lgkmcnt(0)
	s_add_i32 s0, s0, s2
	s_lshl_b64 s[0:1], s[0:1], 2
	s_add_u32 s0, s26, s0
	s_addc_u32 s1, s27, s1
	s_load_dword s42, s[0:1], 0x0
	s_and_b64 vcc, exec, s[6:7]
	s_cbranch_vccz .LBB169_26
; %bb.9:
	s_waitcnt lgkmcnt(0)
	s_ashr_i32 s43, s42, 31
	s_lshl_b64 s[0:1], s[42:43], 3
	s_add_u32 s0, s8, s0
	s_addc_u32 s1, s9, s1
	s_load_dwordx4 s[24:27], s[0:1], 0x0
	v_lshrrev_b32_e32 v2, 5, v0
	v_subrev_co_u32_e32 v2, vcc, s36, v2
	s_waitcnt lgkmcnt(0)
	s_sub_u32 s0, s26, s36
	v_subb_co_u32_e64 v3, s[2:3], 0, 0, vcc
	s_subb_u32 s1, s27, 0
	v_lshl_add_u64 v[2:3], s[24:25], 0, v[2:3]
	v_cmp_gt_i64_e32 vcc, s[0:1], v[2:3]
	s_and_saveexec_b64 s[2:3], vcc
	s_cbranch_execz .LBB169_25
; %bb.10:
	v_and_b32_e32 v4, 31, v0
	v_subrev_co_u32_e32 v4, vcc, s37, v4
	s_mov_b32 s43, s37
	s_nop 0
	v_subb_co_u32_e64 v5, s[6:7], 0, 0, vcc
	s_mov_b64 s[6:7], 0
	s_movk_i32 s50, 0x89
	s_branch .LBB169_12
.LBB169_11:                             ;   in Loop: Header=BB169_12 Depth=1
	s_or_b64 exec, exec, s[8:9]
	v_lshl_add_u64 v[2:3], v[2:3], 0, 32
	v_cmp_le_i64_e32 vcc, s[0:1], v[2:3]
	s_or_b64 s[6:7], vcc, s[6:7]
	s_andn2_b64 exec, exec, s[6:7]
	s_cbranch_execz .LBB169_25
.LBB169_12:                             ; =>This Loop Header: Depth=1
                                        ;     Child Loop BB169_16 Depth 2
                                        ;       Child Loop BB169_19 Depth 3
	v_lshl_add_u64 v[6:7], v[2:3], 2, s[10:11]
	global_load_dword v6, v[6:7], off
	s_waitcnt vmcnt(0)
	v_subrev_u32_e32 v6, s36, v6
	v_ashrrev_i32_e32 v7, 31, v6
	v_lshl_add_u64 v[6:7], v[6:7], 3, s[14:15]
	global_load_dwordx4 v[14:17], v[6:7], off
	s_waitcnt vmcnt(0)
	v_subrev_co_u32_e32 v6, vcc, s43, v16
	s_nop 1
	v_subbrev_co_u32_e32 v7, vcc, 0, v17, vcc
	v_lshl_add_u64 v[8:9], v[14:15], 0, v[4:5]
	v_cmp_lt_i64_e32 vcc, v[8:9], v[6:7]
	s_and_saveexec_b64 s[8:9], vcc
	s_cbranch_execz .LBB169_11
; %bb.13:                               ;   in Loop: Header=BB169_12 Depth=1
	v_lshl_add_u64 v[14:15], v[2:3], 2, s[12:13]
	global_load_dword v13, v[14:15], off
	s_mov_b64 s[24:25], 0
	s_waitcnt vmcnt(0)
	v_mul_f32_e32 v13, v12, v13
	s_branch .LBB169_16
.LBB169_14:                             ;   in Loop: Header=BB169_16 Depth=2
	s_or_b64 exec, exec, s[30:31]
.LBB169_15:                             ;   in Loop: Header=BB169_16 Depth=2
	s_or_b64 exec, exec, s[26:27]
	s_waitcnt vmcnt(0)
	v_mul_f32_e32 v14, v13, v14
	v_lshl_add_u32 v15, v15, 2, 0
	ds_add_f32 v15, v14 offset:8192
	v_lshl_add_u64 v[8:9], v[8:9], 0, 32
	v_cmp_ge_i64_e32 vcc, v[8:9], v[6:7]
	s_or_b64 s[24:25], vcc, s[24:25]
	s_andn2_b64 exec, exec, s[24:25]
	s_cbranch_execz .LBB169_11
.LBB169_16:                             ;   Parent Loop BB169_12 Depth=1
                                        ; =>  This Loop Header: Depth=2
                                        ;       Child Loop BB169_19 Depth 3
	v_lshlrev_b64 v[14:15], 2, v[8:9]
	v_lshl_add_u64 v[16:17], s[20:21], 0, v[14:15]
	global_load_dword v16, v[16:17], off
	v_lshl_add_u64 v[14:15], s[22:23], 0, v[14:15]
	global_load_dword v14, v[14:15], off
	s_waitcnt vmcnt(1)
	v_subrev_u32_e32 v16, s37, v16
	v_mul_lo_u32 v15, v16, s50
	v_and_b32_e32 v15, 0x7ff, v15
	v_lshl_add_u32 v17, v15, 2, 0
	ds_read_b32 v18, v17
	s_waitcnt lgkmcnt(0)
	v_cmp_ne_u32_e32 vcc, v18, v16
	s_and_saveexec_b64 s[26:27], vcc
	s_cbranch_execz .LBB169_15
; %bb.17:                               ;   in Loop: Header=BB169_16 Depth=2
	s_mov_b64 s[30:31], 0
	s_branch .LBB169_19
.LBB169_18:                             ;   in Loop: Header=BB169_19 Depth=3
	s_or_b64 exec, exec, s[48:49]
	s_and_b64 s[44:45], exec, s[46:47]
	s_or_b64 s[30:31], s[44:45], s[30:31]
	s_andn2_b64 exec, exec, s[30:31]
	s_cbranch_execz .LBB169_14
.LBB169_19:                             ;   Parent Loop BB169_12 Depth=1
                                        ;     Parent Loop BB169_16 Depth=2
                                        ; =>    This Inner Loop Header: Depth=3
	v_cmp_ne_u32_e32 vcc, s33, v18
	s_mov_b64 s[44:45], 0
	s_and_saveexec_b64 s[46:47], vcc
	s_xor_b64 s[46:47], exec, s[46:47]
	s_cbranch_execz .LBB169_21
; %bb.20:                               ;   in Loop: Header=BB169_19 Depth=3
	v_add_u32_e32 v15, 1, v15
	s_mov_b64 s[44:45], exec
	v_and_b32_e32 v15, 0x7ff, v15
                                        ; implicit-def: $vgpr17
	s_andn2_saveexec_b64 s[46:47], s[46:47]
	s_cbranch_execz .LBB169_23
	s_branch .LBB169_22
.LBB169_21:                             ;   in Loop: Header=BB169_19 Depth=3
	s_andn2_saveexec_b64 s[46:47], s[46:47]
	s_cbranch_execz .LBB169_23
.LBB169_22:                             ;   in Loop: Header=BB169_19 Depth=3
	v_mov_b32_e32 v18, s33
	ds_cmpst_rtn_b32 v17, v17, v18, v16
	s_andn2_b64 s[44:45], s[44:45], exec
	s_waitcnt lgkmcnt(0)
	v_cmp_ne_u32_e32 vcc, s33, v17
	s_and_b64 s[48:49], vcc, exec
	s_or_b64 s[44:45], s[44:45], s[48:49]
.LBB169_23:                             ;   in Loop: Header=BB169_19 Depth=3
	s_or_b64 exec, exec, s[46:47]
	s_mov_b64 s[46:47], -1
                                        ; implicit-def: $vgpr17
                                        ; implicit-def: $vgpr18
	s_and_saveexec_b64 s[48:49], s[44:45]
	s_cbranch_execz .LBB169_18
; %bb.24:                               ;   in Loop: Header=BB169_19 Depth=3
	v_lshl_add_u32 v17, v15, 2, 0
	ds_read_b32 v18, v17
	s_waitcnt lgkmcnt(0)
	v_cmp_eq_u32_e32 vcc, v18, v16
	s_orn2_b64 s[46:47], vcc, exec
	s_branch .LBB169_18
.LBB169_25:
	s_or_b64 exec, exec, s[2:3]
.LBB169_26:
	s_andn2_b64 vcc, exec, s[4:5]
	s_cbranch_vccnz .LBB169_41
; %bb.27:
	s_waitcnt lgkmcnt(0)
	s_ashr_i32 s43, s42, 31
	s_lshl_b64 s[0:1], s[42:43], 3
	s_add_u32 s0, s28, s0
	s_addc_u32 s1, s29, s1
	s_load_dwordx4 s[4:7], s[0:1], 0x0
	v_subrev_co_u32_e32 v2, vcc, s39, v0
	s_nop 1
	v_subb_co_u32_e64 v3, s[0:1], 0, 0, vcc
	s_waitcnt lgkmcnt(0)
	s_sub_u32 s0, s6, s39
	s_subb_u32 s1, s7, 0
	v_lshl_add_u64 v[2:3], s[4:5], 0, v[2:3]
	v_cmp_gt_i64_e32 vcc, s[0:1], v[2:3]
	s_and_saveexec_b64 s[2:3], vcc
	s_cbranch_execz .LBB169_40
; %bb.28:
	s_mov_b64 s[4:5], 0
	s_movk_i32 s22, 0x89
	s_mov_b64 s[6:7], 0x400
	s_branch .LBB169_31
.LBB169_29:                             ;   in Loop: Header=BB169_31 Depth=1
	s_or_b64 exec, exec, s[10:11]
.LBB169_30:                             ;   in Loop: Header=BB169_31 Depth=1
	s_or_b64 exec, exec, s[8:9]
	s_waitcnt vmcnt(0)
	v_mul_f32_e32 v4, v11, v4
	v_lshl_add_u32 v5, v5, 2, 0
	ds_add_f32 v5, v4 offset:8192
	v_lshl_add_u64 v[2:3], v[2:3], 0, s[6:7]
	v_cmp_le_i64_e32 vcc, s[0:1], v[2:3]
	s_or_b64 s[4:5], vcc, s[4:5]
	s_andn2_b64 exec, exec, s[4:5]
	s_cbranch_execz .LBB169_40
.LBB169_31:                             ; =>This Loop Header: Depth=1
                                        ;     Child Loop BB169_34 Depth 2
	v_lshlrev_b64 v[4:5], 2, v[2:3]
	v_lshl_add_u64 v[6:7], s[16:17], 0, v[4:5]
	global_load_dword v6, v[6:7], off
	v_lshl_add_u64 v[4:5], s[18:19], 0, v[4:5]
	global_load_dword v4, v[4:5], off
	s_waitcnt vmcnt(1)
	v_subrev_u32_e32 v6, s39, v6
	v_mul_lo_u32 v5, v6, s22
	v_and_b32_e32 v5, 0x7ff, v5
	v_lshl_add_u32 v7, v5, 2, 0
	ds_read_b32 v8, v7
	s_waitcnt lgkmcnt(0)
	v_cmp_ne_u32_e32 vcc, v8, v6
	s_and_saveexec_b64 s[8:9], vcc
	s_cbranch_execz .LBB169_30
; %bb.32:                               ;   in Loop: Header=BB169_31 Depth=1
	s_mov_b64 s[10:11], 0
	s_branch .LBB169_34
.LBB169_33:                             ;   in Loop: Header=BB169_34 Depth=2
	s_or_b64 exec, exec, s[20:21]
	s_and_b64 s[12:13], exec, s[14:15]
	s_or_b64 s[10:11], s[12:13], s[10:11]
	s_andn2_b64 exec, exec, s[10:11]
	s_cbranch_execz .LBB169_29
.LBB169_34:                             ;   Parent Loop BB169_31 Depth=1
                                        ; =>  This Inner Loop Header: Depth=2
	v_cmp_ne_u32_e32 vcc, s33, v8
	s_mov_b64 s[12:13], 0
	s_and_saveexec_b64 s[14:15], vcc
	s_xor_b64 s[14:15], exec, s[14:15]
	s_cbranch_execz .LBB169_36
; %bb.35:                               ;   in Loop: Header=BB169_34 Depth=2
	v_add_u32_e32 v5, 1, v5
	s_mov_b64 s[12:13], exec
	v_and_b32_e32 v5, 0x7ff, v5
                                        ; implicit-def: $vgpr7
	s_andn2_saveexec_b64 s[14:15], s[14:15]
	s_cbranch_execz .LBB169_38
	s_branch .LBB169_37
.LBB169_36:                             ;   in Loop: Header=BB169_34 Depth=2
	s_andn2_saveexec_b64 s[14:15], s[14:15]
	s_cbranch_execz .LBB169_38
.LBB169_37:                             ;   in Loop: Header=BB169_34 Depth=2
	v_mov_b32_e32 v8, s33
	ds_cmpst_rtn_b32 v7, v7, v8, v6
	s_andn2_b64 s[12:13], s[12:13], exec
	s_waitcnt lgkmcnt(0)
	v_cmp_ne_u32_e32 vcc, s33, v7
	s_and_b64 s[20:21], vcc, exec
	s_or_b64 s[12:13], s[12:13], s[20:21]
.LBB169_38:                             ;   in Loop: Header=BB169_34 Depth=2
	s_or_b64 exec, exec, s[14:15]
	s_mov_b64 s[14:15], -1
                                        ; implicit-def: $vgpr7
                                        ; implicit-def: $vgpr8
	s_and_saveexec_b64 s[20:21], s[12:13]
	s_cbranch_execz .LBB169_33
; %bb.39:                               ;   in Loop: Header=BB169_34 Depth=2
	v_lshl_add_u32 v7, v5, 2, 0
	ds_read_b32 v8, v7
	s_waitcnt lgkmcnt(0)
	v_cmp_eq_u32_e32 vcc, v8, v6
	s_orn2_b64 s[14:15], vcc, exec
	s_branch .LBB169_33
.LBB169_40:
	s_or_b64 exec, exec, s[2:3]
.LBB169_41:
	v_mbcnt_lo_u32_b32 v2, -1, 0
	v_mbcnt_hi_u32_b32 v2, -1, v2
	v_lshrrev_b32_e32 v4, 4, v0
	v_sub_u32_e32 v2, 63, v2
	v_and_b32_e32 v4, 60, v4
	s_movk_i32 s0, 0x3ff
	s_movk_i32 s4, 0x7f
	;; [unrolled: 1-line block ×15, first 2 shown]
	v_mov_b32_e32 v6, 0
	v_lshrrev_b64 v[2:3], v2, -1
	v_add_u32_e32 v7, 0, v4
	v_cmp_eq_u32_e64 s[0:1], s0, v0
	v_cmp_lt_u32_e64 s[2:3], 63, v0
	v_cmp_lt_u32_e64 s[4:5], s4, v0
	;; [unrolled: 1-line block ×15, first 2 shown]
	s_mov_b64 s[36:37], 0
	v_mov_b32_e32 v8, 0
	s_waitcnt lgkmcnt(0)
	s_barrier
	s_branch .LBB169_43
.LBB169_42:                             ;   in Loop: Header=BB169_43 Depth=1
	s_or_b64 exec, exec, s[44:45]
	s_waitcnt lgkmcnt(0)
	s_barrier
	ds_read_b32 v4, v6 offset:16444
	v_add_co_u32_e32 v1, vcc, 0x400, v1
	s_xor_b64 s[44:45], vcc, -1
	s_and_b64 s[44:45], exec, s[44:45]
	s_waitcnt lgkmcnt(0)
	v_add_u32_e32 v8, v4, v8
	s_or_b64 s[36:37], s[44:45], s[36:37]
	v_add_u32_e32 v10, 0x1000, v10
	s_andn2_b64 exec, exec, s[36:37]
	s_cbranch_execz .LBB169_77
.LBB169_43:                             ; =>This Inner Loop Header: Depth=1
	ds_read2st64_b32 v[4:5], v10 offset1:32
	s_waitcnt lgkmcnt(0)
	s_barrier
	v_cmp_gt_i32_e32 vcc, s33, v4
	s_bcnt1_i32_b64 s39, vcc
	s_nop 0
	v_and_b32_e32 v11, vcc_lo, v2
	v_and_b32_e32 v9, vcc_hi, v3
	v_bcnt_u32_b32 v11, v11, 0
	v_bcnt_u32_b32 v9, v9, v11
	v_mov_b32_e32 v11, s39
	ds_write_b32 v7, v11 offset:16384
	s_waitcnt lgkmcnt(0)
	s_barrier
	s_and_saveexec_b64 s[44:45], s[2:3]
	s_cbranch_execz .LBB169_60
; %bb.44:                               ;   in Loop: Header=BB169_43 Depth=1
	ds_read_b32 v11, v6 offset:16384
	s_waitcnt lgkmcnt(0)
	v_add_u32_e32 v9, v11, v9
	s_or_b64 exec, exec, s[44:45]
	s_and_saveexec_b64 s[44:45], s[4:5]
	s_cbranch_execnz .LBB169_61
.LBB169_45:                             ;   in Loop: Header=BB169_43 Depth=1
	s_or_b64 exec, exec, s[44:45]
	s_and_saveexec_b64 s[44:45], s[6:7]
	s_cbranch_execz .LBB169_62
.LBB169_46:                             ;   in Loop: Header=BB169_43 Depth=1
	ds_read_b32 v11, v6 offset:16392
	s_waitcnt lgkmcnt(0)
	v_add_u32_e32 v9, v11, v9
	s_or_b64 exec, exec, s[44:45]
	s_and_saveexec_b64 s[44:45], s[8:9]
	s_cbranch_execnz .LBB169_63
.LBB169_47:                             ;   in Loop: Header=BB169_43 Depth=1
	s_or_b64 exec, exec, s[44:45]
	s_and_saveexec_b64 s[44:45], s[10:11]
	s_cbranch_execz .LBB169_64
.LBB169_48:                             ;   in Loop: Header=BB169_43 Depth=1
	ds_read_b32 v11, v6 offset:16400
	s_waitcnt lgkmcnt(0)
	v_add_u32_e32 v9, v11, v9
	s_or_b64 exec, exec, s[44:45]
	s_and_saveexec_b64 s[44:45], s[12:13]
	s_cbranch_execnz .LBB169_65
.LBB169_49:                             ;   in Loop: Header=BB169_43 Depth=1
	s_or_b64 exec, exec, s[44:45]
	s_and_saveexec_b64 s[44:45], s[14:15]
	s_cbranch_execz .LBB169_66
.LBB169_50:                             ;   in Loop: Header=BB169_43 Depth=1
	ds_read_b32 v11, v6 offset:16408
	s_waitcnt lgkmcnt(0)
	v_add_u32_e32 v9, v11, v9
	s_or_b64 exec, exec, s[44:45]
	s_and_saveexec_b64 s[44:45], s[16:17]
	s_cbranch_execnz .LBB169_67
.LBB169_51:                             ;   in Loop: Header=BB169_43 Depth=1
	s_or_b64 exec, exec, s[44:45]
	s_and_saveexec_b64 s[44:45], s[18:19]
	s_cbranch_execz .LBB169_68
.LBB169_52:                             ;   in Loop: Header=BB169_43 Depth=1
	ds_read_b32 v11, v6 offset:16416
	s_waitcnt lgkmcnt(0)
	v_add_u32_e32 v9, v11, v9
	s_or_b64 exec, exec, s[44:45]
	s_and_saveexec_b64 s[44:45], s[20:21]
	s_cbranch_execnz .LBB169_69
.LBB169_53:                             ;   in Loop: Header=BB169_43 Depth=1
	s_or_b64 exec, exec, s[44:45]
	s_and_saveexec_b64 s[44:45], s[22:23]
	s_cbranch_execz .LBB169_70
.LBB169_54:                             ;   in Loop: Header=BB169_43 Depth=1
	ds_read_b32 v11, v6 offset:16424
	s_waitcnt lgkmcnt(0)
	v_add_u32_e32 v9, v11, v9
	s_or_b64 exec, exec, s[44:45]
	s_and_saveexec_b64 s[44:45], s[24:25]
	s_cbranch_execnz .LBB169_71
.LBB169_55:                             ;   in Loop: Header=BB169_43 Depth=1
	s_or_b64 exec, exec, s[44:45]
	s_and_saveexec_b64 s[44:45], s[26:27]
	s_cbranch_execz .LBB169_72
.LBB169_56:                             ;   in Loop: Header=BB169_43 Depth=1
	ds_read_b32 v11, v6 offset:16432
	s_waitcnt lgkmcnt(0)
	v_add_u32_e32 v9, v11, v9
	s_or_b64 exec, exec, s[44:45]
	s_and_saveexec_b64 s[44:45], s[28:29]
	s_cbranch_execnz .LBB169_73
.LBB169_57:                             ;   in Loop: Header=BB169_43 Depth=1
	s_or_b64 exec, exec, s[44:45]
	s_and_saveexec_b64 s[44:45], s[30:31]
	s_cbranch_execz .LBB169_74
.LBB169_58:                             ;   in Loop: Header=BB169_43 Depth=1
	ds_read_b32 v11, v6 offset:16440
	s_waitcnt lgkmcnt(0)
	v_add_u32_e32 v9, v11, v9
	s_or_b64 exec, exec, s[44:45]
	s_and_saveexec_b64 s[44:45], vcc
	s_cbranch_execnz .LBB169_75
.LBB169_59:                             ;   in Loop: Header=BB169_43 Depth=1
	s_or_b64 exec, exec, s[44:45]
	s_and_saveexec_b64 s[44:45], s[0:1]
	s_cbranch_execz .LBB169_42
	s_branch .LBB169_76
.LBB169_60:                             ;   in Loop: Header=BB169_43 Depth=1
	s_or_b64 exec, exec, s[44:45]
	s_and_saveexec_b64 s[44:45], s[4:5]
	s_cbranch_execz .LBB169_45
.LBB169_61:                             ;   in Loop: Header=BB169_43 Depth=1
	ds_read_b32 v11, v6 offset:16388
	s_waitcnt lgkmcnt(0)
	v_add_u32_e32 v9, v11, v9
	s_or_b64 exec, exec, s[44:45]
	s_and_saveexec_b64 s[44:45], s[6:7]
	s_cbranch_execnz .LBB169_46
.LBB169_62:                             ;   in Loop: Header=BB169_43 Depth=1
	s_or_b64 exec, exec, s[44:45]
	s_and_saveexec_b64 s[44:45], s[8:9]
	s_cbranch_execz .LBB169_47
.LBB169_63:                             ;   in Loop: Header=BB169_43 Depth=1
	ds_read_b32 v11, v6 offset:16396
	s_waitcnt lgkmcnt(0)
	v_add_u32_e32 v9, v11, v9
	s_or_b64 exec, exec, s[44:45]
	s_and_saveexec_b64 s[44:45], s[10:11]
	s_cbranch_execnz .LBB169_48
.LBB169_64:                             ;   in Loop: Header=BB169_43 Depth=1
	s_or_b64 exec, exec, s[44:45]
	s_and_saveexec_b64 s[44:45], s[12:13]
	s_cbranch_execz .LBB169_49
.LBB169_65:                             ;   in Loop: Header=BB169_43 Depth=1
	ds_read_b32 v11, v6 offset:16404
	s_waitcnt lgkmcnt(0)
	v_add_u32_e32 v9, v11, v9
	s_or_b64 exec, exec, s[44:45]
	s_and_saveexec_b64 s[44:45], s[14:15]
	s_cbranch_execnz .LBB169_50
.LBB169_66:                             ;   in Loop: Header=BB169_43 Depth=1
	s_or_b64 exec, exec, s[44:45]
	s_and_saveexec_b64 s[44:45], s[16:17]
	s_cbranch_execz .LBB169_51
.LBB169_67:                             ;   in Loop: Header=BB169_43 Depth=1
	ds_read_b32 v11, v6 offset:16412
	s_waitcnt lgkmcnt(0)
	v_add_u32_e32 v9, v11, v9
	s_or_b64 exec, exec, s[44:45]
	s_and_saveexec_b64 s[44:45], s[18:19]
	s_cbranch_execnz .LBB169_52
.LBB169_68:                             ;   in Loop: Header=BB169_43 Depth=1
	s_or_b64 exec, exec, s[44:45]
	s_and_saveexec_b64 s[44:45], s[20:21]
	s_cbranch_execz .LBB169_53
.LBB169_69:                             ;   in Loop: Header=BB169_43 Depth=1
	ds_read_b32 v11, v6 offset:16420
	s_waitcnt lgkmcnt(0)
	v_add_u32_e32 v9, v11, v9
	s_or_b64 exec, exec, s[44:45]
	s_and_saveexec_b64 s[44:45], s[22:23]
	s_cbranch_execnz .LBB169_54
.LBB169_70:                             ;   in Loop: Header=BB169_43 Depth=1
	s_or_b64 exec, exec, s[44:45]
	s_and_saveexec_b64 s[44:45], s[24:25]
	s_cbranch_execz .LBB169_55
.LBB169_71:                             ;   in Loop: Header=BB169_43 Depth=1
	ds_read_b32 v11, v6 offset:16428
	s_waitcnt lgkmcnt(0)
	v_add_u32_e32 v9, v11, v9
	s_or_b64 exec, exec, s[44:45]
	s_and_saveexec_b64 s[44:45], s[26:27]
	s_cbranch_execnz .LBB169_56
.LBB169_72:                             ;   in Loop: Header=BB169_43 Depth=1
	s_or_b64 exec, exec, s[44:45]
	s_and_saveexec_b64 s[44:45], s[28:29]
	s_cbranch_execz .LBB169_57
.LBB169_73:                             ;   in Loop: Header=BB169_43 Depth=1
	ds_read_b32 v11, v6 offset:16436
	s_waitcnt lgkmcnt(0)
	v_add_u32_e32 v9, v11, v9
	s_or_b64 exec, exec, s[44:45]
	s_and_saveexec_b64 s[44:45], s[30:31]
	s_cbranch_execnz .LBB169_58
.LBB169_74:                             ;   in Loop: Header=BB169_43 Depth=1
	s_or_b64 exec, exec, s[44:45]
	s_and_saveexec_b64 s[44:45], vcc
	s_cbranch_execz .LBB169_59
.LBB169_75:                             ;   in Loop: Header=BB169_43 Depth=1
	v_add3_u32 v11, v8, -1, v9
	v_lshl_add_u32 v11, v11, 2, 0
	v_add_u32_e32 v12, v8, v9
	v_lshl_add_u32 v12, v12, 2, 0
	ds_write_b32 v11, v4
	ds_write_b32 v12, v5 offset:8188
	s_or_b64 exec, exec, s[44:45]
	s_and_saveexec_b64 s[44:45], s[0:1]
	s_cbranch_execz .LBB169_42
.LBB169_76:                             ;   in Loop: Header=BB169_43 Depth=1
	ds_write_b32 v6, v9 offset:16444
	s_branch .LBB169_42
.LBB169_77:
	s_or_b64 exec, exec, s[36:37]
	s_ashr_i32 s43, s42, 31
	s_lshl_b64 s[0:1], s[42:43], 3
	s_add_u32 s4, s40, s0
	s_addc_u32 s5, s41, s1
	s_load_dwordx4 s[0:3], s[4:5], 0x0
	s_waitcnt lgkmcnt(0)
	s_sub_i32 s8, s2, s0
	v_cmp_gt_i32_e32 vcc, s8, v0
	s_and_saveexec_b64 s[4:5], vcc
	s_cbranch_execz .LBB169_87
; %bb.78:
	s_sub_u32 s4, s0, s38
	s_subb_u32 s5, s1, 0
	s_and_b32 s10, s8, 7
	s_sub_i32 s0, s0, s2
	s_cmp_lt_u32 s0, -7
	s_cselect_b64 s[0:1], -1, 0
	s_and_b32 s11, s8, -8
	s_cmp_lg_u32 s10, 0
	v_cndmask_b32_e64 v1, 0, 1, s[0:1]
	s_cselect_b64 s[2:3], -1, 0
	v_cmp_ne_u32_e64 s[0:1], 1, v1
	v_cndmask_b32_e64 v1, 0, 1, s[2:3]
	s_mov_b32 s9, 0
	s_mov_b64 s[6:7], 0
	v_cmp_ne_u32_e64 s[2:3], 1, v1
	s_branch .LBB169_80
.LBB169_79:                             ;   in Loop: Header=BB169_80 Depth=1
	v_add_u32_e32 v0, 0x400, v0
	v_cmp_le_i32_e32 vcc, s8, v0
	v_lshl_add_u64 v[4:5], v[4:5], 2, s[34:35]
	s_or_b64 s[6:7], vcc, s[6:7]
	s_waitcnt lgkmcnt(0)
	global_store_dword v[4:5], v3, off
	s_andn2_b64 exec, exec, s[6:7]
	s_cbranch_execz .LBB169_87
.LBB169_80:                             ; =>This Loop Header: Depth=1
                                        ;     Child Loop BB169_82 Depth 2
                                        ;     Child Loop BB169_86 Depth 2
	v_lshl_add_u32 v1, v0, 2, 0
	ds_read2st64_b32 v[2:3], v1 offset1:32
	s_and_b64 vcc, exec, s[0:1]
	v_mov_b64_e32 v[4:5], s[4:5]
	s_mov_b32 s12, 0
	s_cbranch_vccnz .LBB169_84
; %bb.81:                               ;   in Loop: Header=BB169_80 Depth=1
	s_mov_b32 s13, 0
	v_mov_b64_e32 v[4:5], s[4:5]
.LBB169_82:                             ;   Parent Loop BB169_80 Depth=1
                                        ; =>  This Inner Loop Header: Depth=2
	v_mov_b32_e32 v1, s13
	ds_read2_b32 v[22:23], v1 offset1:1
	ds_read2_b32 v[24:25], v1 offset0:2 offset1:3
	ds_read2_b32 v[26:27], v1 offset0:4 offset1:5
	ds_read2_b32 v[28:29], v1 offset0:6 offset1:7
	v_mov_b32_e32 v7, s9
	s_waitcnt lgkmcnt(3)
	v_cmp_gt_i32_e32 vcc, v2, v22
	v_mov_b32_e32 v9, s9
	v_mov_b32_e32 v11, s9
	v_cndmask_b32_e64 v6, 0, 1, vcc
	v_cmp_gt_i32_e32 vcc, v2, v23
	v_lshl_add_u64 v[4:5], v[4:5], 0, v[6:7]
	v_mov_b32_e32 v13, s9
	v_cndmask_b32_e64 v8, 0, 1, vcc
	s_waitcnt lgkmcnt(2)
	v_cmp_gt_i32_e32 vcc, v2, v24
	v_lshl_add_u64 v[4:5], v[4:5], 0, v[8:9]
	v_mov_b32_e32 v15, s9
	v_cndmask_b32_e64 v10, 0, 1, vcc
	v_cmp_gt_i32_e32 vcc, v2, v25
	v_lshl_add_u64 v[4:5], v[4:5], 0, v[10:11]
	v_mov_b32_e32 v17, s9
	v_cndmask_b32_e64 v12, 0, 1, vcc
	s_waitcnt lgkmcnt(1)
	v_cmp_gt_i32_e32 vcc, v2, v26
	v_lshl_add_u64 v[4:5], v[4:5], 0, v[12:13]
	;; [unrolled: 9-line block ×3, first 2 shown]
	s_add_i32 s12, s12, 8
	v_cndmask_b32_e64 v18, 0, 1, vcc
	v_cmp_gt_i32_e32 vcc, v2, v29
	s_add_i32 s13, s13, 32
	v_lshl_add_u64 v[4:5], v[4:5], 0, v[18:19]
	v_cndmask_b32_e64 v20, 0, 1, vcc
	s_cmp_eq_u32 s11, s12
	v_lshl_add_u64 v[4:5], v[4:5], 0, v[20:21]
	s_cbranch_scc0 .LBB169_82
; %bb.83:                               ;   in Loop: Header=BB169_80 Depth=1
	s_mov_b32 s12, s11
.LBB169_84:                             ;   in Loop: Header=BB169_80 Depth=1
	s_and_b64 vcc, exec, s[2:3]
	s_cbranch_vccnz .LBB169_79
; %bb.85:                               ;   in Loop: Header=BB169_80 Depth=1
	s_lshl_b32 s12, s12, 2
	s_add_i32 s12, s12, 0
	s_mov_b32 s13, s10
.LBB169_86:                             ;   Parent Loop BB169_80 Depth=1
                                        ; =>  This Inner Loop Header: Depth=2
	v_mov_b32_e32 v1, s12
	ds_read_b32 v1, v1
	v_mov_b32_e32 v7, s9
	s_add_i32 s12, s12, 4
	s_add_i32 s13, s13, -1
	s_cmp_lg_u32 s13, 0
	s_waitcnt lgkmcnt(0)
	v_cmp_gt_i32_e32 vcc, v2, v1
	s_nop 1
	v_cndmask_b32_e64 v6, 0, 1, vcc
	v_lshl_add_u64 v[4:5], v[4:5], 0, v[6:7]
	s_cbranch_scc1 .LBB169_86
	s_branch .LBB169_79
.LBB169_87:
	s_endpgm
	.section	.rodata,"a",@progbits
	.p2align	6, 0x0
	.amdhsa_kernel _ZN9rocsparseL41csrgemm_numeric_fill_block_per_row_kernelILj1024ELj32ELj2048ELj137ELj64ElifEEvT5_PKS1_S3_NS_24const_host_device_scalarIT6_EEPKT4_S3_PKS5_S9_S3_SB_S6_S9_S3_SB_S9_S3_PS5_21rocsparse_index_base_SD_SD_SD_bbb
		.amdhsa_group_segment_fixed_size 0
		.amdhsa_private_segment_fixed_size 0
		.amdhsa_kernarg_size 156
		.amdhsa_user_sgpr_count 2
		.amdhsa_user_sgpr_dispatch_ptr 0
		.amdhsa_user_sgpr_queue_ptr 0
		.amdhsa_user_sgpr_kernarg_segment_ptr 1
		.amdhsa_user_sgpr_dispatch_id 0
		.amdhsa_user_sgpr_kernarg_preload_length 0
		.amdhsa_user_sgpr_kernarg_preload_offset 0
		.amdhsa_user_sgpr_private_segment_size 0
		.amdhsa_uses_dynamic_stack 0
		.amdhsa_enable_private_segment 0
		.amdhsa_system_sgpr_workgroup_id_x 1
		.amdhsa_system_sgpr_workgroup_id_y 0
		.amdhsa_system_sgpr_workgroup_id_z 0
		.amdhsa_system_sgpr_workgroup_info 0
		.amdhsa_system_vgpr_workitem_id 0
		.amdhsa_next_free_vgpr 30
		.amdhsa_next_free_sgpr 51
		.amdhsa_accum_offset 32
		.amdhsa_reserve_vcc 1
		.amdhsa_float_round_mode_32 0
		.amdhsa_float_round_mode_16_64 0
		.amdhsa_float_denorm_mode_32 3
		.amdhsa_float_denorm_mode_16_64 3
		.amdhsa_dx10_clamp 1
		.amdhsa_ieee_mode 1
		.amdhsa_fp16_overflow 0
		.amdhsa_tg_split 0
		.amdhsa_exception_fp_ieee_invalid_op 0
		.amdhsa_exception_fp_denorm_src 0
		.amdhsa_exception_fp_ieee_div_zero 0
		.amdhsa_exception_fp_ieee_overflow 0
		.amdhsa_exception_fp_ieee_underflow 0
		.amdhsa_exception_fp_ieee_inexact 0
		.amdhsa_exception_int_div_zero 0
	.end_amdhsa_kernel
	.section	.text._ZN9rocsparseL41csrgemm_numeric_fill_block_per_row_kernelILj1024ELj32ELj2048ELj137ELj64ElifEEvT5_PKS1_S3_NS_24const_host_device_scalarIT6_EEPKT4_S3_PKS5_S9_S3_SB_S6_S9_S3_SB_S9_S3_PS5_21rocsparse_index_base_SD_SD_SD_bbb,"axG",@progbits,_ZN9rocsparseL41csrgemm_numeric_fill_block_per_row_kernelILj1024ELj32ELj2048ELj137ELj64ElifEEvT5_PKS1_S3_NS_24const_host_device_scalarIT6_EEPKT4_S3_PKS5_S9_S3_SB_S6_S9_S3_SB_S9_S3_PS5_21rocsparse_index_base_SD_SD_SD_bbb,comdat
.Lfunc_end169:
	.size	_ZN9rocsparseL41csrgemm_numeric_fill_block_per_row_kernelILj1024ELj32ELj2048ELj137ELj64ElifEEvT5_PKS1_S3_NS_24const_host_device_scalarIT6_EEPKT4_S3_PKS5_S9_S3_SB_S6_S9_S3_SB_S9_S3_PS5_21rocsparse_index_base_SD_SD_SD_bbb, .Lfunc_end169-_ZN9rocsparseL41csrgemm_numeric_fill_block_per_row_kernelILj1024ELj32ELj2048ELj137ELj64ElifEEvT5_PKS1_S3_NS_24const_host_device_scalarIT6_EEPKT4_S3_PKS5_S9_S3_SB_S6_S9_S3_SB_S9_S3_PS5_21rocsparse_index_base_SD_SD_SD_bbb
                                        ; -- End function
	.set _ZN9rocsparseL41csrgemm_numeric_fill_block_per_row_kernelILj1024ELj32ELj2048ELj137ELj64ElifEEvT5_PKS1_S3_NS_24const_host_device_scalarIT6_EEPKT4_S3_PKS5_S9_S3_SB_S6_S9_S3_SB_S9_S3_PS5_21rocsparse_index_base_SD_SD_SD_bbb.num_vgpr, 30
	.set _ZN9rocsparseL41csrgemm_numeric_fill_block_per_row_kernelILj1024ELj32ELj2048ELj137ELj64ElifEEvT5_PKS1_S3_NS_24const_host_device_scalarIT6_EEPKT4_S3_PKS5_S9_S3_SB_S6_S9_S3_SB_S9_S3_PS5_21rocsparse_index_base_SD_SD_SD_bbb.num_agpr, 0
	.set _ZN9rocsparseL41csrgemm_numeric_fill_block_per_row_kernelILj1024ELj32ELj2048ELj137ELj64ElifEEvT5_PKS1_S3_NS_24const_host_device_scalarIT6_EEPKT4_S3_PKS5_S9_S3_SB_S6_S9_S3_SB_S9_S3_PS5_21rocsparse_index_base_SD_SD_SD_bbb.numbered_sgpr, 51
	.set _ZN9rocsparseL41csrgemm_numeric_fill_block_per_row_kernelILj1024ELj32ELj2048ELj137ELj64ElifEEvT5_PKS1_S3_NS_24const_host_device_scalarIT6_EEPKT4_S3_PKS5_S9_S3_SB_S6_S9_S3_SB_S9_S3_PS5_21rocsparse_index_base_SD_SD_SD_bbb.num_named_barrier, 0
	.set _ZN9rocsparseL41csrgemm_numeric_fill_block_per_row_kernelILj1024ELj32ELj2048ELj137ELj64ElifEEvT5_PKS1_S3_NS_24const_host_device_scalarIT6_EEPKT4_S3_PKS5_S9_S3_SB_S6_S9_S3_SB_S9_S3_PS5_21rocsparse_index_base_SD_SD_SD_bbb.private_seg_size, 0
	.set _ZN9rocsparseL41csrgemm_numeric_fill_block_per_row_kernelILj1024ELj32ELj2048ELj137ELj64ElifEEvT5_PKS1_S3_NS_24const_host_device_scalarIT6_EEPKT4_S3_PKS5_S9_S3_SB_S6_S9_S3_SB_S9_S3_PS5_21rocsparse_index_base_SD_SD_SD_bbb.uses_vcc, 1
	.set _ZN9rocsparseL41csrgemm_numeric_fill_block_per_row_kernelILj1024ELj32ELj2048ELj137ELj64ElifEEvT5_PKS1_S3_NS_24const_host_device_scalarIT6_EEPKT4_S3_PKS5_S9_S3_SB_S6_S9_S3_SB_S9_S3_PS5_21rocsparse_index_base_SD_SD_SD_bbb.uses_flat_scratch, 0
	.set _ZN9rocsparseL41csrgemm_numeric_fill_block_per_row_kernelILj1024ELj32ELj2048ELj137ELj64ElifEEvT5_PKS1_S3_NS_24const_host_device_scalarIT6_EEPKT4_S3_PKS5_S9_S3_SB_S6_S9_S3_SB_S9_S3_PS5_21rocsparse_index_base_SD_SD_SD_bbb.has_dyn_sized_stack, 0
	.set _ZN9rocsparseL41csrgemm_numeric_fill_block_per_row_kernelILj1024ELj32ELj2048ELj137ELj64ElifEEvT5_PKS1_S3_NS_24const_host_device_scalarIT6_EEPKT4_S3_PKS5_S9_S3_SB_S6_S9_S3_SB_S9_S3_PS5_21rocsparse_index_base_SD_SD_SD_bbb.has_recursion, 0
	.set _ZN9rocsparseL41csrgemm_numeric_fill_block_per_row_kernelILj1024ELj32ELj2048ELj137ELj64ElifEEvT5_PKS1_S3_NS_24const_host_device_scalarIT6_EEPKT4_S3_PKS5_S9_S3_SB_S6_S9_S3_SB_S9_S3_PS5_21rocsparse_index_base_SD_SD_SD_bbb.has_indirect_call, 0
	.section	.AMDGPU.csdata,"",@progbits
; Kernel info:
; codeLenInByte = 3004
; TotalNumSgprs: 57
; NumVgprs: 30
; NumAgprs: 0
; TotalNumVgprs: 30
; ScratchSize: 0
; MemoryBound: 0
; FloatMode: 240
; IeeeMode: 1
; LDSByteSize: 0 bytes/workgroup (compile time only)
; SGPRBlocks: 7
; VGPRBlocks: 3
; NumSGPRsForWavesPerEU: 57
; NumVGPRsForWavesPerEU: 30
; AccumOffset: 32
; Occupancy: 8
; WaveLimiterHint : 1
; COMPUTE_PGM_RSRC2:SCRATCH_EN: 0
; COMPUTE_PGM_RSRC2:USER_SGPR: 2
; COMPUTE_PGM_RSRC2:TRAP_HANDLER: 0
; COMPUTE_PGM_RSRC2:TGID_X_EN: 1
; COMPUTE_PGM_RSRC2:TGID_Y_EN: 0
; COMPUTE_PGM_RSRC2:TGID_Z_EN: 0
; COMPUTE_PGM_RSRC2:TIDIG_COMP_CNT: 0
; COMPUTE_PGM_RSRC3_GFX90A:ACCUM_OFFSET: 7
; COMPUTE_PGM_RSRC3_GFX90A:TG_SPLIT: 0
	.section	.text._ZN9rocsparseL41csrgemm_numeric_fill_block_per_row_kernelILj1024ELj64ELj4096ELj137ELj32ElifEEvT5_PKS1_S3_NS_24const_host_device_scalarIT6_EEPKT4_S3_PKS5_S9_S3_SB_S6_S9_S3_SB_S9_S3_PS5_21rocsparse_index_base_SD_SD_SD_bbb,"axG",@progbits,_ZN9rocsparseL41csrgemm_numeric_fill_block_per_row_kernelILj1024ELj64ELj4096ELj137ELj32ElifEEvT5_PKS1_S3_NS_24const_host_device_scalarIT6_EEPKT4_S3_PKS5_S9_S3_SB_S6_S9_S3_SB_S9_S3_PS5_21rocsparse_index_base_SD_SD_SD_bbb,comdat
	.globl	_ZN9rocsparseL41csrgemm_numeric_fill_block_per_row_kernelILj1024ELj64ELj4096ELj137ELj32ElifEEvT5_PKS1_S3_NS_24const_host_device_scalarIT6_EEPKT4_S3_PKS5_S9_S3_SB_S6_S9_S3_SB_S9_S3_PS5_21rocsparse_index_base_SD_SD_SD_bbb ; -- Begin function _ZN9rocsparseL41csrgemm_numeric_fill_block_per_row_kernelILj1024ELj64ELj4096ELj137ELj32ElifEEvT5_PKS1_S3_NS_24const_host_device_scalarIT6_EEPKT4_S3_PKS5_S9_S3_SB_S6_S9_S3_SB_S9_S3_PS5_21rocsparse_index_base_SD_SD_SD_bbb
	.p2align	8
	.type	_ZN9rocsparseL41csrgemm_numeric_fill_block_per_row_kernelILj1024ELj64ELj4096ELj137ELj32ElifEEvT5_PKS1_S3_NS_24const_host_device_scalarIT6_EEPKT4_S3_PKS5_S9_S3_SB_S6_S9_S3_SB_S9_S3_PS5_21rocsparse_index_base_SD_SD_SD_bbb,@function
_ZN9rocsparseL41csrgemm_numeric_fill_block_per_row_kernelILj1024ELj64ELj4096ELj137ELj32ElifEEvT5_PKS1_S3_NS_24const_host_device_scalarIT6_EEPKT4_S3_PKS5_S9_S3_SB_S6_S9_S3_SB_S9_S3_PS5_21rocsparse_index_base_SD_SD_SD_bbb: ; @_ZN9rocsparseL41csrgemm_numeric_fill_block_per_row_kernelILj1024ELj64ELj4096ELj137ELj32ElifEEvT5_PKS1_S3_NS_24const_host_device_scalarIT6_EEPKT4_S3_PKS5_S9_S3_SB_S6_S9_S3_SB_S9_S3_PS5_21rocsparse_index_base_SD_SD_SD_bbb
; %bb.0:
	s_load_dword s3, s[0:1], 0x98
	s_load_dwordx4 s[64:67], s[0:1], 0x88
	s_load_dwordx2 s[4:5], s[0:1], 0x18
	s_load_dwordx2 s[16:17], s[0:1], 0x50
	s_waitcnt lgkmcnt(0)
	s_bitcmp1_b32 s3, 0
	s_cselect_b64 s[6:7], -1, 0
	s_bitcmp1_b32 s3, 16
	s_cselect_b64 s[18:19], -1, 0
	s_xor_b64 s[8:9], s[6:7], -1
	s_or_b64 s[8:9], s[18:19], s[8:9]
	s_and_b64 vcc, exec, s[8:9]
	s_cbranch_vccnz .LBB170_2
; %bb.1:
	s_load_dword s4, s[4:5], 0x0
	s_waitcnt lgkmcnt(0)
	v_mov_b32_e32 v12, s4
	s_branch .LBB170_3
.LBB170_2:
	v_mov_b32_e32 v1, s4
	v_cndmask_b32_e64 v12, 0, v1, s[6:7]
.LBB170_3:
	s_load_dwordx2 s[68:69], s[0:1], 0x80
	s_load_dwordx2 s[70:71], s[0:1], 0x70
	;; [unrolled: 1-line block ×3, first 2 shown]
	s_load_dwordx4 s[24:27], s[0:1], 0x8
	s_load_dwordx8 s[8:15], s[0:1], 0x20
	s_bitcmp1_b32 s3, 8
	s_cselect_b64 s[4:5], -1, 0
	s_xor_b64 s[20:21], s[4:5], -1
	s_or_b64 s[18:19], s[18:19], s[20:21]
	s_and_b64 vcc, exec, s[18:19]
	s_cbranch_vccnz .LBB170_5
; %bb.4:
	s_load_dword s3, s[16:17], 0x0
	s_waitcnt lgkmcnt(0)
	v_mov_b32_e32 v11, s3
	s_branch .LBB170_6
.LBB170_5:
	v_mov_b32_e32 v1, s16
	v_cndmask_b32_e64 v11, 0, v1, s[4:5]
.LBB170_6:
	s_load_dwordx4 s[20:23], s[0:1], 0x40
	s_load_dword s33, s[0:1], 0x0
	s_load_dwordx4 s[16:19], s[0:1], 0x60
	v_or_b32_e32 v1, 0xfffffc00, v0
	v_lshl_add_u32 v10, v0, 2, 0
	s_mov_b64 s[0:1], 0
	s_waitcnt lgkmcnt(0)
	v_mov_b32_e32 v2, s33
	v_mov_b32_e32 v3, 0
	s_movk_i32 s3, 0xbff
	v_mov_b32_e32 v4, v10
	v_mov_b32_e32 v5, v1
.LBB170_7:                              ; =>This Inner Loop Header: Depth=1
	v_add_u32_e32 v5, 0x400, v5
	v_cmp_lt_u32_e32 vcc, s3, v5
	ds_write2st64_b32 v4, v2, v3 offset1:64
	s_or_b64 s[0:1], vcc, s[0:1]
	v_add_u32_e32 v4, 0x1000, v4
	s_andn2_b64 exec, exec, s[0:1]
	s_cbranch_execnz .LBB170_7
; %bb.8:
	s_or_b64 exec, exec, s[0:1]
	s_waitcnt lgkmcnt(0)
	s_barrier
	s_load_dword s0, s[24:25], 0x0
	s_mov_b32 s1, 0
	s_waitcnt lgkmcnt(0)
	s_add_i32 s0, s0, s2
	s_lshl_b64 s[0:1], s[0:1], 2
	s_add_u32 s0, s26, s0
	s_addc_u32 s1, s27, s1
	s_load_dword s72, s[0:1], 0x0
	s_and_b64 vcc, exec, s[6:7]
	s_cbranch_vccz .LBB170_26
; %bb.9:
	s_waitcnt lgkmcnt(0)
	s_ashr_i32 s73, s72, 31
	s_lshl_b64 s[0:1], s[72:73], 3
	s_add_u32 s0, s8, s0
	s_addc_u32 s1, s9, s1
	s_load_dwordx4 s[24:27], s[0:1], 0x0
	v_lshrrev_b32_e32 v2, 6, v0
	v_subrev_co_u32_e32 v2, vcc, s64, v2
	s_waitcnt lgkmcnt(0)
	s_sub_u32 s0, s26, s64
	v_subb_co_u32_e64 v3, s[2:3], 0, 0, vcc
	s_subb_u32 s1, s27, 0
	v_lshl_add_u64 v[2:3], s[24:25], 0, v[2:3]
	v_cmp_gt_i64_e32 vcc, s[0:1], v[2:3]
	s_and_saveexec_b64 s[2:3], vcc
	s_cbranch_execz .LBB170_25
; %bb.10:
	v_and_b32_e32 v4, 63, v0
	v_subrev_co_u32_e32 v4, vcc, s65, v4
	s_mov_b32 s40, s65
	s_nop 0
	v_subb_co_u32_e64 v5, s[6:7], 0, 0, vcc
	s_mov_b64 s[6:7], 0
	s_movk_i32 s41, 0x89
	s_branch .LBB170_12
.LBB170_11:                             ;   in Loop: Header=BB170_12 Depth=1
	s_or_b64 exec, exec, s[8:9]
	v_lshl_add_u64 v[2:3], v[2:3], 0, 16
	v_cmp_le_i64_e32 vcc, s[0:1], v[2:3]
	s_or_b64 s[6:7], vcc, s[6:7]
	s_andn2_b64 exec, exec, s[6:7]
	s_cbranch_execz .LBB170_25
.LBB170_12:                             ; =>This Loop Header: Depth=1
                                        ;     Child Loop BB170_16 Depth 2
                                        ;       Child Loop BB170_19 Depth 3
	v_lshl_add_u64 v[6:7], v[2:3], 2, s[10:11]
	global_load_dword v6, v[6:7], off
	s_waitcnt vmcnt(0)
	v_subrev_u32_e32 v6, s64, v6
	v_ashrrev_i32_e32 v7, 31, v6
	v_lshl_add_u64 v[6:7], v[6:7], 3, s[14:15]
	global_load_dwordx4 v[14:17], v[6:7], off
	s_waitcnt vmcnt(0)
	v_subrev_co_u32_e32 v6, vcc, s40, v16
	s_nop 1
	v_subbrev_co_u32_e32 v7, vcc, 0, v17, vcc
	v_lshl_add_u64 v[8:9], v[14:15], 0, v[4:5]
	v_cmp_lt_i64_e32 vcc, v[8:9], v[6:7]
	s_and_saveexec_b64 s[8:9], vcc
	s_cbranch_execz .LBB170_11
; %bb.13:                               ;   in Loop: Header=BB170_12 Depth=1
	v_lshl_add_u64 v[14:15], v[2:3], 2, s[12:13]
	global_load_dword v13, v[14:15], off
	s_mov_b64 s[24:25], 0
	s_waitcnt vmcnt(0)
	v_mul_f32_e32 v13, v12, v13
	s_branch .LBB170_16
.LBB170_14:                             ;   in Loop: Header=BB170_16 Depth=2
	s_or_b64 exec, exec, s[30:31]
.LBB170_15:                             ;   in Loop: Header=BB170_16 Depth=2
	s_or_b64 exec, exec, s[26:27]
	s_waitcnt vmcnt(0)
	v_mul_f32_e32 v14, v13, v14
	v_lshl_add_u32 v15, v15, 2, 0
	ds_add_f32 v15, v14 offset:16384
	v_lshl_add_u64 v[8:9], v[8:9], 0, 64
	v_cmp_ge_i64_e32 vcc, v[8:9], v[6:7]
	s_or_b64 s[24:25], vcc, s[24:25]
	s_andn2_b64 exec, exec, s[24:25]
	s_cbranch_execz .LBB170_11
.LBB170_16:                             ;   Parent Loop BB170_12 Depth=1
                                        ; =>  This Loop Header: Depth=2
                                        ;       Child Loop BB170_19 Depth 3
	v_lshlrev_b64 v[14:15], 2, v[8:9]
	v_lshl_add_u64 v[16:17], s[20:21], 0, v[14:15]
	global_load_dword v16, v[16:17], off
	v_lshl_add_u64 v[14:15], s[22:23], 0, v[14:15]
	global_load_dword v14, v[14:15], off
	s_waitcnt vmcnt(1)
	v_subrev_u32_e32 v16, s65, v16
	v_mul_lo_u32 v15, v16, s41
	v_and_b32_e32 v15, 0xfff, v15
	v_lshl_add_u32 v17, v15, 2, 0
	ds_read_b32 v18, v17
	s_waitcnt lgkmcnt(0)
	v_cmp_ne_u32_e32 vcc, v18, v16
	s_and_saveexec_b64 s[26:27], vcc
	s_cbranch_execz .LBB170_15
; %bb.17:                               ;   in Loop: Header=BB170_16 Depth=2
	s_mov_b64 s[30:31], 0
	s_branch .LBB170_19
.LBB170_18:                             ;   in Loop: Header=BB170_19 Depth=3
	s_or_b64 exec, exec, s[38:39]
	s_and_b64 s[34:35], exec, s[36:37]
	s_or_b64 s[30:31], s[34:35], s[30:31]
	s_andn2_b64 exec, exec, s[30:31]
	s_cbranch_execz .LBB170_14
.LBB170_19:                             ;   Parent Loop BB170_12 Depth=1
                                        ;     Parent Loop BB170_16 Depth=2
                                        ; =>    This Inner Loop Header: Depth=3
	v_cmp_ne_u32_e32 vcc, s33, v18
	s_mov_b64 s[34:35], 0
	s_and_saveexec_b64 s[36:37], vcc
	s_xor_b64 s[36:37], exec, s[36:37]
	s_cbranch_execz .LBB170_21
; %bb.20:                               ;   in Loop: Header=BB170_19 Depth=3
	v_add_u32_e32 v15, 1, v15
	s_mov_b64 s[34:35], exec
	v_and_b32_e32 v15, 0xfff, v15
                                        ; implicit-def: $vgpr17
	s_andn2_saveexec_b64 s[36:37], s[36:37]
	s_cbranch_execz .LBB170_23
	s_branch .LBB170_22
.LBB170_21:                             ;   in Loop: Header=BB170_19 Depth=3
	s_andn2_saveexec_b64 s[36:37], s[36:37]
	s_cbranch_execz .LBB170_23
.LBB170_22:                             ;   in Loop: Header=BB170_19 Depth=3
	v_mov_b32_e32 v18, s33
	ds_cmpst_rtn_b32 v17, v17, v18, v16
	s_andn2_b64 s[34:35], s[34:35], exec
	s_waitcnt lgkmcnt(0)
	v_cmp_ne_u32_e32 vcc, s33, v17
	s_and_b64 s[38:39], vcc, exec
	s_or_b64 s[34:35], s[34:35], s[38:39]
.LBB170_23:                             ;   in Loop: Header=BB170_19 Depth=3
	s_or_b64 exec, exec, s[36:37]
	s_mov_b64 s[36:37], -1
                                        ; implicit-def: $vgpr17
                                        ; implicit-def: $vgpr18
	s_and_saveexec_b64 s[38:39], s[34:35]
	s_cbranch_execz .LBB170_18
; %bb.24:                               ;   in Loop: Header=BB170_19 Depth=3
	v_lshl_add_u32 v17, v15, 2, 0
	ds_read_b32 v18, v17
	s_waitcnt lgkmcnt(0)
	v_cmp_eq_u32_e32 vcc, v18, v16
	s_orn2_b64 s[36:37], vcc, exec
	s_branch .LBB170_18
.LBB170_25:
	s_or_b64 exec, exec, s[2:3]
.LBB170_26:
	s_andn2_b64 vcc, exec, s[4:5]
	s_cbranch_vccnz .LBB170_41
; %bb.27:
	s_waitcnt lgkmcnt(0)
	s_ashr_i32 s73, s72, 31
	s_lshl_b64 s[0:1], s[72:73], 3
	s_add_u32 s0, s28, s0
	s_addc_u32 s1, s29, s1
	s_load_dwordx4 s[4:7], s[0:1], 0x0
	v_subrev_co_u32_e32 v2, vcc, s67, v0
	s_nop 1
	v_subb_co_u32_e64 v3, s[0:1], 0, 0, vcc
	s_waitcnt lgkmcnt(0)
	s_sub_u32 s0, s6, s67
	s_subb_u32 s1, s7, 0
	v_lshl_add_u64 v[2:3], s[4:5], 0, v[2:3]
	v_cmp_gt_i64_e32 vcc, s[0:1], v[2:3]
	s_and_saveexec_b64 s[2:3], vcc
	s_cbranch_execz .LBB170_40
; %bb.28:
	s_mov_b64 s[4:5], 0
	s_movk_i32 s22, 0x89
	s_mov_b64 s[6:7], 0x400
	s_branch .LBB170_31
.LBB170_29:                             ;   in Loop: Header=BB170_31 Depth=1
	s_or_b64 exec, exec, s[10:11]
.LBB170_30:                             ;   in Loop: Header=BB170_31 Depth=1
	s_or_b64 exec, exec, s[8:9]
	s_waitcnt vmcnt(0)
	v_mul_f32_e32 v4, v11, v4
	v_lshl_add_u32 v5, v5, 2, 0
	ds_add_f32 v5, v4 offset:16384
	v_lshl_add_u64 v[2:3], v[2:3], 0, s[6:7]
	v_cmp_le_i64_e32 vcc, s[0:1], v[2:3]
	s_or_b64 s[4:5], vcc, s[4:5]
	s_andn2_b64 exec, exec, s[4:5]
	s_cbranch_execz .LBB170_40
.LBB170_31:                             ; =>This Loop Header: Depth=1
                                        ;     Child Loop BB170_34 Depth 2
	v_lshlrev_b64 v[4:5], 2, v[2:3]
	v_lshl_add_u64 v[6:7], s[16:17], 0, v[4:5]
	global_load_dword v6, v[6:7], off
	v_lshl_add_u64 v[4:5], s[18:19], 0, v[4:5]
	global_load_dword v4, v[4:5], off
	s_waitcnt vmcnt(1)
	v_subrev_u32_e32 v6, s67, v6
	v_mul_lo_u32 v5, v6, s22
	v_and_b32_e32 v5, 0xfff, v5
	v_lshl_add_u32 v7, v5, 2, 0
	ds_read_b32 v8, v7
	s_waitcnt lgkmcnt(0)
	v_cmp_ne_u32_e32 vcc, v8, v6
	s_and_saveexec_b64 s[8:9], vcc
	s_cbranch_execz .LBB170_30
; %bb.32:                               ;   in Loop: Header=BB170_31 Depth=1
	s_mov_b64 s[10:11], 0
	s_branch .LBB170_34
.LBB170_33:                             ;   in Loop: Header=BB170_34 Depth=2
	s_or_b64 exec, exec, s[20:21]
	s_and_b64 s[12:13], exec, s[14:15]
	s_or_b64 s[10:11], s[12:13], s[10:11]
	s_andn2_b64 exec, exec, s[10:11]
	s_cbranch_execz .LBB170_29
.LBB170_34:                             ;   Parent Loop BB170_31 Depth=1
                                        ; =>  This Inner Loop Header: Depth=2
	v_cmp_ne_u32_e32 vcc, s33, v8
	s_mov_b64 s[12:13], 0
	s_and_saveexec_b64 s[14:15], vcc
	s_xor_b64 s[14:15], exec, s[14:15]
	s_cbranch_execz .LBB170_36
; %bb.35:                               ;   in Loop: Header=BB170_34 Depth=2
	v_add_u32_e32 v5, 1, v5
	s_mov_b64 s[12:13], exec
	v_and_b32_e32 v5, 0xfff, v5
                                        ; implicit-def: $vgpr7
	s_andn2_saveexec_b64 s[14:15], s[14:15]
	s_cbranch_execz .LBB170_38
	s_branch .LBB170_37
.LBB170_36:                             ;   in Loop: Header=BB170_34 Depth=2
	s_andn2_saveexec_b64 s[14:15], s[14:15]
	s_cbranch_execz .LBB170_38
.LBB170_37:                             ;   in Loop: Header=BB170_34 Depth=2
	v_mov_b32_e32 v8, s33
	ds_cmpst_rtn_b32 v7, v7, v8, v6
	s_andn2_b64 s[12:13], s[12:13], exec
	s_waitcnt lgkmcnt(0)
	v_cmp_ne_u32_e32 vcc, s33, v7
	s_and_b64 s[20:21], vcc, exec
	s_or_b64 s[12:13], s[12:13], s[20:21]
.LBB170_38:                             ;   in Loop: Header=BB170_34 Depth=2
	s_or_b64 exec, exec, s[14:15]
	s_mov_b64 s[14:15], -1
                                        ; implicit-def: $vgpr7
                                        ; implicit-def: $vgpr8
	s_and_saveexec_b64 s[20:21], s[12:13]
	s_cbranch_execz .LBB170_33
; %bb.39:                               ;   in Loop: Header=BB170_34 Depth=2
	v_lshl_add_u32 v7, v5, 2, 0
	ds_read_b32 v8, v7
	s_waitcnt lgkmcnt(0)
	v_cmp_eq_u32_e32 vcc, v8, v6
	s_orn2_b64 s[14:15], vcc, exec
	s_branch .LBB170_33
.LBB170_40:
	s_or_b64 exec, exec, s[2:3]
.LBB170_41:
	v_mbcnt_lo_u32_b32 v2, -1, 0
	v_mbcnt_hi_u32_b32 v2, -1, v2
	v_lshrrev_b32_e32 v4, 3, v0
	v_sub_u32_e32 v2, 63, v2
	v_and_b32_e32 v4, 0x7c, v4
	s_movk_i32 s0, 0x3ff
	s_movk_i32 s4, 0x5f
	;; [unrolled: 1-line block ×30, first 2 shown]
	v_mov_b32_e32 v6, 0
	v_lshrrev_b64 v[2:3], v2, -1
	v_add_u32_e32 v7, 0, v4
	v_cmp_eq_u32_e32 vcc, s0, v0
	v_cmp_lt_u32_e64 s[0:1], 31, v0
	v_cmp_lt_u32_e64 s[2:3], 63, v0
	v_cmp_lt_u32_e64 s[4:5], s4, v0
	v_cmp_lt_u32_e64 s[6:7], s6, v0
	v_cmp_lt_u32_e64 s[8:9], s8, v0
	v_cmp_lt_u32_e64 s[10:11], s10, v0
	v_cmp_lt_u32_e64 s[12:13], s12, v0
	v_cmp_lt_u32_e64 s[14:15], s14, v0
	v_cmp_lt_u32_e64 s[16:17], s16, v0
	v_cmp_lt_u32_e64 s[18:19], s18, v0
	v_cmp_lt_u32_e64 s[20:21], s20, v0
	v_cmp_lt_u32_e64 s[22:23], s22, v0
	v_cmp_lt_u32_e64 s[24:25], s24, v0
	v_cmp_lt_u32_e64 s[26:27], s26, v0
	v_cmp_lt_u32_e64 s[28:29], s28, v0
	v_cmp_lt_u32_e64 s[30:31], s30, v0
	v_cmp_lt_u32_e64 s[34:35], s34, v0
	v_cmp_lt_u32_e64 s[36:37], s36, v0
	v_cmp_lt_u32_e64 s[38:39], s38, v0
	v_cmp_lt_u32_e64 s[40:41], s40, v0
	v_cmp_lt_u32_e64 s[42:43], s42, v0
	v_cmp_lt_u32_e64 s[44:45], s44, v0
	v_cmp_lt_u32_e64 s[46:47], s46, v0
	v_cmp_lt_u32_e64 s[48:49], s48, v0
	v_cmp_lt_u32_e64 s[50:51], s50, v0
	v_cmp_lt_u32_e64 s[52:53], s52, v0
	v_cmp_lt_u32_e64 s[54:55], s54, v0
	v_cmp_lt_u32_e64 s[56:57], s56, v0
	v_cmp_lt_u32_e64 s[58:59], s58, v0
	v_cmp_lt_u32_e64 s[60:61], s60, v0
	v_cmp_lt_u32_e64 s[62:63], s62, v0
	s_mov_b64 s[74:75], 0
	s_movk_i32 s67, 0xbff
	v_mov_b32_e32 v8, 0
	s_waitcnt lgkmcnt(0)
	s_barrier
	s_branch .LBB170_43
.LBB170_42:                             ;   in Loop: Header=BB170_43 Depth=1
	s_or_b64 exec, exec, s[64:65]
	s_waitcnt lgkmcnt(0)
	s_barrier
	ds_read_b32 v4, v6 offset:32892
	v_add_u32_e32 v1, 0x400, v1
	v_cmp_lt_u32_e64 s[64:65], s67, v1
	s_or_b64 s[74:75], s[64:65], s[74:75]
	v_add_u32_e32 v10, 0x1000, v10
	s_waitcnt lgkmcnt(0)
	v_add_u32_e32 v8, v4, v8
	s_andn2_b64 exec, exec, s[74:75]
	s_cbranch_execz .LBB170_109
.LBB170_43:                             ; =>This Inner Loop Header: Depth=1
	ds_read2st64_b32 v[4:5], v10 offset1:64
	s_waitcnt lgkmcnt(0)
	s_barrier
	v_cmp_gt_i32_e64 s[64:65], s33, v4
	s_bcnt1_i32_b64 s73, s[64:65]
	s_nop 0
	v_and_b32_e32 v11, s64, v2
	v_and_b32_e32 v9, s65, v3
	v_bcnt_u32_b32 v11, v11, 0
	v_bcnt_u32_b32 v9, v9, v11
	v_mov_b32_e32 v11, s73
	ds_write_b32 v7, v11 offset:32768
	s_waitcnt lgkmcnt(0)
	s_barrier
	s_and_saveexec_b64 s[76:77], s[0:1]
	s_cbranch_execz .LBB170_76
; %bb.44:                               ;   in Loop: Header=BB170_43 Depth=1
	ds_read_b32 v11, v6 offset:32768
	s_waitcnt lgkmcnt(0)
	v_add_u32_e32 v9, v11, v9
	s_or_b64 exec, exec, s[76:77]
	s_and_saveexec_b64 s[76:77], s[2:3]
	s_cbranch_execnz .LBB170_77
.LBB170_45:                             ;   in Loop: Header=BB170_43 Depth=1
	s_or_b64 exec, exec, s[76:77]
	s_and_saveexec_b64 s[76:77], s[4:5]
	s_cbranch_execz .LBB170_78
.LBB170_46:                             ;   in Loop: Header=BB170_43 Depth=1
	ds_read_b32 v11, v6 offset:32776
	s_waitcnt lgkmcnt(0)
	v_add_u32_e32 v9, v11, v9
	s_or_b64 exec, exec, s[76:77]
	s_and_saveexec_b64 s[76:77], s[6:7]
	s_cbranch_execnz .LBB170_79
.LBB170_47:                             ;   in Loop: Header=BB170_43 Depth=1
	s_or_b64 exec, exec, s[76:77]
	s_and_saveexec_b64 s[76:77], s[8:9]
	s_cbranch_execz .LBB170_80
.LBB170_48:                             ;   in Loop: Header=BB170_43 Depth=1
	ds_read_b32 v11, v6 offset:32784
	s_waitcnt lgkmcnt(0)
	v_add_u32_e32 v9, v11, v9
	s_or_b64 exec, exec, s[76:77]
	s_and_saveexec_b64 s[76:77], s[10:11]
	s_cbranch_execnz .LBB170_81
.LBB170_49:                             ;   in Loop: Header=BB170_43 Depth=1
	s_or_b64 exec, exec, s[76:77]
	s_and_saveexec_b64 s[76:77], s[12:13]
	s_cbranch_execz .LBB170_82
.LBB170_50:                             ;   in Loop: Header=BB170_43 Depth=1
	ds_read_b32 v11, v6 offset:32792
	s_waitcnt lgkmcnt(0)
	v_add_u32_e32 v9, v11, v9
	s_or_b64 exec, exec, s[76:77]
	s_and_saveexec_b64 s[76:77], s[14:15]
	s_cbranch_execnz .LBB170_83
.LBB170_51:                             ;   in Loop: Header=BB170_43 Depth=1
	s_or_b64 exec, exec, s[76:77]
	s_and_saveexec_b64 s[76:77], s[16:17]
	s_cbranch_execz .LBB170_84
.LBB170_52:                             ;   in Loop: Header=BB170_43 Depth=1
	ds_read_b32 v11, v6 offset:32800
	s_waitcnt lgkmcnt(0)
	v_add_u32_e32 v9, v11, v9
	s_or_b64 exec, exec, s[76:77]
	s_and_saveexec_b64 s[76:77], s[18:19]
	s_cbranch_execnz .LBB170_85
.LBB170_53:                             ;   in Loop: Header=BB170_43 Depth=1
	s_or_b64 exec, exec, s[76:77]
	s_and_saveexec_b64 s[76:77], s[20:21]
	s_cbranch_execz .LBB170_86
.LBB170_54:                             ;   in Loop: Header=BB170_43 Depth=1
	ds_read_b32 v11, v6 offset:32808
	s_waitcnt lgkmcnt(0)
	v_add_u32_e32 v9, v11, v9
	s_or_b64 exec, exec, s[76:77]
	s_and_saveexec_b64 s[76:77], s[22:23]
	s_cbranch_execnz .LBB170_87
.LBB170_55:                             ;   in Loop: Header=BB170_43 Depth=1
	s_or_b64 exec, exec, s[76:77]
	s_and_saveexec_b64 s[76:77], s[24:25]
	s_cbranch_execz .LBB170_88
.LBB170_56:                             ;   in Loop: Header=BB170_43 Depth=1
	ds_read_b32 v11, v6 offset:32816
	s_waitcnt lgkmcnt(0)
	v_add_u32_e32 v9, v11, v9
	s_or_b64 exec, exec, s[76:77]
	s_and_saveexec_b64 s[76:77], s[26:27]
	s_cbranch_execnz .LBB170_89
.LBB170_57:                             ;   in Loop: Header=BB170_43 Depth=1
	s_or_b64 exec, exec, s[76:77]
	s_and_saveexec_b64 s[76:77], s[28:29]
	s_cbranch_execz .LBB170_90
.LBB170_58:                             ;   in Loop: Header=BB170_43 Depth=1
	ds_read_b32 v11, v6 offset:32824
	s_waitcnt lgkmcnt(0)
	v_add_u32_e32 v9, v11, v9
	s_or_b64 exec, exec, s[76:77]
	s_and_saveexec_b64 s[76:77], s[30:31]
	s_cbranch_execnz .LBB170_91
.LBB170_59:                             ;   in Loop: Header=BB170_43 Depth=1
	s_or_b64 exec, exec, s[76:77]
	s_and_saveexec_b64 s[76:77], s[34:35]
	s_cbranch_execz .LBB170_92
.LBB170_60:                             ;   in Loop: Header=BB170_43 Depth=1
	ds_read_b32 v11, v6 offset:32832
	s_waitcnt lgkmcnt(0)
	v_add_u32_e32 v9, v11, v9
	s_or_b64 exec, exec, s[76:77]
	s_and_saveexec_b64 s[76:77], s[36:37]
	s_cbranch_execnz .LBB170_93
.LBB170_61:                             ;   in Loop: Header=BB170_43 Depth=1
	s_or_b64 exec, exec, s[76:77]
	s_and_saveexec_b64 s[76:77], s[38:39]
	s_cbranch_execz .LBB170_94
.LBB170_62:                             ;   in Loop: Header=BB170_43 Depth=1
	ds_read_b32 v11, v6 offset:32840
	s_waitcnt lgkmcnt(0)
	v_add_u32_e32 v9, v11, v9
	s_or_b64 exec, exec, s[76:77]
	s_and_saveexec_b64 s[76:77], s[40:41]
	s_cbranch_execnz .LBB170_95
.LBB170_63:                             ;   in Loop: Header=BB170_43 Depth=1
	s_or_b64 exec, exec, s[76:77]
	s_and_saveexec_b64 s[76:77], s[42:43]
	s_cbranch_execz .LBB170_96
.LBB170_64:                             ;   in Loop: Header=BB170_43 Depth=1
	ds_read_b32 v11, v6 offset:32848
	s_waitcnt lgkmcnt(0)
	v_add_u32_e32 v9, v11, v9
	s_or_b64 exec, exec, s[76:77]
	s_and_saveexec_b64 s[76:77], s[44:45]
	s_cbranch_execnz .LBB170_97
.LBB170_65:                             ;   in Loop: Header=BB170_43 Depth=1
	s_or_b64 exec, exec, s[76:77]
	s_and_saveexec_b64 s[76:77], s[46:47]
	s_cbranch_execz .LBB170_98
.LBB170_66:                             ;   in Loop: Header=BB170_43 Depth=1
	ds_read_b32 v11, v6 offset:32856
	s_waitcnt lgkmcnt(0)
	v_add_u32_e32 v9, v11, v9
	s_or_b64 exec, exec, s[76:77]
	s_and_saveexec_b64 s[76:77], s[48:49]
	s_cbranch_execnz .LBB170_99
.LBB170_67:                             ;   in Loop: Header=BB170_43 Depth=1
	s_or_b64 exec, exec, s[76:77]
	s_and_saveexec_b64 s[76:77], s[50:51]
	s_cbranch_execz .LBB170_100
.LBB170_68:                             ;   in Loop: Header=BB170_43 Depth=1
	ds_read_b32 v11, v6 offset:32864
	s_waitcnt lgkmcnt(0)
	v_add_u32_e32 v9, v11, v9
	s_or_b64 exec, exec, s[76:77]
	s_and_saveexec_b64 s[76:77], s[52:53]
	s_cbranch_execnz .LBB170_101
.LBB170_69:                             ;   in Loop: Header=BB170_43 Depth=1
	s_or_b64 exec, exec, s[76:77]
	s_and_saveexec_b64 s[76:77], s[54:55]
	s_cbranch_execz .LBB170_102
.LBB170_70:                             ;   in Loop: Header=BB170_43 Depth=1
	ds_read_b32 v11, v6 offset:32872
	s_waitcnt lgkmcnt(0)
	v_add_u32_e32 v9, v11, v9
	s_or_b64 exec, exec, s[76:77]
	s_and_saveexec_b64 s[76:77], s[56:57]
	s_cbranch_execnz .LBB170_103
.LBB170_71:                             ;   in Loop: Header=BB170_43 Depth=1
	s_or_b64 exec, exec, s[76:77]
	s_and_saveexec_b64 s[76:77], s[58:59]
	s_cbranch_execz .LBB170_104
.LBB170_72:                             ;   in Loop: Header=BB170_43 Depth=1
	ds_read_b32 v11, v6 offset:32880
	s_waitcnt lgkmcnt(0)
	v_add_u32_e32 v9, v11, v9
	s_or_b64 exec, exec, s[76:77]
	s_and_saveexec_b64 s[76:77], s[60:61]
	s_cbranch_execnz .LBB170_105
.LBB170_73:                             ;   in Loop: Header=BB170_43 Depth=1
	s_or_b64 exec, exec, s[76:77]
	s_and_saveexec_b64 s[76:77], s[62:63]
	s_cbranch_execz .LBB170_106
.LBB170_74:                             ;   in Loop: Header=BB170_43 Depth=1
	ds_read_b32 v11, v6 offset:32888
	s_waitcnt lgkmcnt(0)
	v_add_u32_e32 v9, v11, v9
	s_or_b64 exec, exec, s[76:77]
	s_and_saveexec_b64 s[76:77], s[64:65]
	s_cbranch_execnz .LBB170_107
.LBB170_75:                             ;   in Loop: Header=BB170_43 Depth=1
	s_or_b64 exec, exec, s[76:77]
	s_and_saveexec_b64 s[64:65], vcc
	s_cbranch_execz .LBB170_42
	s_branch .LBB170_108
.LBB170_76:                             ;   in Loop: Header=BB170_43 Depth=1
	s_or_b64 exec, exec, s[76:77]
	s_and_saveexec_b64 s[76:77], s[2:3]
	s_cbranch_execz .LBB170_45
.LBB170_77:                             ;   in Loop: Header=BB170_43 Depth=1
	ds_read_b32 v11, v6 offset:32772
	s_waitcnt lgkmcnt(0)
	v_add_u32_e32 v9, v11, v9
	s_or_b64 exec, exec, s[76:77]
	s_and_saveexec_b64 s[76:77], s[4:5]
	s_cbranch_execnz .LBB170_46
.LBB170_78:                             ;   in Loop: Header=BB170_43 Depth=1
	s_or_b64 exec, exec, s[76:77]
	s_and_saveexec_b64 s[76:77], s[6:7]
	s_cbranch_execz .LBB170_47
.LBB170_79:                             ;   in Loop: Header=BB170_43 Depth=1
	ds_read_b32 v11, v6 offset:32780
	s_waitcnt lgkmcnt(0)
	v_add_u32_e32 v9, v11, v9
	s_or_b64 exec, exec, s[76:77]
	s_and_saveexec_b64 s[76:77], s[8:9]
	s_cbranch_execnz .LBB170_48
.LBB170_80:                             ;   in Loop: Header=BB170_43 Depth=1
	s_or_b64 exec, exec, s[76:77]
	s_and_saveexec_b64 s[76:77], s[10:11]
	s_cbranch_execz .LBB170_49
.LBB170_81:                             ;   in Loop: Header=BB170_43 Depth=1
	ds_read_b32 v11, v6 offset:32788
	s_waitcnt lgkmcnt(0)
	v_add_u32_e32 v9, v11, v9
	s_or_b64 exec, exec, s[76:77]
	s_and_saveexec_b64 s[76:77], s[12:13]
	s_cbranch_execnz .LBB170_50
.LBB170_82:                             ;   in Loop: Header=BB170_43 Depth=1
	s_or_b64 exec, exec, s[76:77]
	s_and_saveexec_b64 s[76:77], s[14:15]
	s_cbranch_execz .LBB170_51
.LBB170_83:                             ;   in Loop: Header=BB170_43 Depth=1
	ds_read_b32 v11, v6 offset:32796
	s_waitcnt lgkmcnt(0)
	v_add_u32_e32 v9, v11, v9
	s_or_b64 exec, exec, s[76:77]
	s_and_saveexec_b64 s[76:77], s[16:17]
	s_cbranch_execnz .LBB170_52
.LBB170_84:                             ;   in Loop: Header=BB170_43 Depth=1
	s_or_b64 exec, exec, s[76:77]
	s_and_saveexec_b64 s[76:77], s[18:19]
	s_cbranch_execz .LBB170_53
.LBB170_85:                             ;   in Loop: Header=BB170_43 Depth=1
	ds_read_b32 v11, v6 offset:32804
	s_waitcnt lgkmcnt(0)
	v_add_u32_e32 v9, v11, v9
	s_or_b64 exec, exec, s[76:77]
	s_and_saveexec_b64 s[76:77], s[20:21]
	s_cbranch_execnz .LBB170_54
.LBB170_86:                             ;   in Loop: Header=BB170_43 Depth=1
	s_or_b64 exec, exec, s[76:77]
	s_and_saveexec_b64 s[76:77], s[22:23]
	s_cbranch_execz .LBB170_55
.LBB170_87:                             ;   in Loop: Header=BB170_43 Depth=1
	ds_read_b32 v11, v6 offset:32812
	s_waitcnt lgkmcnt(0)
	v_add_u32_e32 v9, v11, v9
	s_or_b64 exec, exec, s[76:77]
	s_and_saveexec_b64 s[76:77], s[24:25]
	s_cbranch_execnz .LBB170_56
.LBB170_88:                             ;   in Loop: Header=BB170_43 Depth=1
	s_or_b64 exec, exec, s[76:77]
	s_and_saveexec_b64 s[76:77], s[26:27]
	s_cbranch_execz .LBB170_57
.LBB170_89:                             ;   in Loop: Header=BB170_43 Depth=1
	ds_read_b32 v11, v6 offset:32820
	s_waitcnt lgkmcnt(0)
	v_add_u32_e32 v9, v11, v9
	s_or_b64 exec, exec, s[76:77]
	s_and_saveexec_b64 s[76:77], s[28:29]
	s_cbranch_execnz .LBB170_58
.LBB170_90:                             ;   in Loop: Header=BB170_43 Depth=1
	s_or_b64 exec, exec, s[76:77]
	s_and_saveexec_b64 s[76:77], s[30:31]
	s_cbranch_execz .LBB170_59
.LBB170_91:                             ;   in Loop: Header=BB170_43 Depth=1
	ds_read_b32 v11, v6 offset:32828
	s_waitcnt lgkmcnt(0)
	v_add_u32_e32 v9, v11, v9
	s_or_b64 exec, exec, s[76:77]
	s_and_saveexec_b64 s[76:77], s[34:35]
	s_cbranch_execnz .LBB170_60
.LBB170_92:                             ;   in Loop: Header=BB170_43 Depth=1
	s_or_b64 exec, exec, s[76:77]
	s_and_saveexec_b64 s[76:77], s[36:37]
	s_cbranch_execz .LBB170_61
.LBB170_93:                             ;   in Loop: Header=BB170_43 Depth=1
	ds_read_b32 v11, v6 offset:32836
	s_waitcnt lgkmcnt(0)
	v_add_u32_e32 v9, v11, v9
	s_or_b64 exec, exec, s[76:77]
	s_and_saveexec_b64 s[76:77], s[38:39]
	s_cbranch_execnz .LBB170_62
.LBB170_94:                             ;   in Loop: Header=BB170_43 Depth=1
	s_or_b64 exec, exec, s[76:77]
	s_and_saveexec_b64 s[76:77], s[40:41]
	s_cbranch_execz .LBB170_63
.LBB170_95:                             ;   in Loop: Header=BB170_43 Depth=1
	ds_read_b32 v11, v6 offset:32844
	s_waitcnt lgkmcnt(0)
	v_add_u32_e32 v9, v11, v9
	s_or_b64 exec, exec, s[76:77]
	s_and_saveexec_b64 s[76:77], s[42:43]
	s_cbranch_execnz .LBB170_64
.LBB170_96:                             ;   in Loop: Header=BB170_43 Depth=1
	s_or_b64 exec, exec, s[76:77]
	s_and_saveexec_b64 s[76:77], s[44:45]
	s_cbranch_execz .LBB170_65
.LBB170_97:                             ;   in Loop: Header=BB170_43 Depth=1
	ds_read_b32 v11, v6 offset:32852
	s_waitcnt lgkmcnt(0)
	v_add_u32_e32 v9, v11, v9
	s_or_b64 exec, exec, s[76:77]
	s_and_saveexec_b64 s[76:77], s[46:47]
	s_cbranch_execnz .LBB170_66
.LBB170_98:                             ;   in Loop: Header=BB170_43 Depth=1
	s_or_b64 exec, exec, s[76:77]
	s_and_saveexec_b64 s[76:77], s[48:49]
	s_cbranch_execz .LBB170_67
.LBB170_99:                             ;   in Loop: Header=BB170_43 Depth=1
	ds_read_b32 v11, v6 offset:32860
	s_waitcnt lgkmcnt(0)
	v_add_u32_e32 v9, v11, v9
	s_or_b64 exec, exec, s[76:77]
	s_and_saveexec_b64 s[76:77], s[50:51]
	s_cbranch_execnz .LBB170_68
.LBB170_100:                            ;   in Loop: Header=BB170_43 Depth=1
	s_or_b64 exec, exec, s[76:77]
	s_and_saveexec_b64 s[76:77], s[52:53]
	s_cbranch_execz .LBB170_69
.LBB170_101:                            ;   in Loop: Header=BB170_43 Depth=1
	ds_read_b32 v11, v6 offset:32868
	s_waitcnt lgkmcnt(0)
	v_add_u32_e32 v9, v11, v9
	s_or_b64 exec, exec, s[76:77]
	s_and_saveexec_b64 s[76:77], s[54:55]
	s_cbranch_execnz .LBB170_70
.LBB170_102:                            ;   in Loop: Header=BB170_43 Depth=1
	s_or_b64 exec, exec, s[76:77]
	s_and_saveexec_b64 s[76:77], s[56:57]
	s_cbranch_execz .LBB170_71
.LBB170_103:                            ;   in Loop: Header=BB170_43 Depth=1
	ds_read_b32 v11, v6 offset:32876
	s_waitcnt lgkmcnt(0)
	v_add_u32_e32 v9, v11, v9
	s_or_b64 exec, exec, s[76:77]
	s_and_saveexec_b64 s[76:77], s[58:59]
	s_cbranch_execnz .LBB170_72
.LBB170_104:                            ;   in Loop: Header=BB170_43 Depth=1
	s_or_b64 exec, exec, s[76:77]
	s_and_saveexec_b64 s[76:77], s[60:61]
	s_cbranch_execz .LBB170_73
.LBB170_105:                            ;   in Loop: Header=BB170_43 Depth=1
	ds_read_b32 v11, v6 offset:32884
	s_waitcnt lgkmcnt(0)
	v_add_u32_e32 v9, v11, v9
	s_or_b64 exec, exec, s[76:77]
	s_and_saveexec_b64 s[76:77], s[62:63]
	s_cbranch_execnz .LBB170_74
.LBB170_106:                            ;   in Loop: Header=BB170_43 Depth=1
	s_or_b64 exec, exec, s[76:77]
	s_and_saveexec_b64 s[76:77], s[64:65]
	s_cbranch_execz .LBB170_75
.LBB170_107:                            ;   in Loop: Header=BB170_43 Depth=1
	v_add3_u32 v11, v8, -1, v9
	v_lshl_add_u32 v11, v11, 2, 0
	v_add_u32_e32 v12, v8, v9
	v_lshl_add_u32 v12, v12, 2, 0
	ds_write_b32 v11, v4
	ds_write_b32 v12, v5 offset:16380
	s_or_b64 exec, exec, s[76:77]
	s_and_saveexec_b64 s[64:65], vcc
	s_cbranch_execz .LBB170_42
.LBB170_108:                            ;   in Loop: Header=BB170_43 Depth=1
	ds_write_b32 v6, v9 offset:32892
	s_branch .LBB170_42
.LBB170_109:
	s_or_b64 exec, exec, s[74:75]
	s_ashr_i32 s73, s72, 31
	s_lshl_b64 s[0:1], s[72:73], 3
	s_add_u32 s4, s70, s0
	s_addc_u32 s5, s71, s1
	s_load_dwordx4 s[0:3], s[4:5], 0x0
	s_waitcnt lgkmcnt(0)
	s_sub_i32 s8, s2, s0
	v_cmp_gt_i32_e32 vcc, s8, v0
	s_and_saveexec_b64 s[4:5], vcc
	s_cbranch_execz .LBB170_119
; %bb.110:
	s_sub_u32 s4, s0, s66
	s_subb_u32 s5, s1, 0
	s_and_b32 s10, s8, 7
	s_sub_i32 s0, s0, s2
	s_cmp_lt_u32 s0, -7
	s_cselect_b64 s[0:1], -1, 0
	s_and_b32 s11, s8, -8
	s_cmp_lg_u32 s10, 0
	v_cndmask_b32_e64 v1, 0, 1, s[0:1]
	s_cselect_b64 s[2:3], -1, 0
	v_cmp_ne_u32_e64 s[0:1], 1, v1
	v_cndmask_b32_e64 v1, 0, 1, s[2:3]
	s_mov_b32 s9, 0
	s_mov_b64 s[6:7], 0
	v_cmp_ne_u32_e64 s[2:3], 1, v1
	s_branch .LBB170_112
.LBB170_111:                            ;   in Loop: Header=BB170_112 Depth=1
	v_add_u32_e32 v0, 0x400, v0
	v_cmp_le_i32_e32 vcc, s8, v0
	v_lshl_add_u64 v[4:5], v[4:5], 2, s[68:69]
	s_or_b64 s[6:7], vcc, s[6:7]
	s_waitcnt lgkmcnt(0)
	global_store_dword v[4:5], v3, off
	s_andn2_b64 exec, exec, s[6:7]
	s_cbranch_execz .LBB170_119
.LBB170_112:                            ; =>This Loop Header: Depth=1
                                        ;     Child Loop BB170_114 Depth 2
                                        ;     Child Loop BB170_118 Depth 2
	v_lshl_add_u32 v1, v0, 2, 0
	ds_read2st64_b32 v[2:3], v1 offset1:64
	s_and_b64 vcc, exec, s[0:1]
	v_mov_b64_e32 v[4:5], s[4:5]
	s_mov_b32 s12, 0
	s_cbranch_vccnz .LBB170_116
; %bb.113:                              ;   in Loop: Header=BB170_112 Depth=1
	s_mov_b32 s13, 0
	v_mov_b64_e32 v[4:5], s[4:5]
.LBB170_114:                            ;   Parent Loop BB170_112 Depth=1
                                        ; =>  This Inner Loop Header: Depth=2
	v_mov_b32_e32 v1, s13
	ds_read2_b32 v[22:23], v1 offset1:1
	ds_read2_b32 v[24:25], v1 offset0:2 offset1:3
	ds_read2_b32 v[26:27], v1 offset0:4 offset1:5
	;; [unrolled: 1-line block ×3, first 2 shown]
	v_mov_b32_e32 v7, s9
	s_waitcnt lgkmcnt(3)
	v_cmp_gt_i32_e32 vcc, v2, v22
	v_mov_b32_e32 v9, s9
	v_mov_b32_e32 v11, s9
	v_cndmask_b32_e64 v6, 0, 1, vcc
	v_cmp_gt_i32_e32 vcc, v2, v23
	v_lshl_add_u64 v[4:5], v[4:5], 0, v[6:7]
	v_mov_b32_e32 v13, s9
	v_cndmask_b32_e64 v8, 0, 1, vcc
	s_waitcnt lgkmcnt(2)
	v_cmp_gt_i32_e32 vcc, v2, v24
	v_lshl_add_u64 v[4:5], v[4:5], 0, v[8:9]
	v_mov_b32_e32 v15, s9
	v_cndmask_b32_e64 v10, 0, 1, vcc
	v_cmp_gt_i32_e32 vcc, v2, v25
	v_lshl_add_u64 v[4:5], v[4:5], 0, v[10:11]
	v_mov_b32_e32 v17, s9
	v_cndmask_b32_e64 v12, 0, 1, vcc
	s_waitcnt lgkmcnt(1)
	v_cmp_gt_i32_e32 vcc, v2, v26
	v_lshl_add_u64 v[4:5], v[4:5], 0, v[12:13]
	;; [unrolled: 9-line block ×3, first 2 shown]
	s_add_i32 s12, s12, 8
	v_cndmask_b32_e64 v18, 0, 1, vcc
	v_cmp_gt_i32_e32 vcc, v2, v29
	s_add_i32 s13, s13, 32
	v_lshl_add_u64 v[4:5], v[4:5], 0, v[18:19]
	v_cndmask_b32_e64 v20, 0, 1, vcc
	s_cmp_eq_u32 s11, s12
	v_lshl_add_u64 v[4:5], v[4:5], 0, v[20:21]
	s_cbranch_scc0 .LBB170_114
; %bb.115:                              ;   in Loop: Header=BB170_112 Depth=1
	s_mov_b32 s12, s11
.LBB170_116:                            ;   in Loop: Header=BB170_112 Depth=1
	s_and_b64 vcc, exec, s[2:3]
	s_cbranch_vccnz .LBB170_111
; %bb.117:                              ;   in Loop: Header=BB170_112 Depth=1
	s_lshl_b32 s12, s12, 2
	s_add_i32 s12, s12, 0
	s_mov_b32 s13, s10
.LBB170_118:                            ;   Parent Loop BB170_112 Depth=1
                                        ; =>  This Inner Loop Header: Depth=2
	v_mov_b32_e32 v1, s12
	ds_read_b32 v1, v1
	v_mov_b32_e32 v7, s9
	s_add_i32 s12, s12, 4
	s_add_i32 s13, s13, -1
	s_cmp_lg_u32 s13, 0
	s_waitcnt lgkmcnt(0)
	v_cmp_gt_i32_e32 vcc, v2, v1
	s_nop 1
	v_cndmask_b32_e64 v6, 0, 1, vcc
	v_lshl_add_u64 v[4:5], v[4:5], 0, v[6:7]
	s_cbranch_scc1 .LBB170_118
	s_branch .LBB170_111
.LBB170_119:
	s_endpgm
	.section	.rodata,"a",@progbits
	.p2align	6, 0x0
	.amdhsa_kernel _ZN9rocsparseL41csrgemm_numeric_fill_block_per_row_kernelILj1024ELj64ELj4096ELj137ELj32ElifEEvT5_PKS1_S3_NS_24const_host_device_scalarIT6_EEPKT4_S3_PKS5_S9_S3_SB_S6_S9_S3_SB_S9_S3_PS5_21rocsparse_index_base_SD_SD_SD_bbb
		.amdhsa_group_segment_fixed_size 0
		.amdhsa_private_segment_fixed_size 0
		.amdhsa_kernarg_size 156
		.amdhsa_user_sgpr_count 2
		.amdhsa_user_sgpr_dispatch_ptr 0
		.amdhsa_user_sgpr_queue_ptr 0
		.amdhsa_user_sgpr_kernarg_segment_ptr 1
		.amdhsa_user_sgpr_dispatch_id 0
		.amdhsa_user_sgpr_kernarg_preload_length 0
		.amdhsa_user_sgpr_kernarg_preload_offset 0
		.amdhsa_user_sgpr_private_segment_size 0
		.amdhsa_uses_dynamic_stack 0
		.amdhsa_enable_private_segment 0
		.amdhsa_system_sgpr_workgroup_id_x 1
		.amdhsa_system_sgpr_workgroup_id_y 0
		.amdhsa_system_sgpr_workgroup_id_z 0
		.amdhsa_system_sgpr_workgroup_info 0
		.amdhsa_system_vgpr_workitem_id 0
		.amdhsa_next_free_vgpr 30
		.amdhsa_next_free_sgpr 78
		.amdhsa_accum_offset 32
		.amdhsa_reserve_vcc 1
		.amdhsa_float_round_mode_32 0
		.amdhsa_float_round_mode_16_64 0
		.amdhsa_float_denorm_mode_32 3
		.amdhsa_float_denorm_mode_16_64 3
		.amdhsa_dx10_clamp 1
		.amdhsa_ieee_mode 1
		.amdhsa_fp16_overflow 0
		.amdhsa_tg_split 0
		.amdhsa_exception_fp_ieee_invalid_op 0
		.amdhsa_exception_fp_denorm_src 0
		.amdhsa_exception_fp_ieee_div_zero 0
		.amdhsa_exception_fp_ieee_overflow 0
		.amdhsa_exception_fp_ieee_underflow 0
		.amdhsa_exception_fp_ieee_inexact 0
		.amdhsa_exception_int_div_zero 0
	.end_amdhsa_kernel
	.section	.text._ZN9rocsparseL41csrgemm_numeric_fill_block_per_row_kernelILj1024ELj64ELj4096ELj137ELj32ElifEEvT5_PKS1_S3_NS_24const_host_device_scalarIT6_EEPKT4_S3_PKS5_S9_S3_SB_S6_S9_S3_SB_S9_S3_PS5_21rocsparse_index_base_SD_SD_SD_bbb,"axG",@progbits,_ZN9rocsparseL41csrgemm_numeric_fill_block_per_row_kernelILj1024ELj64ELj4096ELj137ELj32ElifEEvT5_PKS1_S3_NS_24const_host_device_scalarIT6_EEPKT4_S3_PKS5_S9_S3_SB_S6_S9_S3_SB_S9_S3_PS5_21rocsparse_index_base_SD_SD_SD_bbb,comdat
.Lfunc_end170:
	.size	_ZN9rocsparseL41csrgemm_numeric_fill_block_per_row_kernelILj1024ELj64ELj4096ELj137ELj32ElifEEvT5_PKS1_S3_NS_24const_host_device_scalarIT6_EEPKT4_S3_PKS5_S9_S3_SB_S6_S9_S3_SB_S9_S3_PS5_21rocsparse_index_base_SD_SD_SD_bbb, .Lfunc_end170-_ZN9rocsparseL41csrgemm_numeric_fill_block_per_row_kernelILj1024ELj64ELj4096ELj137ELj32ElifEEvT5_PKS1_S3_NS_24const_host_device_scalarIT6_EEPKT4_S3_PKS5_S9_S3_SB_S6_S9_S3_SB_S9_S3_PS5_21rocsparse_index_base_SD_SD_SD_bbb
                                        ; -- End function
	.set _ZN9rocsparseL41csrgemm_numeric_fill_block_per_row_kernelILj1024ELj64ELj4096ELj137ELj32ElifEEvT5_PKS1_S3_NS_24const_host_device_scalarIT6_EEPKT4_S3_PKS5_S9_S3_SB_S6_S9_S3_SB_S9_S3_PS5_21rocsparse_index_base_SD_SD_SD_bbb.num_vgpr, 30
	.set _ZN9rocsparseL41csrgemm_numeric_fill_block_per_row_kernelILj1024ELj64ELj4096ELj137ELj32ElifEEvT5_PKS1_S3_NS_24const_host_device_scalarIT6_EEPKT4_S3_PKS5_S9_S3_SB_S6_S9_S3_SB_S9_S3_PS5_21rocsparse_index_base_SD_SD_SD_bbb.num_agpr, 0
	.set _ZN9rocsparseL41csrgemm_numeric_fill_block_per_row_kernelILj1024ELj64ELj4096ELj137ELj32ElifEEvT5_PKS1_S3_NS_24const_host_device_scalarIT6_EEPKT4_S3_PKS5_S9_S3_SB_S6_S9_S3_SB_S9_S3_PS5_21rocsparse_index_base_SD_SD_SD_bbb.numbered_sgpr, 78
	.set _ZN9rocsparseL41csrgemm_numeric_fill_block_per_row_kernelILj1024ELj64ELj4096ELj137ELj32ElifEEvT5_PKS1_S3_NS_24const_host_device_scalarIT6_EEPKT4_S3_PKS5_S9_S3_SB_S6_S9_S3_SB_S9_S3_PS5_21rocsparse_index_base_SD_SD_SD_bbb.num_named_barrier, 0
	.set _ZN9rocsparseL41csrgemm_numeric_fill_block_per_row_kernelILj1024ELj64ELj4096ELj137ELj32ElifEEvT5_PKS1_S3_NS_24const_host_device_scalarIT6_EEPKT4_S3_PKS5_S9_S3_SB_S6_S9_S3_SB_S9_S3_PS5_21rocsparse_index_base_SD_SD_SD_bbb.private_seg_size, 0
	.set _ZN9rocsparseL41csrgemm_numeric_fill_block_per_row_kernelILj1024ELj64ELj4096ELj137ELj32ElifEEvT5_PKS1_S3_NS_24const_host_device_scalarIT6_EEPKT4_S3_PKS5_S9_S3_SB_S6_S9_S3_SB_S9_S3_PS5_21rocsparse_index_base_SD_SD_SD_bbb.uses_vcc, 1
	.set _ZN9rocsparseL41csrgemm_numeric_fill_block_per_row_kernelILj1024ELj64ELj4096ELj137ELj32ElifEEvT5_PKS1_S3_NS_24const_host_device_scalarIT6_EEPKT4_S3_PKS5_S9_S3_SB_S6_S9_S3_SB_S9_S3_PS5_21rocsparse_index_base_SD_SD_SD_bbb.uses_flat_scratch, 0
	.set _ZN9rocsparseL41csrgemm_numeric_fill_block_per_row_kernelILj1024ELj64ELj4096ELj137ELj32ElifEEvT5_PKS1_S3_NS_24const_host_device_scalarIT6_EEPKT4_S3_PKS5_S9_S3_SB_S6_S9_S3_SB_S9_S3_PS5_21rocsparse_index_base_SD_SD_SD_bbb.has_dyn_sized_stack, 0
	.set _ZN9rocsparseL41csrgemm_numeric_fill_block_per_row_kernelILj1024ELj64ELj4096ELj137ELj32ElifEEvT5_PKS1_S3_NS_24const_host_device_scalarIT6_EEPKT4_S3_PKS5_S9_S3_SB_S6_S9_S3_SB_S9_S3_PS5_21rocsparse_index_base_SD_SD_SD_bbb.has_recursion, 0
	.set _ZN9rocsparseL41csrgemm_numeric_fill_block_per_row_kernelILj1024ELj64ELj4096ELj137ELj32ElifEEvT5_PKS1_S3_NS_24const_host_device_scalarIT6_EEPKT4_S3_PKS5_S9_S3_SB_S6_S9_S3_SB_S9_S3_PS5_21rocsparse_index_base_SD_SD_SD_bbb.has_indirect_call, 0
	.section	.AMDGPU.csdata,"",@progbits
; Kernel info:
; codeLenInByte = 3840
; TotalNumSgprs: 84
; NumVgprs: 30
; NumAgprs: 0
; TotalNumVgprs: 30
; ScratchSize: 0
; MemoryBound: 0
; FloatMode: 240
; IeeeMode: 1
; LDSByteSize: 0 bytes/workgroup (compile time only)
; SGPRBlocks: 10
; VGPRBlocks: 3
; NumSGPRsForWavesPerEU: 84
; NumVGPRsForWavesPerEU: 30
; AccumOffset: 32
; Occupancy: 8
; WaveLimiterHint : 1
; COMPUTE_PGM_RSRC2:SCRATCH_EN: 0
; COMPUTE_PGM_RSRC2:USER_SGPR: 2
; COMPUTE_PGM_RSRC2:TRAP_HANDLER: 0
; COMPUTE_PGM_RSRC2:TGID_X_EN: 1
; COMPUTE_PGM_RSRC2:TGID_Y_EN: 0
; COMPUTE_PGM_RSRC2:TGID_Z_EN: 0
; COMPUTE_PGM_RSRC2:TIDIG_COMP_CNT: 0
; COMPUTE_PGM_RSRC3_GFX90A:ACCUM_OFFSET: 7
; COMPUTE_PGM_RSRC3_GFX90A:TG_SPLIT: 0
	.section	.text._ZN9rocsparseL41csrgemm_numeric_fill_block_per_row_kernelILj1024ELj64ELj4096ELj137ELj64ElifEEvT5_PKS1_S3_NS_24const_host_device_scalarIT6_EEPKT4_S3_PKS5_S9_S3_SB_S6_S9_S3_SB_S9_S3_PS5_21rocsparse_index_base_SD_SD_SD_bbb,"axG",@progbits,_ZN9rocsparseL41csrgemm_numeric_fill_block_per_row_kernelILj1024ELj64ELj4096ELj137ELj64ElifEEvT5_PKS1_S3_NS_24const_host_device_scalarIT6_EEPKT4_S3_PKS5_S9_S3_SB_S6_S9_S3_SB_S9_S3_PS5_21rocsparse_index_base_SD_SD_SD_bbb,comdat
	.globl	_ZN9rocsparseL41csrgemm_numeric_fill_block_per_row_kernelILj1024ELj64ELj4096ELj137ELj64ElifEEvT5_PKS1_S3_NS_24const_host_device_scalarIT6_EEPKT4_S3_PKS5_S9_S3_SB_S6_S9_S3_SB_S9_S3_PS5_21rocsparse_index_base_SD_SD_SD_bbb ; -- Begin function _ZN9rocsparseL41csrgemm_numeric_fill_block_per_row_kernelILj1024ELj64ELj4096ELj137ELj64ElifEEvT5_PKS1_S3_NS_24const_host_device_scalarIT6_EEPKT4_S3_PKS5_S9_S3_SB_S6_S9_S3_SB_S9_S3_PS5_21rocsparse_index_base_SD_SD_SD_bbb
	.p2align	8
	.type	_ZN9rocsparseL41csrgemm_numeric_fill_block_per_row_kernelILj1024ELj64ELj4096ELj137ELj64ElifEEvT5_PKS1_S3_NS_24const_host_device_scalarIT6_EEPKT4_S3_PKS5_S9_S3_SB_S6_S9_S3_SB_S9_S3_PS5_21rocsparse_index_base_SD_SD_SD_bbb,@function
_ZN9rocsparseL41csrgemm_numeric_fill_block_per_row_kernelILj1024ELj64ELj4096ELj137ELj64ElifEEvT5_PKS1_S3_NS_24const_host_device_scalarIT6_EEPKT4_S3_PKS5_S9_S3_SB_S6_S9_S3_SB_S9_S3_PS5_21rocsparse_index_base_SD_SD_SD_bbb: ; @_ZN9rocsparseL41csrgemm_numeric_fill_block_per_row_kernelILj1024ELj64ELj4096ELj137ELj64ElifEEvT5_PKS1_S3_NS_24const_host_device_scalarIT6_EEPKT4_S3_PKS5_S9_S3_SB_S6_S9_S3_SB_S9_S3_PS5_21rocsparse_index_base_SD_SD_SD_bbb
; %bb.0:
	s_load_dword s3, s[0:1], 0x98
	s_load_dwordx4 s[36:39], s[0:1], 0x88
	s_load_dwordx2 s[4:5], s[0:1], 0x18
	s_load_dwordx2 s[16:17], s[0:1], 0x50
	s_waitcnt lgkmcnt(0)
	s_bitcmp1_b32 s3, 0
	s_cselect_b64 s[6:7], -1, 0
	s_bitcmp1_b32 s3, 16
	s_cselect_b64 s[18:19], -1, 0
	s_xor_b64 s[8:9], s[6:7], -1
	s_or_b64 s[8:9], s[18:19], s[8:9]
	s_and_b64 vcc, exec, s[8:9]
	s_cbranch_vccnz .LBB171_2
; %bb.1:
	s_load_dword s4, s[4:5], 0x0
	s_waitcnt lgkmcnt(0)
	v_mov_b32_e32 v13, s4
	s_branch .LBB171_3
.LBB171_2:
	v_mov_b32_e32 v1, s4
	v_cndmask_b32_e64 v13, 0, v1, s[6:7]
.LBB171_3:
	s_load_dwordx2 s[34:35], s[0:1], 0x80
	s_load_dwordx2 s[40:41], s[0:1], 0x70
	;; [unrolled: 1-line block ×3, first 2 shown]
	s_load_dwordx4 s[24:27], s[0:1], 0x8
	s_load_dwordx8 s[8:15], s[0:1], 0x20
	s_bitcmp1_b32 s3, 8
	s_cselect_b64 s[4:5], -1, 0
	s_xor_b64 s[20:21], s[4:5], -1
	s_or_b64 s[18:19], s[18:19], s[20:21]
	s_and_b64 vcc, exec, s[18:19]
	s_cbranch_vccnz .LBB171_5
; %bb.4:
	s_load_dword s3, s[16:17], 0x0
	s_waitcnt lgkmcnt(0)
	v_mov_b32_e32 v11, s3
	s_branch .LBB171_6
.LBB171_5:
	v_mov_b32_e32 v1, s16
	v_cndmask_b32_e64 v11, 0, v1, s[4:5]
.LBB171_6:
	s_load_dwordx4 s[20:23], s[0:1], 0x40
	s_load_dword s33, s[0:1], 0x0
	s_load_dwordx4 s[16:19], s[0:1], 0x60
	v_or_b32_e32 v1, 0xfffffc00, v0
	v_lshl_add_u32 v10, v0, 2, 0
	s_mov_b64 s[0:1], 0
	s_waitcnt lgkmcnt(0)
	v_mov_b32_e32 v2, s33
	v_mov_b32_e32 v3, 0
	s_movk_i32 s3, 0xbff
	v_mov_b32_e32 v4, v10
	v_mov_b32_e32 v5, v1
.LBB171_7:                              ; =>This Inner Loop Header: Depth=1
	v_add_u32_e32 v5, 0x400, v5
	v_cmp_lt_u32_e32 vcc, s3, v5
	ds_write2st64_b32 v4, v2, v3 offset1:64
	s_or_b64 s[0:1], vcc, s[0:1]
	v_add_u32_e32 v4, 0x1000, v4
	s_andn2_b64 exec, exec, s[0:1]
	s_cbranch_execnz .LBB171_7
; %bb.8:
	s_or_b64 exec, exec, s[0:1]
	s_waitcnt lgkmcnt(0)
	s_barrier
	s_load_dword s0, s[24:25], 0x0
	s_mov_b32 s1, 0
	v_lshrrev_b32_e32 v12, 6, v0
	s_waitcnt lgkmcnt(0)
	s_add_i32 s0, s0, s2
	s_lshl_b64 s[0:1], s[0:1], 2
	s_add_u32 s0, s26, s0
	s_addc_u32 s1, s27, s1
	s_load_dword s42, s[0:1], 0x0
	s_and_b64 vcc, exec, s[6:7]
	s_cbranch_vccz .LBB171_26
; %bb.9:
	s_waitcnt lgkmcnt(0)
	s_ashr_i32 s43, s42, 31
	s_lshl_b64 s[0:1], s[42:43], 3
	s_add_u32 s0, s8, s0
	s_addc_u32 s1, s9, s1
	s_load_dwordx4 s[24:27], s[0:1], 0x0
	v_subrev_co_u32_e32 v2, vcc, s36, v12
	s_nop 1
	v_subb_co_u32_e64 v3, s[0:1], 0, 0, vcc
	s_waitcnt lgkmcnt(0)
	s_sub_u32 s0, s26, s36
	s_subb_u32 s1, s27, 0
	v_lshl_add_u64 v[2:3], s[24:25], 0, v[2:3]
	v_cmp_gt_i64_e32 vcc, s[0:1], v[2:3]
	s_and_saveexec_b64 s[2:3], vcc
	s_cbranch_execz .LBB171_25
; %bb.10:
	v_and_b32_e32 v4, 63, v0
	v_subrev_co_u32_e32 v4, vcc, s37, v4
	s_mov_b32 s43, s37
	s_nop 0
	v_subb_co_u32_e64 v5, s[6:7], 0, 0, vcc
	s_mov_b64 s[6:7], 0
	s_movk_i32 s50, 0x89
	s_branch .LBB171_12
.LBB171_11:                             ;   in Loop: Header=BB171_12 Depth=1
	s_or_b64 exec, exec, s[8:9]
	v_lshl_add_u64 v[2:3], v[2:3], 0, 16
	v_cmp_le_i64_e32 vcc, s[0:1], v[2:3]
	s_or_b64 s[6:7], vcc, s[6:7]
	s_andn2_b64 exec, exec, s[6:7]
	s_cbranch_execz .LBB171_25
.LBB171_12:                             ; =>This Loop Header: Depth=1
                                        ;     Child Loop BB171_16 Depth 2
                                        ;       Child Loop BB171_19 Depth 3
	v_lshl_add_u64 v[6:7], v[2:3], 2, s[10:11]
	global_load_dword v6, v[6:7], off
	s_waitcnt vmcnt(0)
	v_subrev_u32_e32 v6, s36, v6
	v_ashrrev_i32_e32 v7, 31, v6
	v_lshl_add_u64 v[6:7], v[6:7], 3, s[14:15]
	global_load_dwordx4 v[14:17], v[6:7], off
	s_waitcnt vmcnt(0)
	v_subrev_co_u32_e32 v6, vcc, s43, v16
	s_nop 1
	v_subbrev_co_u32_e32 v7, vcc, 0, v17, vcc
	v_lshl_add_u64 v[8:9], v[14:15], 0, v[4:5]
	v_cmp_lt_i64_e32 vcc, v[8:9], v[6:7]
	s_and_saveexec_b64 s[8:9], vcc
	s_cbranch_execz .LBB171_11
; %bb.13:                               ;   in Loop: Header=BB171_12 Depth=1
	v_lshl_add_u64 v[14:15], v[2:3], 2, s[12:13]
	global_load_dword v14, v[14:15], off
	s_mov_b64 s[24:25], 0
	s_waitcnt vmcnt(0)
	v_mul_f32_e32 v14, v13, v14
	s_branch .LBB171_16
.LBB171_14:                             ;   in Loop: Header=BB171_16 Depth=2
	s_or_b64 exec, exec, s[30:31]
.LBB171_15:                             ;   in Loop: Header=BB171_16 Depth=2
	s_or_b64 exec, exec, s[26:27]
	s_waitcnt vmcnt(0)
	v_mul_f32_e32 v15, v14, v15
	v_lshl_add_u32 v16, v16, 2, 0
	ds_add_f32 v16, v15 offset:16384
	v_lshl_add_u64 v[8:9], v[8:9], 0, 64
	v_cmp_ge_i64_e32 vcc, v[8:9], v[6:7]
	s_or_b64 s[24:25], vcc, s[24:25]
	s_andn2_b64 exec, exec, s[24:25]
	s_cbranch_execz .LBB171_11
.LBB171_16:                             ;   Parent Loop BB171_12 Depth=1
                                        ; =>  This Loop Header: Depth=2
                                        ;       Child Loop BB171_19 Depth 3
	v_lshlrev_b64 v[16:17], 2, v[8:9]
	v_lshl_add_u64 v[18:19], s[20:21], 0, v[16:17]
	global_load_dword v18, v[18:19], off
	v_lshl_add_u64 v[16:17], s[22:23], 0, v[16:17]
	global_load_dword v15, v[16:17], off
	s_waitcnt vmcnt(1)
	v_subrev_u32_e32 v17, s37, v18
	v_mul_lo_u32 v16, v17, s50
	v_and_b32_e32 v16, 0xfff, v16
	v_lshl_add_u32 v18, v16, 2, 0
	ds_read_b32 v19, v18
	s_waitcnt lgkmcnt(0)
	v_cmp_ne_u32_e32 vcc, v19, v17
	s_and_saveexec_b64 s[26:27], vcc
	s_cbranch_execz .LBB171_15
; %bb.17:                               ;   in Loop: Header=BB171_16 Depth=2
	s_mov_b64 s[30:31], 0
	s_branch .LBB171_19
.LBB171_18:                             ;   in Loop: Header=BB171_19 Depth=3
	s_or_b64 exec, exec, s[48:49]
	s_and_b64 s[44:45], exec, s[46:47]
	s_or_b64 s[30:31], s[44:45], s[30:31]
	s_andn2_b64 exec, exec, s[30:31]
	s_cbranch_execz .LBB171_14
.LBB171_19:                             ;   Parent Loop BB171_12 Depth=1
                                        ;     Parent Loop BB171_16 Depth=2
                                        ; =>    This Inner Loop Header: Depth=3
	v_cmp_ne_u32_e32 vcc, s33, v19
	s_mov_b64 s[44:45], 0
	s_and_saveexec_b64 s[46:47], vcc
	s_xor_b64 s[46:47], exec, s[46:47]
	s_cbranch_execz .LBB171_21
; %bb.20:                               ;   in Loop: Header=BB171_19 Depth=3
	v_add_u32_e32 v16, 1, v16
	s_mov_b64 s[44:45], exec
	v_and_b32_e32 v16, 0xfff, v16
                                        ; implicit-def: $vgpr18
	s_andn2_saveexec_b64 s[46:47], s[46:47]
	s_cbranch_execz .LBB171_23
	s_branch .LBB171_22
.LBB171_21:                             ;   in Loop: Header=BB171_19 Depth=3
	s_andn2_saveexec_b64 s[46:47], s[46:47]
	s_cbranch_execz .LBB171_23
.LBB171_22:                             ;   in Loop: Header=BB171_19 Depth=3
	v_mov_b32_e32 v19, s33
	ds_cmpst_rtn_b32 v18, v18, v19, v17
	s_andn2_b64 s[44:45], s[44:45], exec
	s_waitcnt lgkmcnt(0)
	v_cmp_ne_u32_e32 vcc, s33, v18
	s_and_b64 s[48:49], vcc, exec
	s_or_b64 s[44:45], s[44:45], s[48:49]
.LBB171_23:                             ;   in Loop: Header=BB171_19 Depth=3
	s_or_b64 exec, exec, s[46:47]
	s_mov_b64 s[46:47], -1
                                        ; implicit-def: $vgpr18
                                        ; implicit-def: $vgpr19
	s_and_saveexec_b64 s[48:49], s[44:45]
	s_cbranch_execz .LBB171_18
; %bb.24:                               ;   in Loop: Header=BB171_19 Depth=3
	v_lshl_add_u32 v18, v16, 2, 0
	ds_read_b32 v19, v18
	s_waitcnt lgkmcnt(0)
	v_cmp_eq_u32_e32 vcc, v19, v17
	s_orn2_b64 s[46:47], vcc, exec
	s_branch .LBB171_18
.LBB171_25:
	s_or_b64 exec, exec, s[2:3]
.LBB171_26:
	s_andn2_b64 vcc, exec, s[4:5]
	s_cbranch_vccnz .LBB171_41
; %bb.27:
	s_waitcnt lgkmcnt(0)
	s_ashr_i32 s43, s42, 31
	s_lshl_b64 s[0:1], s[42:43], 3
	s_add_u32 s0, s28, s0
	s_addc_u32 s1, s29, s1
	s_load_dwordx4 s[4:7], s[0:1], 0x0
	v_subrev_co_u32_e32 v2, vcc, s39, v0
	s_nop 1
	v_subb_co_u32_e64 v3, s[0:1], 0, 0, vcc
	s_waitcnt lgkmcnt(0)
	s_sub_u32 s0, s6, s39
	s_subb_u32 s1, s7, 0
	v_lshl_add_u64 v[2:3], s[4:5], 0, v[2:3]
	v_cmp_gt_i64_e32 vcc, s[0:1], v[2:3]
	s_and_saveexec_b64 s[2:3], vcc
	s_cbranch_execz .LBB171_40
; %bb.28:
	s_mov_b64 s[4:5], 0
	s_movk_i32 s22, 0x89
	s_mov_b64 s[6:7], 0x400
	s_branch .LBB171_31
.LBB171_29:                             ;   in Loop: Header=BB171_31 Depth=1
	s_or_b64 exec, exec, s[10:11]
.LBB171_30:                             ;   in Loop: Header=BB171_31 Depth=1
	s_or_b64 exec, exec, s[8:9]
	s_waitcnt vmcnt(0)
	v_mul_f32_e32 v4, v11, v4
	v_lshl_add_u32 v5, v5, 2, 0
	ds_add_f32 v5, v4 offset:16384
	v_lshl_add_u64 v[2:3], v[2:3], 0, s[6:7]
	v_cmp_le_i64_e32 vcc, s[0:1], v[2:3]
	s_or_b64 s[4:5], vcc, s[4:5]
	s_andn2_b64 exec, exec, s[4:5]
	s_cbranch_execz .LBB171_40
.LBB171_31:                             ; =>This Loop Header: Depth=1
                                        ;     Child Loop BB171_34 Depth 2
	v_lshlrev_b64 v[4:5], 2, v[2:3]
	v_lshl_add_u64 v[6:7], s[16:17], 0, v[4:5]
	global_load_dword v6, v[6:7], off
	v_lshl_add_u64 v[4:5], s[18:19], 0, v[4:5]
	global_load_dword v4, v[4:5], off
	s_waitcnt vmcnt(1)
	v_subrev_u32_e32 v6, s39, v6
	v_mul_lo_u32 v5, v6, s22
	v_and_b32_e32 v5, 0xfff, v5
	v_lshl_add_u32 v7, v5, 2, 0
	ds_read_b32 v8, v7
	s_waitcnt lgkmcnt(0)
	v_cmp_ne_u32_e32 vcc, v8, v6
	s_and_saveexec_b64 s[8:9], vcc
	s_cbranch_execz .LBB171_30
; %bb.32:                               ;   in Loop: Header=BB171_31 Depth=1
	s_mov_b64 s[10:11], 0
	s_branch .LBB171_34
.LBB171_33:                             ;   in Loop: Header=BB171_34 Depth=2
	s_or_b64 exec, exec, s[20:21]
	s_and_b64 s[12:13], exec, s[14:15]
	s_or_b64 s[10:11], s[12:13], s[10:11]
	s_andn2_b64 exec, exec, s[10:11]
	s_cbranch_execz .LBB171_29
.LBB171_34:                             ;   Parent Loop BB171_31 Depth=1
                                        ; =>  This Inner Loop Header: Depth=2
	v_cmp_ne_u32_e32 vcc, s33, v8
	s_mov_b64 s[12:13], 0
	s_and_saveexec_b64 s[14:15], vcc
	s_xor_b64 s[14:15], exec, s[14:15]
	s_cbranch_execz .LBB171_36
; %bb.35:                               ;   in Loop: Header=BB171_34 Depth=2
	v_add_u32_e32 v5, 1, v5
	s_mov_b64 s[12:13], exec
	v_and_b32_e32 v5, 0xfff, v5
                                        ; implicit-def: $vgpr7
	s_andn2_saveexec_b64 s[14:15], s[14:15]
	s_cbranch_execz .LBB171_38
	s_branch .LBB171_37
.LBB171_36:                             ;   in Loop: Header=BB171_34 Depth=2
	s_andn2_saveexec_b64 s[14:15], s[14:15]
	s_cbranch_execz .LBB171_38
.LBB171_37:                             ;   in Loop: Header=BB171_34 Depth=2
	v_mov_b32_e32 v8, s33
	ds_cmpst_rtn_b32 v7, v7, v8, v6
	s_andn2_b64 s[12:13], s[12:13], exec
	s_waitcnt lgkmcnt(0)
	v_cmp_ne_u32_e32 vcc, s33, v7
	s_and_b64 s[20:21], vcc, exec
	s_or_b64 s[12:13], s[12:13], s[20:21]
.LBB171_38:                             ;   in Loop: Header=BB171_34 Depth=2
	s_or_b64 exec, exec, s[14:15]
	s_mov_b64 s[14:15], -1
                                        ; implicit-def: $vgpr7
                                        ; implicit-def: $vgpr8
	s_and_saveexec_b64 s[20:21], s[12:13]
	s_cbranch_execz .LBB171_33
; %bb.39:                               ;   in Loop: Header=BB171_34 Depth=2
	v_lshl_add_u32 v7, v5, 2, 0
	ds_read_b32 v8, v7
	s_waitcnt lgkmcnt(0)
	v_cmp_eq_u32_e32 vcc, v8, v6
	s_orn2_b64 s[14:15], vcc, exec
	s_branch .LBB171_33
.LBB171_40:
	s_or_b64 exec, exec, s[2:3]
.LBB171_41:
	v_mbcnt_lo_u32_b32 v2, -1, 0
	v_mbcnt_hi_u32_b32 v2, -1, v2
	v_sub_u32_e32 v2, 63, v2
	s_movk_i32 s0, 0x3ff
	s_movk_i32 s2, 0x7f
	;; [unrolled: 1-line block ×15, first 2 shown]
	v_mov_b32_e32 v6, 0
	v_lshrrev_b64 v[2:3], v2, -1
	v_lshl_add_u32 v7, v12, 2, 0
	v_cmp_eq_u32_e32 vcc, s0, v0
	v_cmp_lt_u32_e64 s[0:1], 63, v0
	v_cmp_lt_u32_e64 s[2:3], s2, v0
	;; [unrolled: 1-line block ×15, first 2 shown]
	s_mov_b64 s[36:37], 0
	s_movk_i32 s39, 0xbff
	v_mov_b32_e32 v8, 0
	s_waitcnt lgkmcnt(0)
	s_barrier
	s_branch .LBB171_43
.LBB171_42:                             ;   in Loop: Header=BB171_43 Depth=1
	s_or_b64 exec, exec, s[30:31]
	s_waitcnt lgkmcnt(0)
	s_barrier
	ds_read_b32 v4, v6 offset:32828
	v_add_u32_e32 v1, 0x400, v1
	v_cmp_lt_u32_e64 s[30:31], s39, v1
	s_or_b64 s[36:37], s[30:31], s[36:37]
	v_add_u32_e32 v10, 0x1000, v10
	s_waitcnt lgkmcnt(0)
	v_add_u32_e32 v8, v4, v8
	s_andn2_b64 exec, exec, s[36:37]
	s_cbranch_execz .LBB171_77
.LBB171_43:                             ; =>This Inner Loop Header: Depth=1
	ds_read2st64_b32 v[4:5], v10 offset1:64
	s_waitcnt lgkmcnt(0)
	s_barrier
	v_cmp_gt_i32_e64 s[30:31], s33, v4
	s_bcnt1_i32_b64 s43, s[30:31]
	s_nop 0
	v_and_b32_e32 v11, s30, v2
	v_and_b32_e32 v9, s31, v3
	v_bcnt_u32_b32 v11, v11, 0
	v_bcnt_u32_b32 v9, v9, v11
	v_mov_b32_e32 v11, s43
	ds_write_b32 v7, v11 offset:32768
	s_waitcnt lgkmcnt(0)
	s_barrier
	s_and_saveexec_b64 s[44:45], s[0:1]
	s_cbranch_execz .LBB171_60
; %bb.44:                               ;   in Loop: Header=BB171_43 Depth=1
	ds_read_b32 v11, v6 offset:32768
	s_waitcnt lgkmcnt(0)
	v_add_u32_e32 v9, v11, v9
	s_or_b64 exec, exec, s[44:45]
	s_and_saveexec_b64 s[44:45], s[2:3]
	s_cbranch_execnz .LBB171_61
.LBB171_45:                             ;   in Loop: Header=BB171_43 Depth=1
	s_or_b64 exec, exec, s[44:45]
	s_and_saveexec_b64 s[44:45], s[4:5]
	s_cbranch_execz .LBB171_62
.LBB171_46:                             ;   in Loop: Header=BB171_43 Depth=1
	ds_read_b32 v11, v6 offset:32776
	s_waitcnt lgkmcnt(0)
	v_add_u32_e32 v9, v11, v9
	s_or_b64 exec, exec, s[44:45]
	s_and_saveexec_b64 s[44:45], s[6:7]
	s_cbranch_execnz .LBB171_63
.LBB171_47:                             ;   in Loop: Header=BB171_43 Depth=1
	s_or_b64 exec, exec, s[44:45]
	s_and_saveexec_b64 s[44:45], s[8:9]
	s_cbranch_execz .LBB171_64
.LBB171_48:                             ;   in Loop: Header=BB171_43 Depth=1
	ds_read_b32 v11, v6 offset:32784
	s_waitcnt lgkmcnt(0)
	v_add_u32_e32 v9, v11, v9
	s_or_b64 exec, exec, s[44:45]
	s_and_saveexec_b64 s[44:45], s[10:11]
	s_cbranch_execnz .LBB171_65
.LBB171_49:                             ;   in Loop: Header=BB171_43 Depth=1
	s_or_b64 exec, exec, s[44:45]
	s_and_saveexec_b64 s[44:45], s[12:13]
	s_cbranch_execz .LBB171_66
.LBB171_50:                             ;   in Loop: Header=BB171_43 Depth=1
	ds_read_b32 v11, v6 offset:32792
	s_waitcnt lgkmcnt(0)
	v_add_u32_e32 v9, v11, v9
	s_or_b64 exec, exec, s[44:45]
	s_and_saveexec_b64 s[44:45], s[14:15]
	s_cbranch_execnz .LBB171_67
.LBB171_51:                             ;   in Loop: Header=BB171_43 Depth=1
	s_or_b64 exec, exec, s[44:45]
	s_and_saveexec_b64 s[44:45], s[16:17]
	s_cbranch_execz .LBB171_68
.LBB171_52:                             ;   in Loop: Header=BB171_43 Depth=1
	ds_read_b32 v11, v6 offset:32800
	s_waitcnt lgkmcnt(0)
	v_add_u32_e32 v9, v11, v9
	s_or_b64 exec, exec, s[44:45]
	s_and_saveexec_b64 s[44:45], s[18:19]
	s_cbranch_execnz .LBB171_69
.LBB171_53:                             ;   in Loop: Header=BB171_43 Depth=1
	s_or_b64 exec, exec, s[44:45]
	s_and_saveexec_b64 s[44:45], s[20:21]
	s_cbranch_execz .LBB171_70
.LBB171_54:                             ;   in Loop: Header=BB171_43 Depth=1
	ds_read_b32 v11, v6 offset:32808
	s_waitcnt lgkmcnt(0)
	v_add_u32_e32 v9, v11, v9
	s_or_b64 exec, exec, s[44:45]
	s_and_saveexec_b64 s[44:45], s[22:23]
	s_cbranch_execnz .LBB171_71
.LBB171_55:                             ;   in Loop: Header=BB171_43 Depth=1
	s_or_b64 exec, exec, s[44:45]
	s_and_saveexec_b64 s[44:45], s[24:25]
	s_cbranch_execz .LBB171_72
.LBB171_56:                             ;   in Loop: Header=BB171_43 Depth=1
	ds_read_b32 v11, v6 offset:32816
	s_waitcnt lgkmcnt(0)
	v_add_u32_e32 v9, v11, v9
	s_or_b64 exec, exec, s[44:45]
	s_and_saveexec_b64 s[44:45], s[26:27]
	s_cbranch_execnz .LBB171_73
.LBB171_57:                             ;   in Loop: Header=BB171_43 Depth=1
	s_or_b64 exec, exec, s[44:45]
	s_and_saveexec_b64 s[44:45], s[28:29]
	s_cbranch_execz .LBB171_74
.LBB171_58:                             ;   in Loop: Header=BB171_43 Depth=1
	ds_read_b32 v11, v6 offset:32824
	s_waitcnt lgkmcnt(0)
	v_add_u32_e32 v9, v11, v9
	s_or_b64 exec, exec, s[44:45]
	s_and_saveexec_b64 s[44:45], s[30:31]
	s_cbranch_execnz .LBB171_75
.LBB171_59:                             ;   in Loop: Header=BB171_43 Depth=1
	s_or_b64 exec, exec, s[44:45]
	s_and_saveexec_b64 s[30:31], vcc
	s_cbranch_execz .LBB171_42
	s_branch .LBB171_76
.LBB171_60:                             ;   in Loop: Header=BB171_43 Depth=1
	s_or_b64 exec, exec, s[44:45]
	s_and_saveexec_b64 s[44:45], s[2:3]
	s_cbranch_execz .LBB171_45
.LBB171_61:                             ;   in Loop: Header=BB171_43 Depth=1
	ds_read_b32 v11, v6 offset:32772
	s_waitcnt lgkmcnt(0)
	v_add_u32_e32 v9, v11, v9
	s_or_b64 exec, exec, s[44:45]
	s_and_saveexec_b64 s[44:45], s[4:5]
	s_cbranch_execnz .LBB171_46
.LBB171_62:                             ;   in Loop: Header=BB171_43 Depth=1
	s_or_b64 exec, exec, s[44:45]
	s_and_saveexec_b64 s[44:45], s[6:7]
	s_cbranch_execz .LBB171_47
.LBB171_63:                             ;   in Loop: Header=BB171_43 Depth=1
	ds_read_b32 v11, v6 offset:32780
	s_waitcnt lgkmcnt(0)
	v_add_u32_e32 v9, v11, v9
	s_or_b64 exec, exec, s[44:45]
	s_and_saveexec_b64 s[44:45], s[8:9]
	s_cbranch_execnz .LBB171_48
.LBB171_64:                             ;   in Loop: Header=BB171_43 Depth=1
	s_or_b64 exec, exec, s[44:45]
	s_and_saveexec_b64 s[44:45], s[10:11]
	s_cbranch_execz .LBB171_49
.LBB171_65:                             ;   in Loop: Header=BB171_43 Depth=1
	ds_read_b32 v11, v6 offset:32788
	s_waitcnt lgkmcnt(0)
	v_add_u32_e32 v9, v11, v9
	s_or_b64 exec, exec, s[44:45]
	s_and_saveexec_b64 s[44:45], s[12:13]
	s_cbranch_execnz .LBB171_50
.LBB171_66:                             ;   in Loop: Header=BB171_43 Depth=1
	s_or_b64 exec, exec, s[44:45]
	s_and_saveexec_b64 s[44:45], s[14:15]
	s_cbranch_execz .LBB171_51
.LBB171_67:                             ;   in Loop: Header=BB171_43 Depth=1
	ds_read_b32 v11, v6 offset:32796
	s_waitcnt lgkmcnt(0)
	v_add_u32_e32 v9, v11, v9
	s_or_b64 exec, exec, s[44:45]
	s_and_saveexec_b64 s[44:45], s[16:17]
	s_cbranch_execnz .LBB171_52
.LBB171_68:                             ;   in Loop: Header=BB171_43 Depth=1
	s_or_b64 exec, exec, s[44:45]
	s_and_saveexec_b64 s[44:45], s[18:19]
	s_cbranch_execz .LBB171_53
.LBB171_69:                             ;   in Loop: Header=BB171_43 Depth=1
	ds_read_b32 v11, v6 offset:32804
	s_waitcnt lgkmcnt(0)
	v_add_u32_e32 v9, v11, v9
	s_or_b64 exec, exec, s[44:45]
	s_and_saveexec_b64 s[44:45], s[20:21]
	s_cbranch_execnz .LBB171_54
.LBB171_70:                             ;   in Loop: Header=BB171_43 Depth=1
	s_or_b64 exec, exec, s[44:45]
	s_and_saveexec_b64 s[44:45], s[22:23]
	s_cbranch_execz .LBB171_55
.LBB171_71:                             ;   in Loop: Header=BB171_43 Depth=1
	ds_read_b32 v11, v6 offset:32812
	s_waitcnt lgkmcnt(0)
	v_add_u32_e32 v9, v11, v9
	s_or_b64 exec, exec, s[44:45]
	s_and_saveexec_b64 s[44:45], s[24:25]
	s_cbranch_execnz .LBB171_56
.LBB171_72:                             ;   in Loop: Header=BB171_43 Depth=1
	s_or_b64 exec, exec, s[44:45]
	s_and_saveexec_b64 s[44:45], s[26:27]
	s_cbranch_execz .LBB171_57
.LBB171_73:                             ;   in Loop: Header=BB171_43 Depth=1
	ds_read_b32 v11, v6 offset:32820
	s_waitcnt lgkmcnt(0)
	v_add_u32_e32 v9, v11, v9
	s_or_b64 exec, exec, s[44:45]
	s_and_saveexec_b64 s[44:45], s[28:29]
	s_cbranch_execnz .LBB171_58
.LBB171_74:                             ;   in Loop: Header=BB171_43 Depth=1
	s_or_b64 exec, exec, s[44:45]
	s_and_saveexec_b64 s[44:45], s[30:31]
	s_cbranch_execz .LBB171_59
.LBB171_75:                             ;   in Loop: Header=BB171_43 Depth=1
	v_add3_u32 v11, v8, -1, v9
	v_lshl_add_u32 v11, v11, 2, 0
	v_add_u32_e32 v12, v8, v9
	v_lshl_add_u32 v12, v12, 2, 0
	ds_write_b32 v11, v4
	ds_write_b32 v12, v5 offset:16380
	s_or_b64 exec, exec, s[44:45]
	s_and_saveexec_b64 s[30:31], vcc
	s_cbranch_execz .LBB171_42
.LBB171_76:                             ;   in Loop: Header=BB171_43 Depth=1
	ds_write_b32 v6, v9 offset:32828
	s_branch .LBB171_42
.LBB171_77:
	s_or_b64 exec, exec, s[36:37]
	s_ashr_i32 s43, s42, 31
	s_lshl_b64 s[0:1], s[42:43], 3
	s_add_u32 s4, s40, s0
	s_addc_u32 s5, s41, s1
	s_load_dwordx4 s[0:3], s[4:5], 0x0
	s_waitcnt lgkmcnt(0)
	s_sub_i32 s8, s2, s0
	v_cmp_gt_i32_e32 vcc, s8, v0
	s_and_saveexec_b64 s[4:5], vcc
	s_cbranch_execz .LBB171_87
; %bb.78:
	s_sub_u32 s4, s0, s38
	s_subb_u32 s5, s1, 0
	s_and_b32 s10, s8, 7
	s_sub_i32 s0, s0, s2
	s_cmp_lt_u32 s0, -7
	s_cselect_b64 s[0:1], -1, 0
	s_and_b32 s11, s8, -8
	s_cmp_lg_u32 s10, 0
	v_cndmask_b32_e64 v1, 0, 1, s[0:1]
	s_cselect_b64 s[2:3], -1, 0
	v_cmp_ne_u32_e64 s[0:1], 1, v1
	v_cndmask_b32_e64 v1, 0, 1, s[2:3]
	s_mov_b32 s9, 0
	s_mov_b64 s[6:7], 0
	v_cmp_ne_u32_e64 s[2:3], 1, v1
	s_branch .LBB171_80
.LBB171_79:                             ;   in Loop: Header=BB171_80 Depth=1
	v_add_u32_e32 v0, 0x400, v0
	v_cmp_le_i32_e32 vcc, s8, v0
	v_lshl_add_u64 v[4:5], v[4:5], 2, s[34:35]
	s_or_b64 s[6:7], vcc, s[6:7]
	s_waitcnt lgkmcnt(0)
	global_store_dword v[4:5], v3, off
	s_andn2_b64 exec, exec, s[6:7]
	s_cbranch_execz .LBB171_87
.LBB171_80:                             ; =>This Loop Header: Depth=1
                                        ;     Child Loop BB171_82 Depth 2
                                        ;     Child Loop BB171_86 Depth 2
	v_lshl_add_u32 v1, v0, 2, 0
	ds_read2st64_b32 v[2:3], v1 offset1:64
	s_and_b64 vcc, exec, s[0:1]
	v_mov_b64_e32 v[4:5], s[4:5]
	s_mov_b32 s12, 0
	s_cbranch_vccnz .LBB171_84
; %bb.81:                               ;   in Loop: Header=BB171_80 Depth=1
	s_mov_b32 s13, 0
	v_mov_b64_e32 v[4:5], s[4:5]
.LBB171_82:                             ;   Parent Loop BB171_80 Depth=1
                                        ; =>  This Inner Loop Header: Depth=2
	v_mov_b32_e32 v1, s13
	ds_read2_b32 v[22:23], v1 offset1:1
	ds_read2_b32 v[24:25], v1 offset0:2 offset1:3
	ds_read2_b32 v[26:27], v1 offset0:4 offset1:5
	;; [unrolled: 1-line block ×3, first 2 shown]
	v_mov_b32_e32 v7, s9
	s_waitcnt lgkmcnt(3)
	v_cmp_gt_i32_e32 vcc, v2, v22
	v_mov_b32_e32 v9, s9
	v_mov_b32_e32 v11, s9
	v_cndmask_b32_e64 v6, 0, 1, vcc
	v_cmp_gt_i32_e32 vcc, v2, v23
	v_lshl_add_u64 v[4:5], v[4:5], 0, v[6:7]
	v_mov_b32_e32 v13, s9
	v_cndmask_b32_e64 v8, 0, 1, vcc
	s_waitcnt lgkmcnt(2)
	v_cmp_gt_i32_e32 vcc, v2, v24
	v_lshl_add_u64 v[4:5], v[4:5], 0, v[8:9]
	v_mov_b32_e32 v15, s9
	v_cndmask_b32_e64 v10, 0, 1, vcc
	v_cmp_gt_i32_e32 vcc, v2, v25
	v_lshl_add_u64 v[4:5], v[4:5], 0, v[10:11]
	v_mov_b32_e32 v17, s9
	v_cndmask_b32_e64 v12, 0, 1, vcc
	s_waitcnt lgkmcnt(1)
	v_cmp_gt_i32_e32 vcc, v2, v26
	v_lshl_add_u64 v[4:5], v[4:5], 0, v[12:13]
	;; [unrolled: 9-line block ×3, first 2 shown]
	s_add_i32 s12, s12, 8
	v_cndmask_b32_e64 v18, 0, 1, vcc
	v_cmp_gt_i32_e32 vcc, v2, v29
	s_add_i32 s13, s13, 32
	v_lshl_add_u64 v[4:5], v[4:5], 0, v[18:19]
	v_cndmask_b32_e64 v20, 0, 1, vcc
	s_cmp_eq_u32 s11, s12
	v_lshl_add_u64 v[4:5], v[4:5], 0, v[20:21]
	s_cbranch_scc0 .LBB171_82
; %bb.83:                               ;   in Loop: Header=BB171_80 Depth=1
	s_mov_b32 s12, s11
.LBB171_84:                             ;   in Loop: Header=BB171_80 Depth=1
	s_and_b64 vcc, exec, s[2:3]
	s_cbranch_vccnz .LBB171_79
; %bb.85:                               ;   in Loop: Header=BB171_80 Depth=1
	s_lshl_b32 s12, s12, 2
	s_add_i32 s12, s12, 0
	s_mov_b32 s13, s10
.LBB171_86:                             ;   Parent Loop BB171_80 Depth=1
                                        ; =>  This Inner Loop Header: Depth=2
	v_mov_b32_e32 v1, s12
	ds_read_b32 v1, v1
	v_mov_b32_e32 v7, s9
	s_add_i32 s12, s12, 4
	s_add_i32 s13, s13, -1
	s_cmp_lg_u32 s13, 0
	s_waitcnt lgkmcnt(0)
	v_cmp_gt_i32_e32 vcc, v2, v1
	s_nop 1
	v_cndmask_b32_e64 v6, 0, 1, vcc
	v_lshl_add_u64 v[4:5], v[4:5], 0, v[6:7]
	s_cbranch_scc1 .LBB171_86
	s_branch .LBB171_79
.LBB171_87:
	s_endpgm
	.section	.rodata,"a",@progbits
	.p2align	6, 0x0
	.amdhsa_kernel _ZN9rocsparseL41csrgemm_numeric_fill_block_per_row_kernelILj1024ELj64ELj4096ELj137ELj64ElifEEvT5_PKS1_S3_NS_24const_host_device_scalarIT6_EEPKT4_S3_PKS5_S9_S3_SB_S6_S9_S3_SB_S9_S3_PS5_21rocsparse_index_base_SD_SD_SD_bbb
		.amdhsa_group_segment_fixed_size 0
		.amdhsa_private_segment_fixed_size 0
		.amdhsa_kernarg_size 156
		.amdhsa_user_sgpr_count 2
		.amdhsa_user_sgpr_dispatch_ptr 0
		.amdhsa_user_sgpr_queue_ptr 0
		.amdhsa_user_sgpr_kernarg_segment_ptr 1
		.amdhsa_user_sgpr_dispatch_id 0
		.amdhsa_user_sgpr_kernarg_preload_length 0
		.amdhsa_user_sgpr_kernarg_preload_offset 0
		.amdhsa_user_sgpr_private_segment_size 0
		.amdhsa_uses_dynamic_stack 0
		.amdhsa_enable_private_segment 0
		.amdhsa_system_sgpr_workgroup_id_x 1
		.amdhsa_system_sgpr_workgroup_id_y 0
		.amdhsa_system_sgpr_workgroup_id_z 0
		.amdhsa_system_sgpr_workgroup_info 0
		.amdhsa_system_vgpr_workitem_id 0
		.amdhsa_next_free_vgpr 30
		.amdhsa_next_free_sgpr 51
		.amdhsa_accum_offset 32
		.amdhsa_reserve_vcc 1
		.amdhsa_float_round_mode_32 0
		.amdhsa_float_round_mode_16_64 0
		.amdhsa_float_denorm_mode_32 3
		.amdhsa_float_denorm_mode_16_64 3
		.amdhsa_dx10_clamp 1
		.amdhsa_ieee_mode 1
		.amdhsa_fp16_overflow 0
		.amdhsa_tg_split 0
		.amdhsa_exception_fp_ieee_invalid_op 0
		.amdhsa_exception_fp_denorm_src 0
		.amdhsa_exception_fp_ieee_div_zero 0
		.amdhsa_exception_fp_ieee_overflow 0
		.amdhsa_exception_fp_ieee_underflow 0
		.amdhsa_exception_fp_ieee_inexact 0
		.amdhsa_exception_int_div_zero 0
	.end_amdhsa_kernel
	.section	.text._ZN9rocsparseL41csrgemm_numeric_fill_block_per_row_kernelILj1024ELj64ELj4096ELj137ELj64ElifEEvT5_PKS1_S3_NS_24const_host_device_scalarIT6_EEPKT4_S3_PKS5_S9_S3_SB_S6_S9_S3_SB_S9_S3_PS5_21rocsparse_index_base_SD_SD_SD_bbb,"axG",@progbits,_ZN9rocsparseL41csrgemm_numeric_fill_block_per_row_kernelILj1024ELj64ELj4096ELj137ELj64ElifEEvT5_PKS1_S3_NS_24const_host_device_scalarIT6_EEPKT4_S3_PKS5_S9_S3_SB_S6_S9_S3_SB_S9_S3_PS5_21rocsparse_index_base_SD_SD_SD_bbb,comdat
.Lfunc_end171:
	.size	_ZN9rocsparseL41csrgemm_numeric_fill_block_per_row_kernelILj1024ELj64ELj4096ELj137ELj64ElifEEvT5_PKS1_S3_NS_24const_host_device_scalarIT6_EEPKT4_S3_PKS5_S9_S3_SB_S6_S9_S3_SB_S9_S3_PS5_21rocsparse_index_base_SD_SD_SD_bbb, .Lfunc_end171-_ZN9rocsparseL41csrgemm_numeric_fill_block_per_row_kernelILj1024ELj64ELj4096ELj137ELj64ElifEEvT5_PKS1_S3_NS_24const_host_device_scalarIT6_EEPKT4_S3_PKS5_S9_S3_SB_S6_S9_S3_SB_S9_S3_PS5_21rocsparse_index_base_SD_SD_SD_bbb
                                        ; -- End function
	.set _ZN9rocsparseL41csrgemm_numeric_fill_block_per_row_kernelILj1024ELj64ELj4096ELj137ELj64ElifEEvT5_PKS1_S3_NS_24const_host_device_scalarIT6_EEPKT4_S3_PKS5_S9_S3_SB_S6_S9_S3_SB_S9_S3_PS5_21rocsparse_index_base_SD_SD_SD_bbb.num_vgpr, 30
	.set _ZN9rocsparseL41csrgemm_numeric_fill_block_per_row_kernelILj1024ELj64ELj4096ELj137ELj64ElifEEvT5_PKS1_S3_NS_24const_host_device_scalarIT6_EEPKT4_S3_PKS5_S9_S3_SB_S6_S9_S3_SB_S9_S3_PS5_21rocsparse_index_base_SD_SD_SD_bbb.num_agpr, 0
	.set _ZN9rocsparseL41csrgemm_numeric_fill_block_per_row_kernelILj1024ELj64ELj4096ELj137ELj64ElifEEvT5_PKS1_S3_NS_24const_host_device_scalarIT6_EEPKT4_S3_PKS5_S9_S3_SB_S6_S9_S3_SB_S9_S3_PS5_21rocsparse_index_base_SD_SD_SD_bbb.numbered_sgpr, 51
	.set _ZN9rocsparseL41csrgemm_numeric_fill_block_per_row_kernelILj1024ELj64ELj4096ELj137ELj64ElifEEvT5_PKS1_S3_NS_24const_host_device_scalarIT6_EEPKT4_S3_PKS5_S9_S3_SB_S6_S9_S3_SB_S9_S3_PS5_21rocsparse_index_base_SD_SD_SD_bbb.num_named_barrier, 0
	.set _ZN9rocsparseL41csrgemm_numeric_fill_block_per_row_kernelILj1024ELj64ELj4096ELj137ELj64ElifEEvT5_PKS1_S3_NS_24const_host_device_scalarIT6_EEPKT4_S3_PKS5_S9_S3_SB_S6_S9_S3_SB_S9_S3_PS5_21rocsparse_index_base_SD_SD_SD_bbb.private_seg_size, 0
	.set _ZN9rocsparseL41csrgemm_numeric_fill_block_per_row_kernelILj1024ELj64ELj4096ELj137ELj64ElifEEvT5_PKS1_S3_NS_24const_host_device_scalarIT6_EEPKT4_S3_PKS5_S9_S3_SB_S6_S9_S3_SB_S9_S3_PS5_21rocsparse_index_base_SD_SD_SD_bbb.uses_vcc, 1
	.set _ZN9rocsparseL41csrgemm_numeric_fill_block_per_row_kernelILj1024ELj64ELj4096ELj137ELj64ElifEEvT5_PKS1_S3_NS_24const_host_device_scalarIT6_EEPKT4_S3_PKS5_S9_S3_SB_S6_S9_S3_SB_S9_S3_PS5_21rocsparse_index_base_SD_SD_SD_bbb.uses_flat_scratch, 0
	.set _ZN9rocsparseL41csrgemm_numeric_fill_block_per_row_kernelILj1024ELj64ELj4096ELj137ELj64ElifEEvT5_PKS1_S3_NS_24const_host_device_scalarIT6_EEPKT4_S3_PKS5_S9_S3_SB_S6_S9_S3_SB_S9_S3_PS5_21rocsparse_index_base_SD_SD_SD_bbb.has_dyn_sized_stack, 0
	.set _ZN9rocsparseL41csrgemm_numeric_fill_block_per_row_kernelILj1024ELj64ELj4096ELj137ELj64ElifEEvT5_PKS1_S3_NS_24const_host_device_scalarIT6_EEPKT4_S3_PKS5_S9_S3_SB_S6_S9_S3_SB_S9_S3_PS5_21rocsparse_index_base_SD_SD_SD_bbb.has_recursion, 0
	.set _ZN9rocsparseL41csrgemm_numeric_fill_block_per_row_kernelILj1024ELj64ELj4096ELj137ELj64ElifEEvT5_PKS1_S3_NS_24const_host_device_scalarIT6_EEPKT4_S3_PKS5_S9_S3_SB_S6_S9_S3_SB_S9_S3_PS5_21rocsparse_index_base_SD_SD_SD_bbb.has_indirect_call, 0
	.section	.AMDGPU.csdata,"",@progbits
; Kernel info:
; codeLenInByte = 3008
; TotalNumSgprs: 57
; NumVgprs: 30
; NumAgprs: 0
; TotalNumVgprs: 30
; ScratchSize: 0
; MemoryBound: 0
; FloatMode: 240
; IeeeMode: 1
; LDSByteSize: 0 bytes/workgroup (compile time only)
; SGPRBlocks: 7
; VGPRBlocks: 3
; NumSGPRsForWavesPerEU: 57
; NumVGPRsForWavesPerEU: 30
; AccumOffset: 32
; Occupancy: 8
; WaveLimiterHint : 1
; COMPUTE_PGM_RSRC2:SCRATCH_EN: 0
; COMPUTE_PGM_RSRC2:USER_SGPR: 2
; COMPUTE_PGM_RSRC2:TRAP_HANDLER: 0
; COMPUTE_PGM_RSRC2:TGID_X_EN: 1
; COMPUTE_PGM_RSRC2:TGID_Y_EN: 0
; COMPUTE_PGM_RSRC2:TGID_Z_EN: 0
; COMPUTE_PGM_RSRC2:TIDIG_COMP_CNT: 0
; COMPUTE_PGM_RSRC3_GFX90A:ACCUM_OFFSET: 7
; COMPUTE_PGM_RSRC3_GFX90A:TG_SPLIT: 0
	.section	.text._ZN9rocsparseL41csrgemm_numeric_fill_block_per_row_kernelILj1024ELj64ELj8192ELj137ELj32ElifEEvT5_PKS1_S3_NS_24const_host_device_scalarIT6_EEPKT4_S3_PKS5_S9_S3_SB_S6_S9_S3_SB_S9_S3_PS5_21rocsparse_index_base_SD_SD_SD_bbb,"axG",@progbits,_ZN9rocsparseL41csrgemm_numeric_fill_block_per_row_kernelILj1024ELj64ELj8192ELj137ELj32ElifEEvT5_PKS1_S3_NS_24const_host_device_scalarIT6_EEPKT4_S3_PKS5_S9_S3_SB_S6_S9_S3_SB_S9_S3_PS5_21rocsparse_index_base_SD_SD_SD_bbb,comdat
	.globl	_ZN9rocsparseL41csrgemm_numeric_fill_block_per_row_kernelILj1024ELj64ELj8192ELj137ELj32ElifEEvT5_PKS1_S3_NS_24const_host_device_scalarIT6_EEPKT4_S3_PKS5_S9_S3_SB_S6_S9_S3_SB_S9_S3_PS5_21rocsparse_index_base_SD_SD_SD_bbb ; -- Begin function _ZN9rocsparseL41csrgemm_numeric_fill_block_per_row_kernelILj1024ELj64ELj8192ELj137ELj32ElifEEvT5_PKS1_S3_NS_24const_host_device_scalarIT6_EEPKT4_S3_PKS5_S9_S3_SB_S6_S9_S3_SB_S9_S3_PS5_21rocsparse_index_base_SD_SD_SD_bbb
	.p2align	8
	.type	_ZN9rocsparseL41csrgemm_numeric_fill_block_per_row_kernelILj1024ELj64ELj8192ELj137ELj32ElifEEvT5_PKS1_S3_NS_24const_host_device_scalarIT6_EEPKT4_S3_PKS5_S9_S3_SB_S6_S9_S3_SB_S9_S3_PS5_21rocsparse_index_base_SD_SD_SD_bbb,@function
_ZN9rocsparseL41csrgemm_numeric_fill_block_per_row_kernelILj1024ELj64ELj8192ELj137ELj32ElifEEvT5_PKS1_S3_NS_24const_host_device_scalarIT6_EEPKT4_S3_PKS5_S9_S3_SB_S6_S9_S3_SB_S9_S3_PS5_21rocsparse_index_base_SD_SD_SD_bbb: ; @_ZN9rocsparseL41csrgemm_numeric_fill_block_per_row_kernelILj1024ELj64ELj8192ELj137ELj32ElifEEvT5_PKS1_S3_NS_24const_host_device_scalarIT6_EEPKT4_S3_PKS5_S9_S3_SB_S6_S9_S3_SB_S9_S3_PS5_21rocsparse_index_base_SD_SD_SD_bbb
; %bb.0:
	s_load_dword s3, s[0:1], 0x98
	s_load_dwordx4 s[8:11], s[0:1], 0x8
	s_load_dwordx2 s[6:7], s[0:1], 0x18
	s_load_dwordx4 s[64:67], s[0:1], 0x88
	s_load_dwordx2 s[12:13], s[0:1], 0x50
	s_waitcnt lgkmcnt(0)
	s_bitcmp1_b32 s3, 0
	s_cselect_b64 s[4:5], -1, 0
	s_bitcmp1_b32 s3, 16
	s_cselect_b64 s[14:15], -1, 0
	s_xor_b64 s[16:17], s[4:5], -1
	s_or_b64 s[16:17], s[14:15], s[16:17]
	s_and_b64 vcc, exec, s[16:17]
	s_cbranch_vccnz .LBB172_2
; %bb.1:
	s_load_dword s6, s[6:7], 0x0
	s_waitcnt lgkmcnt(0)
	v_mov_b32_e32 v11, s6
	s_branch .LBB172_3
.LBB172_2:
	v_mov_b32_e32 v1, s6
	v_cndmask_b32_e64 v11, 0, v1, s[4:5]
.LBB172_3:
	s_bitcmp1_b32 s3, 8
	s_cselect_b64 s[6:7], -1, 0
	s_xor_b64 s[16:17], s[6:7], -1
	s_or_b64 s[14:15], s[14:15], s[16:17]
	s_and_b64 vcc, exec, s[14:15]
	s_cbranch_vccnz .LBB172_5
; %bb.4:
	s_load_dword s3, s[12:13], 0x0
	s_waitcnt lgkmcnt(0)
	v_mov_b32_e32 v10, s3
	s_branch .LBB172_6
.LBB172_5:
	v_mov_b32_e32 v1, s12
	v_cndmask_b32_e64 v10, 0, v1, s[6:7]
.LBB172_6:
	s_load_dword s33, s[0:1], 0x0
	v_lshl_add_u32 v1, v0, 2, 0
	v_mov_b32_e32 v2, 0
	ds_write2st64_b32 v1, v2, v2 offset0:128 offset1:144
	s_mov_b32 s3, 0
	s_waitcnt lgkmcnt(0)
	v_mov_b32_e32 v3, s33
	v_mov_b32_e32 v4, s33
	ds_write2st64_b32 v1, v3, v4 offset1:16
	ds_write2st64_b32 v1, v3, v4 offset0:32 offset1:48
	ds_write2st64_b32 v1, v2, v2 offset0:160 offset1:176
	;; [unrolled: 1-line block ×6, first 2 shown]
	s_waitcnt lgkmcnt(0)
	s_barrier
	s_load_dword s8, s[8:9], 0x0
	s_waitcnt lgkmcnt(0)
	s_add_i32 s2, s8, s2
	s_lshl_b64 s[2:3], s[2:3], 2
	s_add_u32 s2, s10, s2
	s_addc_u32 s3, s11, s3
	s_load_dword s38, s[2:3], 0x0
	s_andn2_b64 vcc, exec, s[4:5]
	s_cbranch_vccnz .LBB172_24
; %bb.7:
	s_load_dwordx2 s[2:3], s[0:1], 0x20
	s_waitcnt lgkmcnt(0)
	s_ashr_i32 s39, s38, 31
	s_lshl_b64 s[4:5], s[38:39], 3
	v_lshrrev_b32_e32 v2, 6, v0
	v_subrev_co_u32_e32 v2, vcc, s64, v2
	s_add_u32 s2, s2, s4
	s_addc_u32 s3, s3, s5
	s_load_dwordx4 s[8:11], s[2:3], 0x0
	v_subb_co_u32_e64 v3, s[2:3], 0, 0, vcc
	s_waitcnt lgkmcnt(0)
	s_sub_u32 s2, s10, s64
	s_subb_u32 s3, s11, 0
	v_lshl_add_u64 v[2:3], s[8:9], 0, v[2:3]
	v_cmp_gt_i64_e32 vcc, s[2:3], v[2:3]
	s_and_saveexec_b64 s[4:5], vcc
	s_cbranch_execz .LBB172_23
; %bb.8:
	s_load_dwordx8 s[8:15], s[0:1], 0x28
	s_load_dwordx2 s[16:17], s[0:1], 0x48
	v_and_b32_e32 v4, 63, v0
	v_subrev_co_u32_e32 v4, vcc, s65, v4
	s_mov_b32 s36, s65
	s_nop 0
	v_subb_co_u32_e64 v5, s[18:19], 0, 0, vcc
	s_mov_b64 s[18:19], 0
	s_movk_i32 s37, 0x89
	s_branch .LBB172_10
.LBB172_9:                              ;   in Loop: Header=BB172_10 Depth=1
	s_or_b64 exec, exec, s[20:21]
	v_lshl_add_u64 v[2:3], v[2:3], 0, 16
	v_cmp_le_i64_e32 vcc, s[2:3], v[2:3]
	s_or_b64 s[18:19], vcc, s[18:19]
	s_andn2_b64 exec, exec, s[18:19]
	s_cbranch_execz .LBB172_23
.LBB172_10:                             ; =>This Loop Header: Depth=1
                                        ;     Child Loop BB172_14 Depth 2
                                        ;       Child Loop BB172_17 Depth 3
	s_waitcnt lgkmcnt(0)
	v_lshl_add_u64 v[6:7], v[2:3], 2, s[8:9]
	global_load_dword v6, v[6:7], off
	s_waitcnt vmcnt(0)
	v_subrev_u32_e32 v6, s64, v6
	v_ashrrev_i32_e32 v7, 31, v6
	v_lshl_add_u64 v[6:7], v[6:7], 3, s[12:13]
	global_load_dwordx4 v[12:15], v[6:7], off
	s_waitcnt vmcnt(0)
	v_subrev_co_u32_e32 v6, vcc, s36, v14
	s_nop 1
	v_subbrev_co_u32_e32 v7, vcc, 0, v15, vcc
	v_lshl_add_u64 v[8:9], v[12:13], 0, v[4:5]
	v_cmp_lt_i64_e32 vcc, v[8:9], v[6:7]
	s_and_saveexec_b64 s[20:21], vcc
	s_cbranch_execz .LBB172_9
; %bb.11:                               ;   in Loop: Header=BB172_10 Depth=1
	v_lshl_add_u64 v[12:13], v[2:3], 2, s[10:11]
	global_load_dword v12, v[12:13], off
	s_mov_b64 s[22:23], 0
	s_waitcnt vmcnt(0)
	v_mul_f32_e32 v12, v11, v12
	s_branch .LBB172_14
.LBB172_12:                             ;   in Loop: Header=BB172_14 Depth=2
	s_or_b64 exec, exec, s[26:27]
.LBB172_13:                             ;   in Loop: Header=BB172_14 Depth=2
	s_or_b64 exec, exec, s[24:25]
	s_waitcnt vmcnt(0)
	v_mul_f32_e32 v13, v12, v13
	v_lshl_add_u32 v14, v14, 2, 0
	ds_add_f32 v14, v13 offset:32768
	v_lshl_add_u64 v[8:9], v[8:9], 0, 64
	v_cmp_ge_i64_e32 vcc, v[8:9], v[6:7]
	s_or_b64 s[22:23], vcc, s[22:23]
	s_andn2_b64 exec, exec, s[22:23]
	s_cbranch_execz .LBB172_9
.LBB172_14:                             ;   Parent Loop BB172_10 Depth=1
                                        ; =>  This Loop Header: Depth=2
                                        ;       Child Loop BB172_17 Depth 3
	v_lshlrev_b64 v[14:15], 2, v[8:9]
	v_lshl_add_u64 v[16:17], s[14:15], 0, v[14:15]
	global_load_dword v16, v[16:17], off
	v_lshl_add_u64 v[14:15], s[16:17], 0, v[14:15]
	global_load_dword v13, v[14:15], off
	s_waitcnt vmcnt(1)
	v_subrev_u32_e32 v15, s65, v16
	v_mul_lo_u32 v14, v15, s37
	v_and_b32_e32 v14, 0x1fff, v14
	v_lshl_add_u32 v16, v14, 2, 0
	ds_read_b32 v17, v16
	s_waitcnt lgkmcnt(0)
	v_cmp_ne_u32_e32 vcc, v17, v15
	s_and_saveexec_b64 s[24:25], vcc
	s_cbranch_execz .LBB172_13
; %bb.15:                               ;   in Loop: Header=BB172_14 Depth=2
	s_mov_b64 s[26:27], 0
	s_branch .LBB172_17
.LBB172_16:                             ;   in Loop: Header=BB172_17 Depth=3
	s_or_b64 exec, exec, s[34:35]
	s_and_b64 s[28:29], exec, s[30:31]
	s_or_b64 s[26:27], s[28:29], s[26:27]
	s_andn2_b64 exec, exec, s[26:27]
	s_cbranch_execz .LBB172_12
.LBB172_17:                             ;   Parent Loop BB172_10 Depth=1
                                        ;     Parent Loop BB172_14 Depth=2
                                        ; =>    This Inner Loop Header: Depth=3
	v_cmp_ne_u32_e32 vcc, s33, v17
	s_mov_b64 s[28:29], 0
	s_and_saveexec_b64 s[30:31], vcc
	s_xor_b64 s[30:31], exec, s[30:31]
	s_cbranch_execz .LBB172_19
; %bb.18:                               ;   in Loop: Header=BB172_17 Depth=3
	v_add_u32_e32 v14, 1, v14
	s_mov_b64 s[28:29], exec
	v_and_b32_e32 v14, 0x1fff, v14
                                        ; implicit-def: $vgpr16
	s_andn2_saveexec_b64 s[30:31], s[30:31]
	s_cbranch_execz .LBB172_21
	s_branch .LBB172_20
.LBB172_19:                             ;   in Loop: Header=BB172_17 Depth=3
	s_andn2_saveexec_b64 s[30:31], s[30:31]
	s_cbranch_execz .LBB172_21
.LBB172_20:                             ;   in Loop: Header=BB172_17 Depth=3
	v_mov_b32_e32 v17, s33
	ds_cmpst_rtn_b32 v16, v16, v17, v15
	s_andn2_b64 s[28:29], s[28:29], exec
	s_waitcnt lgkmcnt(0)
	v_cmp_ne_u32_e32 vcc, s33, v16
	s_and_b64 s[34:35], vcc, exec
	s_or_b64 s[28:29], s[28:29], s[34:35]
.LBB172_21:                             ;   in Loop: Header=BB172_17 Depth=3
	s_or_b64 exec, exec, s[30:31]
	s_mov_b64 s[30:31], -1
                                        ; implicit-def: $vgpr16
                                        ; implicit-def: $vgpr17
	s_and_saveexec_b64 s[34:35], s[28:29]
	s_cbranch_execz .LBB172_16
; %bb.22:                               ;   in Loop: Header=BB172_17 Depth=3
	v_lshl_add_u32 v16, v14, 2, 0
	ds_read_b32 v17, v16
	s_waitcnt lgkmcnt(0)
	v_cmp_eq_u32_e32 vcc, v17, v15
	s_orn2_b64 s[30:31], vcc, exec
	s_branch .LBB172_16
.LBB172_23:
	s_or_b64 exec, exec, s[4:5]
.LBB172_24:
	s_load_dwordx2 s[24:25], s[0:1], 0x80
	s_load_dwordx2 s[2:3], s[0:1], 0x70
                                        ; implicit-def: $vgpr30 : SGPR spill to VGPR lane
	s_andn2_b64 vcc, exec, s[6:7]
	s_waitcnt lgkmcnt(0)
	v_writelane_b32 v30, s2, 0
	s_nop 1
	v_writelane_b32 v30, s3, 1
	s_cbranch_vccnz .LBB172_39
; %bb.25:
	s_load_dwordx2 s[2:3], s[0:1], 0x58
	s_ashr_i32 s39, s38, 31
	s_lshl_b64 s[4:5], s[38:39], 3
	v_subrev_co_u32_e32 v2, vcc, s67, v0
	s_waitcnt lgkmcnt(0)
	s_add_u32 s2, s2, s4
	s_addc_u32 s3, s3, s5
	s_load_dwordx4 s[4:7], s[2:3], 0x0
	v_subb_co_u32_e64 v3, s[2:3], 0, 0, vcc
	s_waitcnt lgkmcnt(0)
	s_sub_u32 s2, s6, s67
	s_subb_u32 s3, s7, 0
	v_lshl_add_u64 v[2:3], s[4:5], 0, v[2:3]
	v_cmp_gt_i64_e32 vcc, s[2:3], v[2:3]
	s_and_saveexec_b64 s[8:9], vcc
	s_cbranch_execz .LBB172_38
; %bb.26:
	s_load_dwordx4 s[4:7], s[0:1], 0x60
	s_mov_b64 s[0:1], 0
	s_movk_i32 s22, 0x89
	s_mov_b64 s[10:11], 0x400
	s_branch .LBB172_29
.LBB172_27:                             ;   in Loop: Header=BB172_29 Depth=1
	s_or_b64 exec, exec, s[14:15]
.LBB172_28:                             ;   in Loop: Header=BB172_29 Depth=1
	s_or_b64 exec, exec, s[12:13]
	s_waitcnt vmcnt(0)
	v_mul_f32_e32 v4, v10, v4
	v_lshl_add_u32 v5, v5, 2, 0
	ds_add_f32 v5, v4 offset:32768
	v_lshl_add_u64 v[2:3], v[2:3], 0, s[10:11]
	v_cmp_le_i64_e32 vcc, s[2:3], v[2:3]
	s_or_b64 s[0:1], vcc, s[0:1]
	s_andn2_b64 exec, exec, s[0:1]
	s_cbranch_execz .LBB172_38
.LBB172_29:                             ; =>This Loop Header: Depth=1
                                        ;     Child Loop BB172_32 Depth 2
	v_lshlrev_b64 v[4:5], 2, v[2:3]
	s_waitcnt lgkmcnt(0)
	v_lshl_add_u64 v[6:7], s[4:5], 0, v[4:5]
	global_load_dword v6, v[6:7], off
	v_lshl_add_u64 v[4:5], s[6:7], 0, v[4:5]
	global_load_dword v4, v[4:5], off
	s_waitcnt vmcnt(1)
	v_subrev_u32_e32 v6, s67, v6
	v_mul_lo_u32 v5, v6, s22
	v_and_b32_e32 v5, 0x1fff, v5
	v_lshl_add_u32 v7, v5, 2, 0
	ds_read_b32 v8, v7
	s_waitcnt lgkmcnt(0)
	v_cmp_ne_u32_e32 vcc, v8, v6
	s_and_saveexec_b64 s[12:13], vcc
	s_cbranch_execz .LBB172_28
; %bb.30:                               ;   in Loop: Header=BB172_29 Depth=1
	s_mov_b64 s[14:15], 0
	s_branch .LBB172_32
.LBB172_31:                             ;   in Loop: Header=BB172_32 Depth=2
	s_or_b64 exec, exec, s[20:21]
	s_and_b64 s[16:17], exec, s[18:19]
	s_or_b64 s[14:15], s[16:17], s[14:15]
	s_andn2_b64 exec, exec, s[14:15]
	s_cbranch_execz .LBB172_27
.LBB172_32:                             ;   Parent Loop BB172_29 Depth=1
                                        ; =>  This Inner Loop Header: Depth=2
	v_cmp_ne_u32_e32 vcc, s33, v8
	s_mov_b64 s[16:17], 0
	s_and_saveexec_b64 s[18:19], vcc
	s_xor_b64 s[18:19], exec, s[18:19]
	s_cbranch_execz .LBB172_34
; %bb.33:                               ;   in Loop: Header=BB172_32 Depth=2
	v_add_u32_e32 v5, 1, v5
	s_mov_b64 s[16:17], exec
	v_and_b32_e32 v5, 0x1fff, v5
                                        ; implicit-def: $vgpr7
	s_andn2_saveexec_b64 s[18:19], s[18:19]
	s_cbranch_execz .LBB172_36
	s_branch .LBB172_35
.LBB172_34:                             ;   in Loop: Header=BB172_32 Depth=2
	s_andn2_saveexec_b64 s[18:19], s[18:19]
	s_cbranch_execz .LBB172_36
.LBB172_35:                             ;   in Loop: Header=BB172_32 Depth=2
	v_mov_b32_e32 v8, s33
	ds_cmpst_rtn_b32 v7, v7, v8, v6
	s_andn2_b64 s[16:17], s[16:17], exec
	s_waitcnt lgkmcnt(0)
	v_cmp_ne_u32_e32 vcc, s33, v7
	s_and_b64 s[20:21], vcc, exec
	s_or_b64 s[16:17], s[16:17], s[20:21]
.LBB172_36:                             ;   in Loop: Header=BB172_32 Depth=2
	s_or_b64 exec, exec, s[18:19]
	s_mov_b64 s[18:19], -1
                                        ; implicit-def: $vgpr7
                                        ; implicit-def: $vgpr8
	s_and_saveexec_b64 s[20:21], s[16:17]
	s_cbranch_execz .LBB172_31
; %bb.37:                               ;   in Loop: Header=BB172_32 Depth=2
	v_lshl_add_u32 v7, v5, 2, 0
	ds_read_b32 v8, v7
	s_waitcnt lgkmcnt(0)
	v_cmp_eq_u32_e32 vcc, v8, v6
	s_orn2_b64 s[18:19], vcc, exec
	s_branch .LBB172_31
.LBB172_38:
	s_or_b64 exec, exec, s[8:9]
.LBB172_39:
	v_writelane_b32 v30, s24, 2
	s_add_i32 s0, 0, 0x10000
	v_lshrrev_b32_e32 v4, 3, v0
	v_writelane_b32 v30, s25, 3
	v_writelane_b32 v30, s38, 4
	s_add_i32 s60, 0, 0x10004
	v_mbcnt_lo_u32_b32 v2, -1, 0
	v_writelane_b32 v30, s39, 5
	v_writelane_b32 v30, s0, 6
	v_and_b32_e32 v4, 0x7c, v4
	v_writelane_b32 v30, s60, 7
	s_add_i32 s60, 0, 0x10008
	v_mbcnt_hi_u32_b32 v2, -1, v2
	v_add_u32_e32 v6, s0, v4
	s_movk_i32 s0, 0x3ff
	v_writelane_b32 v30, s60, 8
	s_add_i32 s60, 0, 0x1000c
	v_sub_u32_e32 v2, 63, v2
	v_cmp_eq_u32_e32 vcc, s0, v0
	s_movk_i32 s0, 0x5f
	s_movk_i32 s2, 0x7f
	;; [unrolled: 1-line block ×29, first 2 shown]
	v_writelane_b32 v30, s60, 9
	s_add_i32 s60, 0, 0x10014
	v_lshrrev_b64 v[2:3], v2, -1
	v_cmp_lt_u32_e64 s[0:1], s0, v0
	v_cmp_lt_u32_e64 s[2:3], s2, v0
	;; [unrolled: 1-line block ×29, first 2 shown]
	v_or_b32_e32 v7, 0xfffffc00, v0
	v_mov_b32_e32 v8, 0
	s_add_i32 s79, 0, 0x10010
	v_writelane_b32 v30, s60, 10
	s_add_i32 s82, 0, 0x10018
	s_add_i32 s83, 0, 0x1001c
	;; [unrolled: 1-line block ×26, first 2 shown]
	v_cmp_lt_u32_e64 s[60:61], 31, v0
	v_cmp_lt_u32_e64 s[62:63], 63, v0
	s_mov_b64 s[74:75], 0
	s_waitcnt lgkmcnt(0)
	s_barrier
	s_branch .LBB172_41
.LBB172_40:                             ;   in Loop: Header=BB172_41 Depth=1
	s_or_b64 exec, exec, s[64:65]
	v_mov_b32_e32 v4, s78
	s_waitcnt lgkmcnt(0)
	s_barrier
	ds_read_b32 v4, v4
	v_add_u32_e32 v7, 0x400, v7
	s_movk_i32 s64, 0x1bff
	v_cmp_lt_u32_e64 s[64:65], s64, v7
	s_or_b64 s[74:75], s[64:65], s[74:75]
	s_waitcnt lgkmcnt(0)
	v_add_u32_e32 v8, v4, v8
	v_add_u32_e32 v1, 0x1000, v1
	s_andn2_b64 exec, exec, s[74:75]
	s_cbranch_execz .LBB172_107
.LBB172_41:                             ; =>This Inner Loop Header: Depth=1
	ds_read2st64_b32 v[4:5], v1 offset1:128
	s_waitcnt lgkmcnt(0)
	s_barrier
	v_cmp_gt_i32_e64 s[64:65], s33, v4
	s_bcnt1_i32_b64 s76, s[64:65]
	s_nop 0
	v_and_b32_e32 v10, s64, v2
	v_and_b32_e32 v9, s65, v3
	v_bcnt_u32_b32 v10, v10, 0
	v_bcnt_u32_b32 v9, v9, v10
	v_mov_b32_e32 v10, s76
	ds_write_b32 v6, v10
	s_waitcnt lgkmcnt(0)
	s_barrier
	s_and_saveexec_b64 s[76:77], s[60:61]
	s_cbranch_execz .LBB172_74
; %bb.42:                               ;   in Loop: Header=BB172_41 Depth=1
	v_readlane_b32 s80, v30, 6
	s_nop 1
	v_mov_b32_e32 v10, s80
	ds_read_b32 v10, v10
	s_waitcnt lgkmcnt(0)
	v_add_u32_e32 v9, v10, v9
	s_or_b64 exec, exec, s[76:77]
	s_and_saveexec_b64 s[76:77], s[62:63]
	s_cbranch_execnz .LBB172_75
.LBB172_43:                             ;   in Loop: Header=BB172_41 Depth=1
	s_or_b64 exec, exec, s[76:77]
	s_and_saveexec_b64 s[76:77], s[0:1]
	s_cbranch_execz .LBB172_76
.LBB172_44:                             ;   in Loop: Header=BB172_41 Depth=1
	v_readlane_b32 s80, v30, 8
	s_nop 1
	v_mov_b32_e32 v10, s80
	ds_read_b32 v10, v10
	s_waitcnt lgkmcnt(0)
	v_add_u32_e32 v9, v10, v9
	s_or_b64 exec, exec, s[76:77]
	s_and_saveexec_b64 s[76:77], s[2:3]
	s_cbranch_execnz .LBB172_77
.LBB172_45:                             ;   in Loop: Header=BB172_41 Depth=1
	s_or_b64 exec, exec, s[76:77]
	s_and_saveexec_b64 s[76:77], s[4:5]
	s_cbranch_execz .LBB172_78
.LBB172_46:                             ;   in Loop: Header=BB172_41 Depth=1
	v_mov_b32_e32 v10, s79
	ds_read_b32 v10, v10
	s_waitcnt lgkmcnt(0)
	v_add_u32_e32 v9, v10, v9
	s_or_b64 exec, exec, s[76:77]
	s_and_saveexec_b64 s[76:77], s[6:7]
	s_cbranch_execnz .LBB172_79
.LBB172_47:                             ;   in Loop: Header=BB172_41 Depth=1
	s_or_b64 exec, exec, s[76:77]
	s_and_saveexec_b64 s[76:77], s[8:9]
	s_cbranch_execz .LBB172_80
.LBB172_48:                             ;   in Loop: Header=BB172_41 Depth=1
	v_mov_b32_e32 v10, s82
	ds_read_b32 v10, v10
	s_waitcnt lgkmcnt(0)
	v_add_u32_e32 v9, v10, v9
	s_or_b64 exec, exec, s[76:77]
	s_and_saveexec_b64 s[76:77], s[10:11]
	s_cbranch_execnz .LBB172_81
.LBB172_49:                             ;   in Loop: Header=BB172_41 Depth=1
	s_or_b64 exec, exec, s[76:77]
	s_and_saveexec_b64 s[76:77], s[12:13]
	s_cbranch_execz .LBB172_82
.LBB172_50:                             ;   in Loop: Header=BB172_41 Depth=1
	v_mov_b32_e32 v10, s84
	ds_read_b32 v10, v10
	s_waitcnt lgkmcnt(0)
	v_add_u32_e32 v9, v10, v9
	s_or_b64 exec, exec, s[76:77]
	s_and_saveexec_b64 s[76:77], s[14:15]
	s_cbranch_execnz .LBB172_83
.LBB172_51:                             ;   in Loop: Header=BB172_41 Depth=1
	s_or_b64 exec, exec, s[76:77]
	s_and_saveexec_b64 s[76:77], s[16:17]
	s_cbranch_execz .LBB172_84
.LBB172_52:                             ;   in Loop: Header=BB172_41 Depth=1
	v_mov_b32_e32 v10, s86
	ds_read_b32 v10, v10
	s_waitcnt lgkmcnt(0)
	v_add_u32_e32 v9, v10, v9
	s_or_b64 exec, exec, s[76:77]
	s_and_saveexec_b64 s[76:77], s[18:19]
	s_cbranch_execnz .LBB172_85
.LBB172_53:                             ;   in Loop: Header=BB172_41 Depth=1
	s_or_b64 exec, exec, s[76:77]
	s_and_saveexec_b64 s[76:77], s[20:21]
	s_cbranch_execz .LBB172_86
.LBB172_54:                             ;   in Loop: Header=BB172_41 Depth=1
	v_mov_b32_e32 v10, s88
	ds_read_b32 v10, v10
	s_waitcnt lgkmcnt(0)
	v_add_u32_e32 v9, v10, v9
	s_or_b64 exec, exec, s[76:77]
	s_and_saveexec_b64 s[76:77], s[22:23]
	s_cbranch_execnz .LBB172_87
.LBB172_55:                             ;   in Loop: Header=BB172_41 Depth=1
	s_or_b64 exec, exec, s[76:77]
	s_and_saveexec_b64 s[76:77], s[24:25]
	s_cbranch_execz .LBB172_88
.LBB172_56:                             ;   in Loop: Header=BB172_41 Depth=1
	v_mov_b32_e32 v10, s90
	ds_read_b32 v10, v10
	s_waitcnt lgkmcnt(0)
	v_add_u32_e32 v9, v10, v9
	s_or_b64 exec, exec, s[76:77]
	s_and_saveexec_b64 s[76:77], s[26:27]
	s_cbranch_execnz .LBB172_89
.LBB172_57:                             ;   in Loop: Header=BB172_41 Depth=1
	s_or_b64 exec, exec, s[76:77]
	s_and_saveexec_b64 s[76:77], s[28:29]
	s_cbranch_execz .LBB172_90
.LBB172_58:                             ;   in Loop: Header=BB172_41 Depth=1
	v_mov_b32_e32 v10, s92
	ds_read_b32 v10, v10
	s_waitcnt lgkmcnt(0)
	v_add_u32_e32 v9, v10, v9
	s_or_b64 exec, exec, s[76:77]
	s_and_saveexec_b64 s[76:77], s[30:31]
	s_cbranch_execnz .LBB172_91
.LBB172_59:                             ;   in Loop: Header=BB172_41 Depth=1
	s_or_b64 exec, exec, s[76:77]
	s_and_saveexec_b64 s[76:77], s[34:35]
	s_cbranch_execz .LBB172_92
.LBB172_60:                             ;   in Loop: Header=BB172_41 Depth=1
	v_mov_b32_e32 v10, s94
	ds_read_b32 v10, v10
	s_waitcnt lgkmcnt(0)
	v_add_u32_e32 v9, v10, v9
	s_or_b64 exec, exec, s[76:77]
	s_and_saveexec_b64 s[76:77], s[36:37]
	s_cbranch_execnz .LBB172_93
.LBB172_61:                             ;   in Loop: Header=BB172_41 Depth=1
	s_or_b64 exec, exec, s[76:77]
	s_and_saveexec_b64 s[76:77], s[38:39]
	s_cbranch_execz .LBB172_94
.LBB172_62:                             ;   in Loop: Header=BB172_41 Depth=1
	v_mov_b32_e32 v10, s96
	ds_read_b32 v10, v10
	s_waitcnt lgkmcnt(0)
	v_add_u32_e32 v9, v10, v9
	s_or_b64 exec, exec, s[76:77]
	s_and_saveexec_b64 s[76:77], s[40:41]
	s_cbranch_execnz .LBB172_95
.LBB172_63:                             ;   in Loop: Header=BB172_41 Depth=1
	s_or_b64 exec, exec, s[76:77]
	s_and_saveexec_b64 s[76:77], s[42:43]
	s_cbranch_execz .LBB172_96
.LBB172_64:                             ;   in Loop: Header=BB172_41 Depth=1
	v_mov_b32_e32 v10, s98
	ds_read_b32 v10, v10
	s_waitcnt lgkmcnt(0)
	v_add_u32_e32 v9, v10, v9
	s_or_b64 exec, exec, s[76:77]
	s_and_saveexec_b64 s[76:77], s[44:45]
	s_cbranch_execnz .LBB172_97
.LBB172_65:                             ;   in Loop: Header=BB172_41 Depth=1
	s_or_b64 exec, exec, s[76:77]
	s_and_saveexec_b64 s[76:77], s[46:47]
	s_cbranch_execz .LBB172_98
.LBB172_66:                             ;   in Loop: Header=BB172_41 Depth=1
	v_mov_b32_e32 v10, s72
	ds_read_b32 v10, v10
	s_waitcnt lgkmcnt(0)
	v_add_u32_e32 v9, v10, v9
	s_or_b64 exec, exec, s[76:77]
	s_and_saveexec_b64 s[76:77], s[48:49]
	s_cbranch_execnz .LBB172_99
.LBB172_67:                             ;   in Loop: Header=BB172_41 Depth=1
	s_or_b64 exec, exec, s[76:77]
	s_and_saveexec_b64 s[76:77], s[50:51]
	s_cbranch_execz .LBB172_100
.LBB172_68:                             ;   in Loop: Header=BB172_41 Depth=1
	v_mov_b32_e32 v10, s68
	ds_read_b32 v10, v10
	s_waitcnt lgkmcnt(0)
	v_add_u32_e32 v9, v10, v9
	s_or_b64 exec, exec, s[76:77]
	s_and_saveexec_b64 s[76:77], s[52:53]
	s_cbranch_execnz .LBB172_101
.LBB172_69:                             ;   in Loop: Header=BB172_41 Depth=1
	s_or_b64 exec, exec, s[76:77]
	s_and_saveexec_b64 s[76:77], s[54:55]
	s_cbranch_execz .LBB172_102
.LBB172_70:                             ;   in Loop: Header=BB172_41 Depth=1
	v_mov_b32_e32 v10, s71
	ds_read_b32 v10, v10
	s_waitcnt lgkmcnt(0)
	v_add_u32_e32 v9, v10, v9
	s_or_b64 exec, exec, s[76:77]
	s_and_saveexec_b64 s[76:77], s[56:57]
	s_cbranch_execnz .LBB172_103
.LBB172_71:                             ;   in Loop: Header=BB172_41 Depth=1
	s_or_b64 exec, exec, s[76:77]
	s_and_saveexec_b64 s[76:77], s[58:59]
	s_cbranch_execz .LBB172_104
.LBB172_72:                             ;   in Loop: Header=BB172_41 Depth=1
	v_mov_b32_e32 v10, s69
	ds_read_b32 v10, v10
	s_waitcnt lgkmcnt(0)
	v_add_u32_e32 v9, v10, v9
	s_or_b64 exec, exec, s[76:77]
	s_and_saveexec_b64 s[76:77], s[64:65]
	s_cbranch_execnz .LBB172_105
.LBB172_73:                             ;   in Loop: Header=BB172_41 Depth=1
	s_or_b64 exec, exec, s[76:77]
	s_and_saveexec_b64 s[64:65], vcc
	s_cbranch_execz .LBB172_40
	s_branch .LBB172_106
.LBB172_74:                             ;   in Loop: Header=BB172_41 Depth=1
	s_or_b64 exec, exec, s[76:77]
	s_and_saveexec_b64 s[76:77], s[62:63]
	s_cbranch_execz .LBB172_43
.LBB172_75:                             ;   in Loop: Header=BB172_41 Depth=1
	v_readlane_b32 s80, v30, 7
	s_nop 1
	v_mov_b32_e32 v10, s80
	ds_read_b32 v10, v10
	s_waitcnt lgkmcnt(0)
	v_add_u32_e32 v9, v10, v9
	s_or_b64 exec, exec, s[76:77]
	s_and_saveexec_b64 s[76:77], s[0:1]
	s_cbranch_execnz .LBB172_44
.LBB172_76:                             ;   in Loop: Header=BB172_41 Depth=1
	s_or_b64 exec, exec, s[76:77]
	s_and_saveexec_b64 s[76:77], s[2:3]
	s_cbranch_execz .LBB172_45
.LBB172_77:                             ;   in Loop: Header=BB172_41 Depth=1
	v_readlane_b32 s80, v30, 9
	s_nop 1
	v_mov_b32_e32 v10, s80
	ds_read_b32 v10, v10
	s_waitcnt lgkmcnt(0)
	v_add_u32_e32 v9, v10, v9
	s_or_b64 exec, exec, s[76:77]
	s_and_saveexec_b64 s[76:77], s[4:5]
	s_cbranch_execnz .LBB172_46
.LBB172_78:                             ;   in Loop: Header=BB172_41 Depth=1
	s_or_b64 exec, exec, s[76:77]
	s_and_saveexec_b64 s[76:77], s[6:7]
	s_cbranch_execz .LBB172_47
.LBB172_79:                             ;   in Loop: Header=BB172_41 Depth=1
	v_readlane_b32 s80, v30, 10
	s_nop 1
	v_mov_b32_e32 v10, s80
	ds_read_b32 v10, v10
	s_waitcnt lgkmcnt(0)
	v_add_u32_e32 v9, v10, v9
	s_or_b64 exec, exec, s[76:77]
	s_and_saveexec_b64 s[76:77], s[8:9]
	s_cbranch_execnz .LBB172_48
.LBB172_80:                             ;   in Loop: Header=BB172_41 Depth=1
	s_or_b64 exec, exec, s[76:77]
	s_and_saveexec_b64 s[76:77], s[10:11]
	s_cbranch_execz .LBB172_49
.LBB172_81:                             ;   in Loop: Header=BB172_41 Depth=1
	v_mov_b32_e32 v10, s83
	ds_read_b32 v10, v10
	s_waitcnt lgkmcnt(0)
	v_add_u32_e32 v9, v10, v9
	s_or_b64 exec, exec, s[76:77]
	s_and_saveexec_b64 s[76:77], s[12:13]
	s_cbranch_execnz .LBB172_50
.LBB172_82:                             ;   in Loop: Header=BB172_41 Depth=1
	s_or_b64 exec, exec, s[76:77]
	s_and_saveexec_b64 s[76:77], s[14:15]
	s_cbranch_execz .LBB172_51
.LBB172_83:                             ;   in Loop: Header=BB172_41 Depth=1
	v_mov_b32_e32 v10, s85
	ds_read_b32 v10, v10
	s_waitcnt lgkmcnt(0)
	v_add_u32_e32 v9, v10, v9
	s_or_b64 exec, exec, s[76:77]
	s_and_saveexec_b64 s[76:77], s[16:17]
	s_cbranch_execnz .LBB172_52
.LBB172_84:                             ;   in Loop: Header=BB172_41 Depth=1
	s_or_b64 exec, exec, s[76:77]
	s_and_saveexec_b64 s[76:77], s[18:19]
	s_cbranch_execz .LBB172_53
.LBB172_85:                             ;   in Loop: Header=BB172_41 Depth=1
	v_mov_b32_e32 v10, s87
	ds_read_b32 v10, v10
	s_waitcnt lgkmcnt(0)
	v_add_u32_e32 v9, v10, v9
	s_or_b64 exec, exec, s[76:77]
	s_and_saveexec_b64 s[76:77], s[20:21]
	s_cbranch_execnz .LBB172_54
.LBB172_86:                             ;   in Loop: Header=BB172_41 Depth=1
	s_or_b64 exec, exec, s[76:77]
	s_and_saveexec_b64 s[76:77], s[22:23]
	s_cbranch_execz .LBB172_55
.LBB172_87:                             ;   in Loop: Header=BB172_41 Depth=1
	v_mov_b32_e32 v10, s89
	ds_read_b32 v10, v10
	s_waitcnt lgkmcnt(0)
	v_add_u32_e32 v9, v10, v9
	s_or_b64 exec, exec, s[76:77]
	s_and_saveexec_b64 s[76:77], s[24:25]
	s_cbranch_execnz .LBB172_56
.LBB172_88:                             ;   in Loop: Header=BB172_41 Depth=1
	s_or_b64 exec, exec, s[76:77]
	s_and_saveexec_b64 s[76:77], s[26:27]
	s_cbranch_execz .LBB172_57
.LBB172_89:                             ;   in Loop: Header=BB172_41 Depth=1
	v_mov_b32_e32 v10, s91
	ds_read_b32 v10, v10
	s_waitcnt lgkmcnt(0)
	v_add_u32_e32 v9, v10, v9
	s_or_b64 exec, exec, s[76:77]
	s_and_saveexec_b64 s[76:77], s[28:29]
	s_cbranch_execnz .LBB172_58
.LBB172_90:                             ;   in Loop: Header=BB172_41 Depth=1
	s_or_b64 exec, exec, s[76:77]
	s_and_saveexec_b64 s[76:77], s[30:31]
	s_cbranch_execz .LBB172_59
.LBB172_91:                             ;   in Loop: Header=BB172_41 Depth=1
	v_mov_b32_e32 v10, s93
	ds_read_b32 v10, v10
	s_waitcnt lgkmcnt(0)
	v_add_u32_e32 v9, v10, v9
	s_or_b64 exec, exec, s[76:77]
	s_and_saveexec_b64 s[76:77], s[34:35]
	s_cbranch_execnz .LBB172_60
.LBB172_92:                             ;   in Loop: Header=BB172_41 Depth=1
	s_or_b64 exec, exec, s[76:77]
	s_and_saveexec_b64 s[76:77], s[36:37]
	s_cbranch_execz .LBB172_61
.LBB172_93:                             ;   in Loop: Header=BB172_41 Depth=1
	v_mov_b32_e32 v10, s95
	ds_read_b32 v10, v10
	s_waitcnt lgkmcnt(0)
	v_add_u32_e32 v9, v10, v9
	s_or_b64 exec, exec, s[76:77]
	s_and_saveexec_b64 s[76:77], s[38:39]
	s_cbranch_execnz .LBB172_62
.LBB172_94:                             ;   in Loop: Header=BB172_41 Depth=1
	s_or_b64 exec, exec, s[76:77]
	s_and_saveexec_b64 s[76:77], s[40:41]
	s_cbranch_execz .LBB172_63
.LBB172_95:                             ;   in Loop: Header=BB172_41 Depth=1
	v_mov_b32_e32 v10, s97
	ds_read_b32 v10, v10
	s_waitcnt lgkmcnt(0)
	v_add_u32_e32 v9, v10, v9
	s_or_b64 exec, exec, s[76:77]
	s_and_saveexec_b64 s[76:77], s[42:43]
	s_cbranch_execnz .LBB172_64
.LBB172_96:                             ;   in Loop: Header=BB172_41 Depth=1
	s_or_b64 exec, exec, s[76:77]
	s_and_saveexec_b64 s[76:77], s[44:45]
	s_cbranch_execz .LBB172_65
.LBB172_97:                             ;   in Loop: Header=BB172_41 Depth=1
	v_mov_b32_e32 v10, s99
	ds_read_b32 v10, v10
	s_waitcnt lgkmcnt(0)
	v_add_u32_e32 v9, v10, v9
	s_or_b64 exec, exec, s[76:77]
	s_and_saveexec_b64 s[76:77], s[46:47]
	s_cbranch_execnz .LBB172_66
.LBB172_98:                             ;   in Loop: Header=BB172_41 Depth=1
	s_or_b64 exec, exec, s[76:77]
	s_and_saveexec_b64 s[76:77], s[48:49]
	s_cbranch_execz .LBB172_67
.LBB172_99:                             ;   in Loop: Header=BB172_41 Depth=1
	v_mov_b32_e32 v10, s73
	ds_read_b32 v10, v10
	s_waitcnt lgkmcnt(0)
	v_add_u32_e32 v9, v10, v9
	s_or_b64 exec, exec, s[76:77]
	s_and_saveexec_b64 s[76:77], s[50:51]
	s_cbranch_execnz .LBB172_68
.LBB172_100:                            ;   in Loop: Header=BB172_41 Depth=1
	s_or_b64 exec, exec, s[76:77]
	s_and_saveexec_b64 s[76:77], s[52:53]
	s_cbranch_execz .LBB172_69
.LBB172_101:                            ;   in Loop: Header=BB172_41 Depth=1
	v_mov_b32_e32 v10, s70
	ds_read_b32 v10, v10
	s_waitcnt lgkmcnt(0)
	v_add_u32_e32 v9, v10, v9
	s_or_b64 exec, exec, s[76:77]
	s_and_saveexec_b64 s[76:77], s[54:55]
	s_cbranch_execnz .LBB172_70
.LBB172_102:                            ;   in Loop: Header=BB172_41 Depth=1
	s_or_b64 exec, exec, s[76:77]
	s_and_saveexec_b64 s[76:77], s[56:57]
	s_cbranch_execz .LBB172_71
.LBB172_103:                            ;   in Loop: Header=BB172_41 Depth=1
	v_mov_b32_e32 v10, s67
	ds_read_b32 v10, v10
	s_waitcnt lgkmcnt(0)
	v_add_u32_e32 v9, v10, v9
	s_or_b64 exec, exec, s[76:77]
	s_and_saveexec_b64 s[76:77], s[58:59]
	s_cbranch_execnz .LBB172_72
.LBB172_104:                            ;   in Loop: Header=BB172_41 Depth=1
	s_or_b64 exec, exec, s[76:77]
	s_and_saveexec_b64 s[76:77], s[64:65]
	s_cbranch_execz .LBB172_73
.LBB172_105:                            ;   in Loop: Header=BB172_41 Depth=1
	v_add3_u32 v10, v8, -1, v9
	v_lshl_add_u32 v10, v10, 2, 0
	v_add_u32_e32 v11, v8, v9
	v_lshl_add_u32 v11, v11, 2, 0
	ds_write_b32 v10, v4
	ds_write_b32 v11, v5 offset:32764
	s_or_b64 exec, exec, s[76:77]
	s_and_saveexec_b64 s[64:65], vcc
	s_cbranch_execz .LBB172_40
.LBB172_106:                            ;   in Loop: Header=BB172_41 Depth=1
	v_mov_b32_e32 v4, s78
	ds_write_b32 v4, v9
	s_branch .LBB172_40
.LBB172_107:
	s_or_b64 exec, exec, s[74:75]
	v_readlane_b32 s0, v30, 4
	v_readlane_b32 s1, v30, 5
	s_ashr_i32 s1, s0, 31
	s_lshl_b64 s[0:1], s[0:1], 3
	v_readlane_b32 s2, v30, 0
	v_readlane_b32 s3, v30, 1
	s_add_u32 s4, s2, s0
	s_addc_u32 s5, s3, s1
	s_load_dwordx4 s[0:3], s[4:5], 0x0
	s_waitcnt lgkmcnt(0)
	s_sub_i32 s8, s2, s0
	v_cmp_gt_i32_e32 vcc, s8, v0
	s_and_saveexec_b64 s[4:5], vcc
	v_readlane_b32 s14, v30, 2
	v_readlane_b32 s15, v30, 3
	s_cbranch_execz .LBB172_117
; %bb.108:
	s_sub_u32 s4, s0, s66
	s_subb_u32 s5, s1, 0
	s_and_b32 s10, s8, 7
	s_sub_i32 s0, s0, s2
	s_cmp_lt_u32 s0, -7
	s_cselect_b64 s[0:1], -1, 0
	s_and_b32 s11, s8, -8
	s_cmp_lg_u32 s10, 0
	v_cndmask_b32_e64 v1, 0, 1, s[0:1]
	s_cselect_b64 s[2:3], -1, 0
	v_cmp_ne_u32_e64 s[0:1], 1, v1
	v_cndmask_b32_e64 v1, 0, 1, s[2:3]
	s_mov_b32 s9, 0
	s_mov_b64 s[6:7], 0
	v_cmp_ne_u32_e64 s[2:3], 1, v1
	s_branch .LBB172_110
.LBB172_109:                            ;   in Loop: Header=BB172_110 Depth=1
	v_add_u32_e32 v0, 0x400, v0
	v_cmp_le_i32_e32 vcc, s8, v0
	v_lshl_add_u64 v[4:5], v[4:5], 2, s[14:15]
	s_or_b64 s[6:7], vcc, s[6:7]
	s_waitcnt lgkmcnt(0)
	global_store_dword v[4:5], v3, off
	s_andn2_b64 exec, exec, s[6:7]
	s_cbranch_execz .LBB172_117
.LBB172_110:                            ; =>This Loop Header: Depth=1
                                        ;     Child Loop BB172_112 Depth 2
                                        ;     Child Loop BB172_116 Depth 2
	v_lshl_add_u32 v1, v0, 2, 0
	ds_read2st64_b32 v[2:3], v1 offset1:128
	s_and_b64 vcc, exec, s[0:1]
	v_mov_b64_e32 v[4:5], s[4:5]
	s_mov_b32 s12, 0
	s_cbranch_vccnz .LBB172_114
; %bb.111:                              ;   in Loop: Header=BB172_110 Depth=1
	s_mov_b32 s13, 0
	v_mov_b64_e32 v[4:5], s[4:5]
.LBB172_112:                            ;   Parent Loop BB172_110 Depth=1
                                        ; =>  This Inner Loop Header: Depth=2
	v_mov_b32_e32 v1, s13
	ds_read2_b32 v[22:23], v1 offset1:1
	ds_read2_b32 v[24:25], v1 offset0:2 offset1:3
	ds_read2_b32 v[26:27], v1 offset0:4 offset1:5
	;; [unrolled: 1-line block ×3, first 2 shown]
	v_mov_b32_e32 v7, s9
	s_waitcnt lgkmcnt(3)
	v_cmp_gt_i32_e32 vcc, v2, v22
	v_mov_b32_e32 v9, s9
	v_mov_b32_e32 v11, s9
	v_cndmask_b32_e64 v6, 0, 1, vcc
	v_cmp_gt_i32_e32 vcc, v2, v23
	v_lshl_add_u64 v[4:5], v[4:5], 0, v[6:7]
	v_mov_b32_e32 v13, s9
	v_cndmask_b32_e64 v8, 0, 1, vcc
	s_waitcnt lgkmcnt(2)
	v_cmp_gt_i32_e32 vcc, v2, v24
	v_lshl_add_u64 v[4:5], v[4:5], 0, v[8:9]
	v_mov_b32_e32 v15, s9
	v_cndmask_b32_e64 v10, 0, 1, vcc
	v_cmp_gt_i32_e32 vcc, v2, v25
	v_lshl_add_u64 v[4:5], v[4:5], 0, v[10:11]
	v_mov_b32_e32 v17, s9
	v_cndmask_b32_e64 v12, 0, 1, vcc
	s_waitcnt lgkmcnt(1)
	v_cmp_gt_i32_e32 vcc, v2, v26
	v_lshl_add_u64 v[4:5], v[4:5], 0, v[12:13]
	;; [unrolled: 9-line block ×3, first 2 shown]
	s_add_i32 s12, s12, 8
	v_cndmask_b32_e64 v18, 0, 1, vcc
	v_cmp_gt_i32_e32 vcc, v2, v29
	s_add_i32 s13, s13, 32
	v_lshl_add_u64 v[4:5], v[4:5], 0, v[18:19]
	v_cndmask_b32_e64 v20, 0, 1, vcc
	s_cmp_eq_u32 s11, s12
	v_lshl_add_u64 v[4:5], v[4:5], 0, v[20:21]
	s_cbranch_scc0 .LBB172_112
; %bb.113:                              ;   in Loop: Header=BB172_110 Depth=1
	s_mov_b32 s12, s11
.LBB172_114:                            ;   in Loop: Header=BB172_110 Depth=1
	s_and_b64 vcc, exec, s[2:3]
	s_cbranch_vccnz .LBB172_109
; %bb.115:                              ;   in Loop: Header=BB172_110 Depth=1
	s_lshl_b32 s12, s12, 2
	s_add_i32 s12, s12, 0
	s_mov_b32 s13, s10
.LBB172_116:                            ;   Parent Loop BB172_110 Depth=1
                                        ; =>  This Inner Loop Header: Depth=2
	v_mov_b32_e32 v1, s12
	ds_read_b32 v1, v1
	v_mov_b32_e32 v7, s9
	s_add_i32 s12, s12, 4
	s_add_i32 s13, s13, -1
	s_cmp_lg_u32 s13, 0
	s_waitcnt lgkmcnt(0)
	v_cmp_gt_i32_e32 vcc, v2, v1
	s_nop 1
	v_cndmask_b32_e64 v6, 0, 1, vcc
	v_lshl_add_u64 v[4:5], v[4:5], 0, v[6:7]
	s_cbranch_scc1 .LBB172_116
	s_branch .LBB172_109
.LBB172_117:
	s_endpgm
	.section	.rodata,"a",@progbits
	.p2align	6, 0x0
	.amdhsa_kernel _ZN9rocsparseL41csrgemm_numeric_fill_block_per_row_kernelILj1024ELj64ELj8192ELj137ELj32ElifEEvT5_PKS1_S3_NS_24const_host_device_scalarIT6_EEPKT4_S3_PKS5_S9_S3_SB_S6_S9_S3_SB_S9_S3_PS5_21rocsparse_index_base_SD_SD_SD_bbb
		.amdhsa_group_segment_fixed_size 0
		.amdhsa_private_segment_fixed_size 0
		.amdhsa_kernarg_size 156
		.amdhsa_user_sgpr_count 2
		.amdhsa_user_sgpr_dispatch_ptr 0
		.amdhsa_user_sgpr_queue_ptr 0
		.amdhsa_user_sgpr_kernarg_segment_ptr 1
		.amdhsa_user_sgpr_dispatch_id 0
		.amdhsa_user_sgpr_kernarg_preload_length 0
		.amdhsa_user_sgpr_kernarg_preload_offset 0
		.amdhsa_user_sgpr_private_segment_size 0
		.amdhsa_uses_dynamic_stack 0
		.amdhsa_enable_private_segment 0
		.amdhsa_system_sgpr_workgroup_id_x 1
		.amdhsa_system_sgpr_workgroup_id_y 0
		.amdhsa_system_sgpr_workgroup_id_z 0
		.amdhsa_system_sgpr_workgroup_info 0
		.amdhsa_system_vgpr_workitem_id 0
		.amdhsa_next_free_vgpr 31
		.amdhsa_next_free_sgpr 100
		.amdhsa_accum_offset 32
		.amdhsa_reserve_vcc 1
		.amdhsa_float_round_mode_32 0
		.amdhsa_float_round_mode_16_64 0
		.amdhsa_float_denorm_mode_32 3
		.amdhsa_float_denorm_mode_16_64 3
		.amdhsa_dx10_clamp 1
		.amdhsa_ieee_mode 1
		.amdhsa_fp16_overflow 0
		.amdhsa_tg_split 0
		.amdhsa_exception_fp_ieee_invalid_op 0
		.amdhsa_exception_fp_denorm_src 0
		.amdhsa_exception_fp_ieee_div_zero 0
		.amdhsa_exception_fp_ieee_overflow 0
		.amdhsa_exception_fp_ieee_underflow 0
		.amdhsa_exception_fp_ieee_inexact 0
		.amdhsa_exception_int_div_zero 0
	.end_amdhsa_kernel
	.section	.text._ZN9rocsparseL41csrgemm_numeric_fill_block_per_row_kernelILj1024ELj64ELj8192ELj137ELj32ElifEEvT5_PKS1_S3_NS_24const_host_device_scalarIT6_EEPKT4_S3_PKS5_S9_S3_SB_S6_S9_S3_SB_S9_S3_PS5_21rocsparse_index_base_SD_SD_SD_bbb,"axG",@progbits,_ZN9rocsparseL41csrgemm_numeric_fill_block_per_row_kernelILj1024ELj64ELj8192ELj137ELj32ElifEEvT5_PKS1_S3_NS_24const_host_device_scalarIT6_EEPKT4_S3_PKS5_S9_S3_SB_S6_S9_S3_SB_S9_S3_PS5_21rocsparse_index_base_SD_SD_SD_bbb,comdat
.Lfunc_end172:
	.size	_ZN9rocsparseL41csrgemm_numeric_fill_block_per_row_kernelILj1024ELj64ELj8192ELj137ELj32ElifEEvT5_PKS1_S3_NS_24const_host_device_scalarIT6_EEPKT4_S3_PKS5_S9_S3_SB_S6_S9_S3_SB_S9_S3_PS5_21rocsparse_index_base_SD_SD_SD_bbb, .Lfunc_end172-_ZN9rocsparseL41csrgemm_numeric_fill_block_per_row_kernelILj1024ELj64ELj8192ELj137ELj32ElifEEvT5_PKS1_S3_NS_24const_host_device_scalarIT6_EEPKT4_S3_PKS5_S9_S3_SB_S6_S9_S3_SB_S9_S3_PS5_21rocsparse_index_base_SD_SD_SD_bbb
                                        ; -- End function
	.set _ZN9rocsparseL41csrgemm_numeric_fill_block_per_row_kernelILj1024ELj64ELj8192ELj137ELj32ElifEEvT5_PKS1_S3_NS_24const_host_device_scalarIT6_EEPKT4_S3_PKS5_S9_S3_SB_S6_S9_S3_SB_S9_S3_PS5_21rocsparse_index_base_SD_SD_SD_bbb.num_vgpr, 31
	.set _ZN9rocsparseL41csrgemm_numeric_fill_block_per_row_kernelILj1024ELj64ELj8192ELj137ELj32ElifEEvT5_PKS1_S3_NS_24const_host_device_scalarIT6_EEPKT4_S3_PKS5_S9_S3_SB_S6_S9_S3_SB_S9_S3_PS5_21rocsparse_index_base_SD_SD_SD_bbb.num_agpr, 0
	.set _ZN9rocsparseL41csrgemm_numeric_fill_block_per_row_kernelILj1024ELj64ELj8192ELj137ELj32ElifEEvT5_PKS1_S3_NS_24const_host_device_scalarIT6_EEPKT4_S3_PKS5_S9_S3_SB_S6_S9_S3_SB_S9_S3_PS5_21rocsparse_index_base_SD_SD_SD_bbb.numbered_sgpr, 100
	.set _ZN9rocsparseL41csrgemm_numeric_fill_block_per_row_kernelILj1024ELj64ELj8192ELj137ELj32ElifEEvT5_PKS1_S3_NS_24const_host_device_scalarIT6_EEPKT4_S3_PKS5_S9_S3_SB_S6_S9_S3_SB_S9_S3_PS5_21rocsparse_index_base_SD_SD_SD_bbb.num_named_barrier, 0
	.set _ZN9rocsparseL41csrgemm_numeric_fill_block_per_row_kernelILj1024ELj64ELj8192ELj137ELj32ElifEEvT5_PKS1_S3_NS_24const_host_device_scalarIT6_EEPKT4_S3_PKS5_S9_S3_SB_S6_S9_S3_SB_S9_S3_PS5_21rocsparse_index_base_SD_SD_SD_bbb.private_seg_size, 0
	.set _ZN9rocsparseL41csrgemm_numeric_fill_block_per_row_kernelILj1024ELj64ELj8192ELj137ELj32ElifEEvT5_PKS1_S3_NS_24const_host_device_scalarIT6_EEPKT4_S3_PKS5_S9_S3_SB_S6_S9_S3_SB_S9_S3_PS5_21rocsparse_index_base_SD_SD_SD_bbb.uses_vcc, 1
	.set _ZN9rocsparseL41csrgemm_numeric_fill_block_per_row_kernelILj1024ELj64ELj8192ELj137ELj32ElifEEvT5_PKS1_S3_NS_24const_host_device_scalarIT6_EEPKT4_S3_PKS5_S9_S3_SB_S6_S9_S3_SB_S9_S3_PS5_21rocsparse_index_base_SD_SD_SD_bbb.uses_flat_scratch, 0
	.set _ZN9rocsparseL41csrgemm_numeric_fill_block_per_row_kernelILj1024ELj64ELj8192ELj137ELj32ElifEEvT5_PKS1_S3_NS_24const_host_device_scalarIT6_EEPKT4_S3_PKS5_S9_S3_SB_S6_S9_S3_SB_S9_S3_PS5_21rocsparse_index_base_SD_SD_SD_bbb.has_dyn_sized_stack, 0
	.set _ZN9rocsparseL41csrgemm_numeric_fill_block_per_row_kernelILj1024ELj64ELj8192ELj137ELj32ElifEEvT5_PKS1_S3_NS_24const_host_device_scalarIT6_EEPKT4_S3_PKS5_S9_S3_SB_S6_S9_S3_SB_S9_S3_PS5_21rocsparse_index_base_SD_SD_SD_bbb.has_recursion, 0
	.set _ZN9rocsparseL41csrgemm_numeric_fill_block_per_row_kernelILj1024ELj64ELj8192ELj137ELj32ElifEEvT5_PKS1_S3_NS_24const_host_device_scalarIT6_EEPKT4_S3_PKS5_S9_S3_SB_S6_S9_S3_SB_S9_S3_PS5_21rocsparse_index_base_SD_SD_SD_bbb.has_indirect_call, 0
	.section	.AMDGPU.csdata,"",@progbits
; Kernel info:
; codeLenInByte = 4448
; TotalNumSgprs: 106
; NumVgprs: 31
; NumAgprs: 0
; TotalNumVgprs: 31
; ScratchSize: 0
; MemoryBound: 0
; FloatMode: 240
; IeeeMode: 1
; LDSByteSize: 0 bytes/workgroup (compile time only)
; SGPRBlocks: 13
; VGPRBlocks: 3
; NumSGPRsForWavesPerEU: 106
; NumVGPRsForWavesPerEU: 31
; AccumOffset: 32
; Occupancy: 7
; WaveLimiterHint : 1
; COMPUTE_PGM_RSRC2:SCRATCH_EN: 0
; COMPUTE_PGM_RSRC2:USER_SGPR: 2
; COMPUTE_PGM_RSRC2:TRAP_HANDLER: 0
; COMPUTE_PGM_RSRC2:TGID_X_EN: 1
; COMPUTE_PGM_RSRC2:TGID_Y_EN: 0
; COMPUTE_PGM_RSRC2:TGID_Z_EN: 0
; COMPUTE_PGM_RSRC2:TIDIG_COMP_CNT: 0
; COMPUTE_PGM_RSRC3_GFX90A:ACCUM_OFFSET: 7
; COMPUTE_PGM_RSRC3_GFX90A:TG_SPLIT: 0
	.section	.text._ZN9rocsparseL41csrgemm_numeric_fill_block_per_row_kernelILj1024ELj64ELj8192ELj137ELj64ElifEEvT5_PKS1_S3_NS_24const_host_device_scalarIT6_EEPKT4_S3_PKS5_S9_S3_SB_S6_S9_S3_SB_S9_S3_PS5_21rocsparse_index_base_SD_SD_SD_bbb,"axG",@progbits,_ZN9rocsparseL41csrgemm_numeric_fill_block_per_row_kernelILj1024ELj64ELj8192ELj137ELj64ElifEEvT5_PKS1_S3_NS_24const_host_device_scalarIT6_EEPKT4_S3_PKS5_S9_S3_SB_S6_S9_S3_SB_S9_S3_PS5_21rocsparse_index_base_SD_SD_SD_bbb,comdat
	.globl	_ZN9rocsparseL41csrgemm_numeric_fill_block_per_row_kernelILj1024ELj64ELj8192ELj137ELj64ElifEEvT5_PKS1_S3_NS_24const_host_device_scalarIT6_EEPKT4_S3_PKS5_S9_S3_SB_S6_S9_S3_SB_S9_S3_PS5_21rocsparse_index_base_SD_SD_SD_bbb ; -- Begin function _ZN9rocsparseL41csrgemm_numeric_fill_block_per_row_kernelILj1024ELj64ELj8192ELj137ELj64ElifEEvT5_PKS1_S3_NS_24const_host_device_scalarIT6_EEPKT4_S3_PKS5_S9_S3_SB_S6_S9_S3_SB_S9_S3_PS5_21rocsparse_index_base_SD_SD_SD_bbb
	.p2align	8
	.type	_ZN9rocsparseL41csrgemm_numeric_fill_block_per_row_kernelILj1024ELj64ELj8192ELj137ELj64ElifEEvT5_PKS1_S3_NS_24const_host_device_scalarIT6_EEPKT4_S3_PKS5_S9_S3_SB_S6_S9_S3_SB_S9_S3_PS5_21rocsparse_index_base_SD_SD_SD_bbb,@function
_ZN9rocsparseL41csrgemm_numeric_fill_block_per_row_kernelILj1024ELj64ELj8192ELj137ELj64ElifEEvT5_PKS1_S3_NS_24const_host_device_scalarIT6_EEPKT4_S3_PKS5_S9_S3_SB_S6_S9_S3_SB_S9_S3_PS5_21rocsparse_index_base_SD_SD_SD_bbb: ; @_ZN9rocsparseL41csrgemm_numeric_fill_block_per_row_kernelILj1024ELj64ELj8192ELj137ELj64ElifEEvT5_PKS1_S3_NS_24const_host_device_scalarIT6_EEPKT4_S3_PKS5_S9_S3_SB_S6_S9_S3_SB_S9_S3_PS5_21rocsparse_index_base_SD_SD_SD_bbb
; %bb.0:
	s_load_dword s3, s[0:1], 0x98
	s_load_dwordx4 s[8:11], s[0:1], 0x8
	s_load_dwordx2 s[6:7], s[0:1], 0x18
	s_load_dwordx4 s[36:39], s[0:1], 0x88
	s_load_dwordx2 s[12:13], s[0:1], 0x50
	s_waitcnt lgkmcnt(0)
	s_bitcmp1_b32 s3, 0
	s_cselect_b64 s[4:5], -1, 0
	s_bitcmp1_b32 s3, 16
	s_cselect_b64 s[14:15], -1, 0
	s_xor_b64 s[16:17], s[4:5], -1
	s_or_b64 s[16:17], s[14:15], s[16:17]
	s_and_b64 vcc, exec, s[16:17]
	s_cbranch_vccnz .LBB173_2
; %bb.1:
	s_load_dword s6, s[6:7], 0x0
	s_waitcnt lgkmcnt(0)
	v_mov_b32_e32 v12, s6
	s_branch .LBB173_3
.LBB173_2:
	v_mov_b32_e32 v1, s6
	v_cndmask_b32_e64 v12, 0, v1, s[4:5]
.LBB173_3:
	s_bitcmp1_b32 s3, 8
	s_cselect_b64 s[6:7], -1, 0
	s_xor_b64 s[16:17], s[6:7], -1
	s_or_b64 s[14:15], s[14:15], s[16:17]
	s_and_b64 vcc, exec, s[14:15]
	s_cbranch_vccnz .LBB173_5
; %bb.4:
	s_load_dword s3, s[12:13], 0x0
	s_waitcnt lgkmcnt(0)
	v_mov_b32_e32 v10, s3
	s_branch .LBB173_6
.LBB173_5:
	v_mov_b32_e32 v1, s12
	v_cndmask_b32_e64 v10, 0, v1, s[6:7]
.LBB173_6:
	s_load_dword s33, s[0:1], 0x0
	v_lshl_add_u32 v1, v0, 2, 0
	v_mov_b32_e32 v2, 0
	ds_write2st64_b32 v1, v2, v2 offset0:128 offset1:144
	s_mov_b32 s3, 0
	s_waitcnt lgkmcnt(0)
	v_mov_b32_e32 v3, s33
	v_mov_b32_e32 v4, s33
	ds_write2st64_b32 v1, v3, v4 offset1:16
	ds_write2st64_b32 v1, v3, v4 offset0:32 offset1:48
	ds_write2st64_b32 v1, v2, v2 offset0:160 offset1:176
	;; [unrolled: 1-line block ×6, first 2 shown]
	s_waitcnt lgkmcnt(0)
	s_barrier
	s_load_dword s8, s[8:9], 0x0
	v_lshrrev_b32_e32 v11, 6, v0
	s_waitcnt lgkmcnt(0)
	s_add_i32 s2, s8, s2
	s_lshl_b64 s[2:3], s[2:3], 2
	s_add_u32 s2, s10, s2
	s_addc_u32 s3, s11, s3
	s_load_dword s34, s[2:3], 0x0
	s_andn2_b64 vcc, exec, s[4:5]
	s_cbranch_vccnz .LBB173_24
; %bb.7:
	s_load_dwordx2 s[2:3], s[0:1], 0x20
	s_waitcnt lgkmcnt(0)
	s_ashr_i32 s35, s34, 31
	s_lshl_b64 s[4:5], s[34:35], 3
	v_subrev_co_u32_e32 v2, vcc, s36, v11
	s_add_u32 s2, s2, s4
	s_addc_u32 s3, s3, s5
	s_load_dwordx4 s[8:11], s[2:3], 0x0
	v_subb_co_u32_e64 v3, s[2:3], 0, 0, vcc
	s_waitcnt lgkmcnt(0)
	s_sub_u32 s2, s10, s36
	s_subb_u32 s3, s11, 0
	v_lshl_add_u64 v[2:3], s[8:9], 0, v[2:3]
	v_cmp_gt_i64_e32 vcc, s[2:3], v[2:3]
	s_and_saveexec_b64 s[4:5], vcc
	s_cbranch_execz .LBB173_23
; %bb.8:
	s_load_dwordx8 s[8:15], s[0:1], 0x28
	s_load_dwordx2 s[16:17], s[0:1], 0x48
	v_and_b32_e32 v4, 63, v0
	v_subrev_co_u32_e32 v4, vcc, s37, v4
	s_mov_b32 s35, s37
	s_nop 0
	v_subb_co_u32_e64 v5, s[18:19], 0, 0, vcc
	s_mov_b64 s[18:19], 0
	s_movk_i32 s42, 0x89
	s_branch .LBB173_10
.LBB173_9:                              ;   in Loop: Header=BB173_10 Depth=1
	s_or_b64 exec, exec, s[20:21]
	v_lshl_add_u64 v[2:3], v[2:3], 0, 16
	v_cmp_le_i64_e32 vcc, s[2:3], v[2:3]
	s_or_b64 s[18:19], vcc, s[18:19]
	s_andn2_b64 exec, exec, s[18:19]
	s_cbranch_execz .LBB173_23
.LBB173_10:                             ; =>This Loop Header: Depth=1
                                        ;     Child Loop BB173_14 Depth 2
                                        ;       Child Loop BB173_17 Depth 3
	s_waitcnt lgkmcnt(0)
	v_lshl_add_u64 v[6:7], v[2:3], 2, s[8:9]
	global_load_dword v6, v[6:7], off
	s_waitcnt vmcnt(0)
	v_subrev_u32_e32 v6, s36, v6
	v_ashrrev_i32_e32 v7, 31, v6
	v_lshl_add_u64 v[6:7], v[6:7], 3, s[12:13]
	global_load_dwordx4 v[14:17], v[6:7], off
	s_waitcnt vmcnt(0)
	v_subrev_co_u32_e32 v6, vcc, s35, v16
	s_nop 1
	v_subbrev_co_u32_e32 v7, vcc, 0, v17, vcc
	v_lshl_add_u64 v[8:9], v[14:15], 0, v[4:5]
	v_cmp_lt_i64_e32 vcc, v[8:9], v[6:7]
	s_and_saveexec_b64 s[20:21], vcc
	s_cbranch_execz .LBB173_9
; %bb.11:                               ;   in Loop: Header=BB173_10 Depth=1
	v_lshl_add_u64 v[14:15], v[2:3], 2, s[10:11]
	global_load_dword v13, v[14:15], off
	s_mov_b64 s[22:23], 0
	s_waitcnt vmcnt(0)
	v_mul_f32_e32 v13, v12, v13
	s_branch .LBB173_14
.LBB173_12:                             ;   in Loop: Header=BB173_14 Depth=2
	s_or_b64 exec, exec, s[26:27]
.LBB173_13:                             ;   in Loop: Header=BB173_14 Depth=2
	s_or_b64 exec, exec, s[24:25]
	s_waitcnt vmcnt(0)
	v_mul_f32_e32 v14, v13, v14
	v_lshl_add_u32 v15, v15, 2, 0
	ds_add_f32 v15, v14 offset:32768
	v_lshl_add_u64 v[8:9], v[8:9], 0, 64
	v_cmp_ge_i64_e32 vcc, v[8:9], v[6:7]
	s_or_b64 s[22:23], vcc, s[22:23]
	s_andn2_b64 exec, exec, s[22:23]
	s_cbranch_execz .LBB173_9
.LBB173_14:                             ;   Parent Loop BB173_10 Depth=1
                                        ; =>  This Loop Header: Depth=2
                                        ;       Child Loop BB173_17 Depth 3
	v_lshlrev_b64 v[14:15], 2, v[8:9]
	v_lshl_add_u64 v[16:17], s[14:15], 0, v[14:15]
	global_load_dword v16, v[16:17], off
	v_lshl_add_u64 v[14:15], s[16:17], 0, v[14:15]
	global_load_dword v14, v[14:15], off
	s_waitcnt vmcnt(1)
	v_subrev_u32_e32 v16, s37, v16
	v_mul_lo_u32 v15, v16, s42
	v_and_b32_e32 v15, 0x1fff, v15
	v_lshl_add_u32 v17, v15, 2, 0
	ds_read_b32 v18, v17
	s_waitcnt lgkmcnt(0)
	v_cmp_ne_u32_e32 vcc, v18, v16
	s_and_saveexec_b64 s[24:25], vcc
	s_cbranch_execz .LBB173_13
; %bb.15:                               ;   in Loop: Header=BB173_14 Depth=2
	s_mov_b64 s[26:27], 0
	s_branch .LBB173_17
.LBB173_16:                             ;   in Loop: Header=BB173_17 Depth=3
	s_or_b64 exec, exec, s[40:41]
	s_and_b64 s[28:29], exec, s[30:31]
	s_or_b64 s[26:27], s[28:29], s[26:27]
	s_andn2_b64 exec, exec, s[26:27]
	s_cbranch_execz .LBB173_12
.LBB173_17:                             ;   Parent Loop BB173_10 Depth=1
                                        ;     Parent Loop BB173_14 Depth=2
                                        ; =>    This Inner Loop Header: Depth=3
	v_cmp_ne_u32_e32 vcc, s33, v18
	s_mov_b64 s[28:29], 0
	s_and_saveexec_b64 s[30:31], vcc
	s_xor_b64 s[30:31], exec, s[30:31]
	s_cbranch_execz .LBB173_19
; %bb.18:                               ;   in Loop: Header=BB173_17 Depth=3
	v_add_u32_e32 v15, 1, v15
	s_mov_b64 s[28:29], exec
	v_and_b32_e32 v15, 0x1fff, v15
                                        ; implicit-def: $vgpr17
	s_andn2_saveexec_b64 s[30:31], s[30:31]
	s_cbranch_execz .LBB173_21
	s_branch .LBB173_20
.LBB173_19:                             ;   in Loop: Header=BB173_17 Depth=3
	s_andn2_saveexec_b64 s[30:31], s[30:31]
	s_cbranch_execz .LBB173_21
.LBB173_20:                             ;   in Loop: Header=BB173_17 Depth=3
	v_mov_b32_e32 v18, s33
	ds_cmpst_rtn_b32 v17, v17, v18, v16
	s_andn2_b64 s[28:29], s[28:29], exec
	s_waitcnt lgkmcnt(0)
	v_cmp_ne_u32_e32 vcc, s33, v17
	s_and_b64 s[40:41], vcc, exec
	s_or_b64 s[28:29], s[28:29], s[40:41]
.LBB173_21:                             ;   in Loop: Header=BB173_17 Depth=3
	s_or_b64 exec, exec, s[30:31]
	s_mov_b64 s[30:31], -1
                                        ; implicit-def: $vgpr17
                                        ; implicit-def: $vgpr18
	s_and_saveexec_b64 s[40:41], s[28:29]
	s_cbranch_execz .LBB173_16
; %bb.22:                               ;   in Loop: Header=BB173_17 Depth=3
	v_lshl_add_u32 v17, v15, 2, 0
	ds_read_b32 v18, v17
	s_waitcnt lgkmcnt(0)
	v_cmp_eq_u32_e32 vcc, v18, v16
	s_orn2_b64 s[30:31], vcc, exec
	s_branch .LBB173_16
.LBB173_23:
	s_or_b64 exec, exec, s[4:5]
.LBB173_24:
	s_load_dwordx2 s[36:37], s[0:1], 0x80
	s_load_dwordx2 s[40:41], s[0:1], 0x70
	s_andn2_b64 vcc, exec, s[6:7]
	s_cbranch_vccnz .LBB173_39
; %bb.25:
	s_load_dwordx2 s[2:3], s[0:1], 0x58
	s_waitcnt lgkmcnt(0)
	s_ashr_i32 s35, s34, 31
	s_lshl_b64 s[4:5], s[34:35], 3
	v_subrev_co_u32_e32 v2, vcc, s39, v0
	s_add_u32 s2, s2, s4
	s_addc_u32 s3, s3, s5
	s_load_dwordx4 s[4:7], s[2:3], 0x0
	v_subb_co_u32_e64 v3, s[2:3], 0, 0, vcc
	s_waitcnt lgkmcnt(0)
	s_sub_u32 s2, s6, s39
	s_subb_u32 s3, s7, 0
	v_lshl_add_u64 v[2:3], s[4:5], 0, v[2:3]
	v_cmp_gt_i64_e32 vcc, s[2:3], v[2:3]
	s_and_saveexec_b64 s[8:9], vcc
	s_cbranch_execz .LBB173_38
; %bb.26:
	s_load_dwordx4 s[4:7], s[0:1], 0x60
	s_mov_b64 s[0:1], 0
	s_movk_i32 s22, 0x89
	s_mov_b64 s[10:11], 0x400
	s_branch .LBB173_29
.LBB173_27:                             ;   in Loop: Header=BB173_29 Depth=1
	s_or_b64 exec, exec, s[14:15]
.LBB173_28:                             ;   in Loop: Header=BB173_29 Depth=1
	s_or_b64 exec, exec, s[12:13]
	s_waitcnt vmcnt(0)
	v_mul_f32_e32 v4, v10, v4
	v_lshl_add_u32 v5, v5, 2, 0
	ds_add_f32 v5, v4 offset:32768
	v_lshl_add_u64 v[2:3], v[2:3], 0, s[10:11]
	v_cmp_le_i64_e32 vcc, s[2:3], v[2:3]
	s_or_b64 s[0:1], vcc, s[0:1]
	s_andn2_b64 exec, exec, s[0:1]
	s_cbranch_execz .LBB173_38
.LBB173_29:                             ; =>This Loop Header: Depth=1
                                        ;     Child Loop BB173_32 Depth 2
	v_lshlrev_b64 v[4:5], 2, v[2:3]
	s_waitcnt lgkmcnt(0)
	v_lshl_add_u64 v[6:7], s[4:5], 0, v[4:5]
	global_load_dword v6, v[6:7], off
	v_lshl_add_u64 v[4:5], s[6:7], 0, v[4:5]
	global_load_dword v4, v[4:5], off
	s_waitcnt vmcnt(1)
	v_subrev_u32_e32 v6, s39, v6
	v_mul_lo_u32 v5, v6, s22
	v_and_b32_e32 v5, 0x1fff, v5
	v_lshl_add_u32 v7, v5, 2, 0
	ds_read_b32 v8, v7
	s_waitcnt lgkmcnt(0)
	v_cmp_ne_u32_e32 vcc, v8, v6
	s_and_saveexec_b64 s[12:13], vcc
	s_cbranch_execz .LBB173_28
; %bb.30:                               ;   in Loop: Header=BB173_29 Depth=1
	s_mov_b64 s[14:15], 0
	s_branch .LBB173_32
.LBB173_31:                             ;   in Loop: Header=BB173_32 Depth=2
	s_or_b64 exec, exec, s[20:21]
	s_and_b64 s[16:17], exec, s[18:19]
	s_or_b64 s[14:15], s[16:17], s[14:15]
	s_andn2_b64 exec, exec, s[14:15]
	s_cbranch_execz .LBB173_27
.LBB173_32:                             ;   Parent Loop BB173_29 Depth=1
                                        ; =>  This Inner Loop Header: Depth=2
	v_cmp_ne_u32_e32 vcc, s33, v8
	s_mov_b64 s[16:17], 0
	s_and_saveexec_b64 s[18:19], vcc
	s_xor_b64 s[18:19], exec, s[18:19]
	s_cbranch_execz .LBB173_34
; %bb.33:                               ;   in Loop: Header=BB173_32 Depth=2
	v_add_u32_e32 v5, 1, v5
	s_mov_b64 s[16:17], exec
	v_and_b32_e32 v5, 0x1fff, v5
                                        ; implicit-def: $vgpr7
	s_andn2_saveexec_b64 s[18:19], s[18:19]
	s_cbranch_execz .LBB173_36
	s_branch .LBB173_35
.LBB173_34:                             ;   in Loop: Header=BB173_32 Depth=2
	s_andn2_saveexec_b64 s[18:19], s[18:19]
	s_cbranch_execz .LBB173_36
.LBB173_35:                             ;   in Loop: Header=BB173_32 Depth=2
	v_mov_b32_e32 v8, s33
	ds_cmpst_rtn_b32 v7, v7, v8, v6
	s_andn2_b64 s[16:17], s[16:17], exec
	s_waitcnt lgkmcnt(0)
	v_cmp_ne_u32_e32 vcc, s33, v7
	s_and_b64 s[20:21], vcc, exec
	s_or_b64 s[16:17], s[16:17], s[20:21]
.LBB173_36:                             ;   in Loop: Header=BB173_32 Depth=2
	s_or_b64 exec, exec, s[18:19]
	s_mov_b64 s[18:19], -1
                                        ; implicit-def: $vgpr7
                                        ; implicit-def: $vgpr8
	s_and_saveexec_b64 s[20:21], s[16:17]
	s_cbranch_execz .LBB173_31
; %bb.37:                               ;   in Loop: Header=BB173_32 Depth=2
	v_lshl_add_u32 v7, v5, 2, 0
	ds_read_b32 v8, v7
	s_waitcnt lgkmcnt(0)
	v_cmp_eq_u32_e32 vcc, v8, v6
	s_orn2_b64 s[18:19], vcc, exec
	s_branch .LBB173_31
.LBB173_38:
	s_or_b64 exec, exec, s[8:9]
.LBB173_39:
	v_mbcnt_lo_u32_b32 v2, -1, 0
	v_mbcnt_hi_u32_b32 v2, -1, v2
	v_sub_u32_e32 v2, 63, v2
	s_add_i32 s35, 0, 0x10000
	s_movk_i32 s0, 0x3ff
	s_movk_i32 s2, 0x7f
	;; [unrolled: 1-line block ×15, first 2 shown]
	s_add_i32 s59, 0, 0x1003c
	v_lshrrev_b64 v[2:3], v2, -1
	v_lshl_add_u32 v6, v11, 2, s35
	v_cmp_eq_u32_e32 vcc, s0, v0
	v_cmp_lt_u32_e64 s[0:1], 63, v0
	v_cmp_lt_u32_e64 s[2:3], s2, v0
	;; [unrolled: 1-line block ×15, first 2 shown]
	v_or_b32_e32 v7, 0xfffffc00, v0
	s_mov_b64 s[42:43], 0
	v_mov_b32_e32 v8, 0
	s_add_i32 s39, 0, 0x10004
	s_add_i32 s46, 0, 0x10008
	;; [unrolled: 1-line block ×14, first 2 shown]
	v_mov_b32_e32 v9, s59
	s_movk_i32 s60, 0x1bff
	s_waitcnt lgkmcnt(0)
	s_barrier
	s_branch .LBB173_41
.LBB173_40:                             ;   in Loop: Header=BB173_41 Depth=1
	s_or_b64 exec, exec, s[30:31]
	s_waitcnt lgkmcnt(0)
	s_barrier
	ds_read_b32 v4, v9
	v_add_u32_e32 v7, 0x400, v7
	v_cmp_lt_u32_e64 s[30:31], s60, v7
	s_or_b64 s[42:43], s[30:31], s[42:43]
	v_add_u32_e32 v1, 0x1000, v1
	s_waitcnt lgkmcnt(0)
	v_add_u32_e32 v8, v4, v8
	s_andn2_b64 exec, exec, s[42:43]
	s_cbranch_execz .LBB173_75
.LBB173_41:                             ; =>This Inner Loop Header: Depth=1
	ds_read2st64_b32 v[4:5], v1 offset1:128
	s_waitcnt lgkmcnt(0)
	s_barrier
	v_cmp_gt_i32_e64 s[30:31], s33, v4
	s_bcnt1_i32_b64 s44, s[30:31]
	s_nop 0
	v_and_b32_e32 v11, s30, v2
	v_and_b32_e32 v10, s31, v3
	v_bcnt_u32_b32 v11, v11, 0
	v_bcnt_u32_b32 v10, v10, v11
	v_mov_b32_e32 v11, s44
	ds_write_b32 v6, v11
	s_waitcnt lgkmcnt(0)
	s_barrier
	s_and_saveexec_b64 s[44:45], s[0:1]
	s_cbranch_execz .LBB173_58
; %bb.42:                               ;   in Loop: Header=BB173_41 Depth=1
	v_mov_b32_e32 v11, s35
	ds_read_b32 v11, v11
	s_waitcnt lgkmcnt(0)
	v_add_u32_e32 v10, v11, v10
	s_or_b64 exec, exec, s[44:45]
	s_and_saveexec_b64 s[44:45], s[2:3]
	s_cbranch_execnz .LBB173_59
.LBB173_43:                             ;   in Loop: Header=BB173_41 Depth=1
	s_or_b64 exec, exec, s[44:45]
	s_and_saveexec_b64 s[44:45], s[4:5]
	s_cbranch_execz .LBB173_60
.LBB173_44:                             ;   in Loop: Header=BB173_41 Depth=1
	v_mov_b32_e32 v11, s46
	ds_read_b32 v11, v11
	s_waitcnt lgkmcnt(0)
	v_add_u32_e32 v10, v11, v10
	s_or_b64 exec, exec, s[44:45]
	s_and_saveexec_b64 s[44:45], s[6:7]
	s_cbranch_execnz .LBB173_61
.LBB173_45:                             ;   in Loop: Header=BB173_41 Depth=1
	s_or_b64 exec, exec, s[44:45]
	s_and_saveexec_b64 s[44:45], s[8:9]
	s_cbranch_execz .LBB173_62
.LBB173_46:                             ;   in Loop: Header=BB173_41 Depth=1
	v_mov_b32_e32 v11, s48
	ds_read_b32 v11, v11
	s_waitcnt lgkmcnt(0)
	v_add_u32_e32 v10, v11, v10
	s_or_b64 exec, exec, s[44:45]
	s_and_saveexec_b64 s[44:45], s[10:11]
	s_cbranch_execnz .LBB173_63
.LBB173_47:                             ;   in Loop: Header=BB173_41 Depth=1
	s_or_b64 exec, exec, s[44:45]
	s_and_saveexec_b64 s[44:45], s[12:13]
	s_cbranch_execz .LBB173_64
.LBB173_48:                             ;   in Loop: Header=BB173_41 Depth=1
	v_mov_b32_e32 v11, s50
	ds_read_b32 v11, v11
	s_waitcnt lgkmcnt(0)
	v_add_u32_e32 v10, v11, v10
	s_or_b64 exec, exec, s[44:45]
	s_and_saveexec_b64 s[44:45], s[14:15]
	s_cbranch_execnz .LBB173_65
.LBB173_49:                             ;   in Loop: Header=BB173_41 Depth=1
	s_or_b64 exec, exec, s[44:45]
	s_and_saveexec_b64 s[44:45], s[16:17]
	s_cbranch_execz .LBB173_66
.LBB173_50:                             ;   in Loop: Header=BB173_41 Depth=1
	v_mov_b32_e32 v11, s52
	ds_read_b32 v11, v11
	s_waitcnt lgkmcnt(0)
	v_add_u32_e32 v10, v11, v10
	s_or_b64 exec, exec, s[44:45]
	s_and_saveexec_b64 s[44:45], s[18:19]
	s_cbranch_execnz .LBB173_67
.LBB173_51:                             ;   in Loop: Header=BB173_41 Depth=1
	s_or_b64 exec, exec, s[44:45]
	s_and_saveexec_b64 s[44:45], s[20:21]
	s_cbranch_execz .LBB173_68
.LBB173_52:                             ;   in Loop: Header=BB173_41 Depth=1
	v_mov_b32_e32 v11, s54
	ds_read_b32 v11, v11
	s_waitcnt lgkmcnt(0)
	v_add_u32_e32 v10, v11, v10
	s_or_b64 exec, exec, s[44:45]
	s_and_saveexec_b64 s[44:45], s[22:23]
	s_cbranch_execnz .LBB173_69
.LBB173_53:                             ;   in Loop: Header=BB173_41 Depth=1
	s_or_b64 exec, exec, s[44:45]
	s_and_saveexec_b64 s[44:45], s[24:25]
	s_cbranch_execz .LBB173_70
.LBB173_54:                             ;   in Loop: Header=BB173_41 Depth=1
	v_mov_b32_e32 v11, s56
	ds_read_b32 v11, v11
	s_waitcnt lgkmcnt(0)
	v_add_u32_e32 v10, v11, v10
	s_or_b64 exec, exec, s[44:45]
	s_and_saveexec_b64 s[44:45], s[26:27]
	s_cbranch_execnz .LBB173_71
.LBB173_55:                             ;   in Loop: Header=BB173_41 Depth=1
	s_or_b64 exec, exec, s[44:45]
	s_and_saveexec_b64 s[44:45], s[28:29]
	s_cbranch_execz .LBB173_72
.LBB173_56:                             ;   in Loop: Header=BB173_41 Depth=1
	v_mov_b32_e32 v11, s58
	ds_read_b32 v11, v11
	s_waitcnt lgkmcnt(0)
	v_add_u32_e32 v10, v11, v10
	s_or_b64 exec, exec, s[44:45]
	s_and_saveexec_b64 s[44:45], s[30:31]
	s_cbranch_execnz .LBB173_73
.LBB173_57:                             ;   in Loop: Header=BB173_41 Depth=1
	s_or_b64 exec, exec, s[44:45]
	s_and_saveexec_b64 s[30:31], vcc
	s_cbranch_execz .LBB173_40
	s_branch .LBB173_74
.LBB173_58:                             ;   in Loop: Header=BB173_41 Depth=1
	s_or_b64 exec, exec, s[44:45]
	s_and_saveexec_b64 s[44:45], s[2:3]
	s_cbranch_execz .LBB173_43
.LBB173_59:                             ;   in Loop: Header=BB173_41 Depth=1
	v_mov_b32_e32 v11, s39
	ds_read_b32 v11, v11
	s_waitcnt lgkmcnt(0)
	v_add_u32_e32 v10, v11, v10
	s_or_b64 exec, exec, s[44:45]
	s_and_saveexec_b64 s[44:45], s[4:5]
	s_cbranch_execnz .LBB173_44
.LBB173_60:                             ;   in Loop: Header=BB173_41 Depth=1
	s_or_b64 exec, exec, s[44:45]
	s_and_saveexec_b64 s[44:45], s[6:7]
	s_cbranch_execz .LBB173_45
.LBB173_61:                             ;   in Loop: Header=BB173_41 Depth=1
	v_mov_b32_e32 v11, s47
	ds_read_b32 v11, v11
	s_waitcnt lgkmcnt(0)
	v_add_u32_e32 v10, v11, v10
	s_or_b64 exec, exec, s[44:45]
	s_and_saveexec_b64 s[44:45], s[8:9]
	s_cbranch_execnz .LBB173_46
.LBB173_62:                             ;   in Loop: Header=BB173_41 Depth=1
	s_or_b64 exec, exec, s[44:45]
	s_and_saveexec_b64 s[44:45], s[10:11]
	s_cbranch_execz .LBB173_47
.LBB173_63:                             ;   in Loop: Header=BB173_41 Depth=1
	v_mov_b32_e32 v11, s49
	ds_read_b32 v11, v11
	s_waitcnt lgkmcnt(0)
	v_add_u32_e32 v10, v11, v10
	s_or_b64 exec, exec, s[44:45]
	s_and_saveexec_b64 s[44:45], s[12:13]
	s_cbranch_execnz .LBB173_48
.LBB173_64:                             ;   in Loop: Header=BB173_41 Depth=1
	s_or_b64 exec, exec, s[44:45]
	s_and_saveexec_b64 s[44:45], s[14:15]
	s_cbranch_execz .LBB173_49
.LBB173_65:                             ;   in Loop: Header=BB173_41 Depth=1
	v_mov_b32_e32 v11, s51
	ds_read_b32 v11, v11
	s_waitcnt lgkmcnt(0)
	v_add_u32_e32 v10, v11, v10
	s_or_b64 exec, exec, s[44:45]
	s_and_saveexec_b64 s[44:45], s[16:17]
	s_cbranch_execnz .LBB173_50
.LBB173_66:                             ;   in Loop: Header=BB173_41 Depth=1
	s_or_b64 exec, exec, s[44:45]
	s_and_saveexec_b64 s[44:45], s[18:19]
	s_cbranch_execz .LBB173_51
.LBB173_67:                             ;   in Loop: Header=BB173_41 Depth=1
	v_mov_b32_e32 v11, s53
	ds_read_b32 v11, v11
	s_waitcnt lgkmcnt(0)
	v_add_u32_e32 v10, v11, v10
	s_or_b64 exec, exec, s[44:45]
	s_and_saveexec_b64 s[44:45], s[20:21]
	s_cbranch_execnz .LBB173_52
.LBB173_68:                             ;   in Loop: Header=BB173_41 Depth=1
	s_or_b64 exec, exec, s[44:45]
	s_and_saveexec_b64 s[44:45], s[22:23]
	s_cbranch_execz .LBB173_53
.LBB173_69:                             ;   in Loop: Header=BB173_41 Depth=1
	v_mov_b32_e32 v11, s55
	ds_read_b32 v11, v11
	s_waitcnt lgkmcnt(0)
	v_add_u32_e32 v10, v11, v10
	s_or_b64 exec, exec, s[44:45]
	s_and_saveexec_b64 s[44:45], s[24:25]
	s_cbranch_execnz .LBB173_54
.LBB173_70:                             ;   in Loop: Header=BB173_41 Depth=1
	s_or_b64 exec, exec, s[44:45]
	s_and_saveexec_b64 s[44:45], s[26:27]
	s_cbranch_execz .LBB173_55
.LBB173_71:                             ;   in Loop: Header=BB173_41 Depth=1
	v_mov_b32_e32 v11, s57
	ds_read_b32 v11, v11
	s_waitcnt lgkmcnt(0)
	v_add_u32_e32 v10, v11, v10
	s_or_b64 exec, exec, s[44:45]
	s_and_saveexec_b64 s[44:45], s[28:29]
	s_cbranch_execnz .LBB173_56
.LBB173_72:                             ;   in Loop: Header=BB173_41 Depth=1
	s_or_b64 exec, exec, s[44:45]
	s_and_saveexec_b64 s[44:45], s[30:31]
	s_cbranch_execz .LBB173_57
.LBB173_73:                             ;   in Loop: Header=BB173_41 Depth=1
	v_add3_u32 v11, v8, -1, v10
	v_lshl_add_u32 v11, v11, 2, 0
	v_add_u32_e32 v12, v8, v10
	v_lshl_add_u32 v12, v12, 2, 0
	ds_write_b32 v11, v4
	ds_write_b32 v12, v5 offset:32764
	s_or_b64 exec, exec, s[44:45]
	s_and_saveexec_b64 s[30:31], vcc
	s_cbranch_execz .LBB173_40
.LBB173_74:                             ;   in Loop: Header=BB173_41 Depth=1
	v_mov_b32_e32 v4, s59
	ds_write_b32 v4, v10
	s_branch .LBB173_40
.LBB173_75:
	s_or_b64 exec, exec, s[42:43]
	s_ashr_i32 s35, s34, 31
	s_lshl_b64 s[0:1], s[34:35], 3
	s_add_u32 s4, s40, s0
	s_addc_u32 s5, s41, s1
	s_load_dwordx4 s[0:3], s[4:5], 0x0
	s_waitcnt lgkmcnt(0)
	s_sub_i32 s8, s2, s0
	v_cmp_gt_i32_e32 vcc, s8, v0
	s_and_saveexec_b64 s[4:5], vcc
	s_cbranch_execz .LBB173_85
; %bb.76:
	s_sub_u32 s4, s0, s38
	s_subb_u32 s5, s1, 0
	s_and_b32 s10, s8, 7
	s_sub_i32 s0, s0, s2
	s_cmp_lt_u32 s0, -7
	s_cselect_b64 s[0:1], -1, 0
	s_and_b32 s11, s8, -8
	s_cmp_lg_u32 s10, 0
	v_cndmask_b32_e64 v1, 0, 1, s[0:1]
	s_cselect_b64 s[2:3], -1, 0
	v_cmp_ne_u32_e64 s[0:1], 1, v1
	v_cndmask_b32_e64 v1, 0, 1, s[2:3]
	s_mov_b32 s9, 0
	s_mov_b64 s[6:7], 0
	v_cmp_ne_u32_e64 s[2:3], 1, v1
	s_branch .LBB173_78
.LBB173_77:                             ;   in Loop: Header=BB173_78 Depth=1
	v_add_u32_e32 v0, 0x400, v0
	v_cmp_le_i32_e32 vcc, s8, v0
	v_lshl_add_u64 v[4:5], v[4:5], 2, s[36:37]
	s_or_b64 s[6:7], vcc, s[6:7]
	s_waitcnt lgkmcnt(0)
	global_store_dword v[4:5], v3, off
	s_andn2_b64 exec, exec, s[6:7]
	s_cbranch_execz .LBB173_85
.LBB173_78:                             ; =>This Loop Header: Depth=1
                                        ;     Child Loop BB173_80 Depth 2
                                        ;     Child Loop BB173_84 Depth 2
	v_lshl_add_u32 v1, v0, 2, 0
	ds_read2st64_b32 v[2:3], v1 offset1:128
	s_and_b64 vcc, exec, s[0:1]
	v_mov_b64_e32 v[4:5], s[4:5]
	s_mov_b32 s12, 0
	s_cbranch_vccnz .LBB173_82
; %bb.79:                               ;   in Loop: Header=BB173_78 Depth=1
	s_mov_b32 s13, 0
	v_mov_b64_e32 v[4:5], s[4:5]
.LBB173_80:                             ;   Parent Loop BB173_78 Depth=1
                                        ; =>  This Inner Loop Header: Depth=2
	v_mov_b32_e32 v1, s13
	ds_read2_b32 v[22:23], v1 offset1:1
	ds_read2_b32 v[24:25], v1 offset0:2 offset1:3
	ds_read2_b32 v[26:27], v1 offset0:4 offset1:5
	;; [unrolled: 1-line block ×3, first 2 shown]
	v_mov_b32_e32 v7, s9
	s_waitcnt lgkmcnt(3)
	v_cmp_gt_i32_e32 vcc, v2, v22
	v_mov_b32_e32 v9, s9
	v_mov_b32_e32 v11, s9
	v_cndmask_b32_e64 v6, 0, 1, vcc
	v_cmp_gt_i32_e32 vcc, v2, v23
	v_lshl_add_u64 v[4:5], v[4:5], 0, v[6:7]
	v_mov_b32_e32 v13, s9
	v_cndmask_b32_e64 v8, 0, 1, vcc
	s_waitcnt lgkmcnt(2)
	v_cmp_gt_i32_e32 vcc, v2, v24
	v_lshl_add_u64 v[4:5], v[4:5], 0, v[8:9]
	v_mov_b32_e32 v15, s9
	v_cndmask_b32_e64 v10, 0, 1, vcc
	v_cmp_gt_i32_e32 vcc, v2, v25
	v_lshl_add_u64 v[4:5], v[4:5], 0, v[10:11]
	v_mov_b32_e32 v17, s9
	v_cndmask_b32_e64 v12, 0, 1, vcc
	s_waitcnt lgkmcnt(1)
	v_cmp_gt_i32_e32 vcc, v2, v26
	v_lshl_add_u64 v[4:5], v[4:5], 0, v[12:13]
	;; [unrolled: 9-line block ×3, first 2 shown]
	s_add_i32 s12, s12, 8
	v_cndmask_b32_e64 v18, 0, 1, vcc
	v_cmp_gt_i32_e32 vcc, v2, v29
	s_add_i32 s13, s13, 32
	v_lshl_add_u64 v[4:5], v[4:5], 0, v[18:19]
	v_cndmask_b32_e64 v20, 0, 1, vcc
	s_cmp_eq_u32 s11, s12
	v_lshl_add_u64 v[4:5], v[4:5], 0, v[20:21]
	s_cbranch_scc0 .LBB173_80
; %bb.81:                               ;   in Loop: Header=BB173_78 Depth=1
	s_mov_b32 s12, s11
.LBB173_82:                             ;   in Loop: Header=BB173_78 Depth=1
	s_and_b64 vcc, exec, s[2:3]
	s_cbranch_vccnz .LBB173_77
; %bb.83:                               ;   in Loop: Header=BB173_78 Depth=1
	s_lshl_b32 s12, s12, 2
	s_add_i32 s12, s12, 0
	s_mov_b32 s13, s10
.LBB173_84:                             ;   Parent Loop BB173_78 Depth=1
                                        ; =>  This Inner Loop Header: Depth=2
	v_mov_b32_e32 v1, s12
	ds_read_b32 v1, v1
	v_mov_b32_e32 v7, s9
	s_add_i32 s12, s12, 4
	s_add_i32 s13, s13, -1
	s_cmp_lg_u32 s13, 0
	s_waitcnt lgkmcnt(0)
	v_cmp_gt_i32_e32 vcc, v2, v1
	s_nop 1
	v_cndmask_b32_e64 v6, 0, 1, vcc
	v_lshl_add_u64 v[4:5], v[4:5], 0, v[6:7]
	s_cbranch_scc1 .LBB173_84
	s_branch .LBB173_77
.LBB173_85:
	s_endpgm
	.section	.rodata,"a",@progbits
	.p2align	6, 0x0
	.amdhsa_kernel _ZN9rocsparseL41csrgemm_numeric_fill_block_per_row_kernelILj1024ELj64ELj8192ELj137ELj64ElifEEvT5_PKS1_S3_NS_24const_host_device_scalarIT6_EEPKT4_S3_PKS5_S9_S3_SB_S6_S9_S3_SB_S9_S3_PS5_21rocsparse_index_base_SD_SD_SD_bbb
		.amdhsa_group_segment_fixed_size 0
		.amdhsa_private_segment_fixed_size 0
		.amdhsa_kernarg_size 156
		.amdhsa_user_sgpr_count 2
		.amdhsa_user_sgpr_dispatch_ptr 0
		.amdhsa_user_sgpr_queue_ptr 0
		.amdhsa_user_sgpr_kernarg_segment_ptr 1
		.amdhsa_user_sgpr_dispatch_id 0
		.amdhsa_user_sgpr_kernarg_preload_length 0
		.amdhsa_user_sgpr_kernarg_preload_offset 0
		.amdhsa_user_sgpr_private_segment_size 0
		.amdhsa_uses_dynamic_stack 0
		.amdhsa_enable_private_segment 0
		.amdhsa_system_sgpr_workgroup_id_x 1
		.amdhsa_system_sgpr_workgroup_id_y 0
		.amdhsa_system_sgpr_workgroup_id_z 0
		.amdhsa_system_sgpr_workgroup_info 0
		.amdhsa_system_vgpr_workitem_id 0
		.amdhsa_next_free_vgpr 30
		.amdhsa_next_free_sgpr 61
		.amdhsa_accum_offset 32
		.amdhsa_reserve_vcc 1
		.amdhsa_float_round_mode_32 0
		.amdhsa_float_round_mode_16_64 0
		.amdhsa_float_denorm_mode_32 3
		.amdhsa_float_denorm_mode_16_64 3
		.amdhsa_dx10_clamp 1
		.amdhsa_ieee_mode 1
		.amdhsa_fp16_overflow 0
		.amdhsa_tg_split 0
		.amdhsa_exception_fp_ieee_invalid_op 0
		.amdhsa_exception_fp_denorm_src 0
		.amdhsa_exception_fp_ieee_div_zero 0
		.amdhsa_exception_fp_ieee_overflow 0
		.amdhsa_exception_fp_ieee_underflow 0
		.amdhsa_exception_fp_ieee_inexact 0
		.amdhsa_exception_int_div_zero 0
	.end_amdhsa_kernel
	.section	.text._ZN9rocsparseL41csrgemm_numeric_fill_block_per_row_kernelILj1024ELj64ELj8192ELj137ELj64ElifEEvT5_PKS1_S3_NS_24const_host_device_scalarIT6_EEPKT4_S3_PKS5_S9_S3_SB_S6_S9_S3_SB_S9_S3_PS5_21rocsparse_index_base_SD_SD_SD_bbb,"axG",@progbits,_ZN9rocsparseL41csrgemm_numeric_fill_block_per_row_kernelILj1024ELj64ELj8192ELj137ELj64ElifEEvT5_PKS1_S3_NS_24const_host_device_scalarIT6_EEPKT4_S3_PKS5_S9_S3_SB_S6_S9_S3_SB_S9_S3_PS5_21rocsparse_index_base_SD_SD_SD_bbb,comdat
.Lfunc_end173:
	.size	_ZN9rocsparseL41csrgemm_numeric_fill_block_per_row_kernelILj1024ELj64ELj8192ELj137ELj64ElifEEvT5_PKS1_S3_NS_24const_host_device_scalarIT6_EEPKT4_S3_PKS5_S9_S3_SB_S6_S9_S3_SB_S9_S3_PS5_21rocsparse_index_base_SD_SD_SD_bbb, .Lfunc_end173-_ZN9rocsparseL41csrgemm_numeric_fill_block_per_row_kernelILj1024ELj64ELj8192ELj137ELj64ElifEEvT5_PKS1_S3_NS_24const_host_device_scalarIT6_EEPKT4_S3_PKS5_S9_S3_SB_S6_S9_S3_SB_S9_S3_PS5_21rocsparse_index_base_SD_SD_SD_bbb
                                        ; -- End function
	.set _ZN9rocsparseL41csrgemm_numeric_fill_block_per_row_kernelILj1024ELj64ELj8192ELj137ELj64ElifEEvT5_PKS1_S3_NS_24const_host_device_scalarIT6_EEPKT4_S3_PKS5_S9_S3_SB_S6_S9_S3_SB_S9_S3_PS5_21rocsparse_index_base_SD_SD_SD_bbb.num_vgpr, 30
	.set _ZN9rocsparseL41csrgemm_numeric_fill_block_per_row_kernelILj1024ELj64ELj8192ELj137ELj64ElifEEvT5_PKS1_S3_NS_24const_host_device_scalarIT6_EEPKT4_S3_PKS5_S9_S3_SB_S6_S9_S3_SB_S9_S3_PS5_21rocsparse_index_base_SD_SD_SD_bbb.num_agpr, 0
	.set _ZN9rocsparseL41csrgemm_numeric_fill_block_per_row_kernelILj1024ELj64ELj8192ELj137ELj64ElifEEvT5_PKS1_S3_NS_24const_host_device_scalarIT6_EEPKT4_S3_PKS5_S9_S3_SB_S6_S9_S3_SB_S9_S3_PS5_21rocsparse_index_base_SD_SD_SD_bbb.numbered_sgpr, 61
	.set _ZN9rocsparseL41csrgemm_numeric_fill_block_per_row_kernelILj1024ELj64ELj8192ELj137ELj64ElifEEvT5_PKS1_S3_NS_24const_host_device_scalarIT6_EEPKT4_S3_PKS5_S9_S3_SB_S6_S9_S3_SB_S9_S3_PS5_21rocsparse_index_base_SD_SD_SD_bbb.num_named_barrier, 0
	.set _ZN9rocsparseL41csrgemm_numeric_fill_block_per_row_kernelILj1024ELj64ELj8192ELj137ELj64ElifEEvT5_PKS1_S3_NS_24const_host_device_scalarIT6_EEPKT4_S3_PKS5_S9_S3_SB_S6_S9_S3_SB_S9_S3_PS5_21rocsparse_index_base_SD_SD_SD_bbb.private_seg_size, 0
	.set _ZN9rocsparseL41csrgemm_numeric_fill_block_per_row_kernelILj1024ELj64ELj8192ELj137ELj64ElifEEvT5_PKS1_S3_NS_24const_host_device_scalarIT6_EEPKT4_S3_PKS5_S9_S3_SB_S6_S9_S3_SB_S9_S3_PS5_21rocsparse_index_base_SD_SD_SD_bbb.uses_vcc, 1
	.set _ZN9rocsparseL41csrgemm_numeric_fill_block_per_row_kernelILj1024ELj64ELj8192ELj137ELj64ElifEEvT5_PKS1_S3_NS_24const_host_device_scalarIT6_EEPKT4_S3_PKS5_S9_S3_SB_S6_S9_S3_SB_S9_S3_PS5_21rocsparse_index_base_SD_SD_SD_bbb.uses_flat_scratch, 0
	.set _ZN9rocsparseL41csrgemm_numeric_fill_block_per_row_kernelILj1024ELj64ELj8192ELj137ELj64ElifEEvT5_PKS1_S3_NS_24const_host_device_scalarIT6_EEPKT4_S3_PKS5_S9_S3_SB_S6_S9_S3_SB_S9_S3_PS5_21rocsparse_index_base_SD_SD_SD_bbb.has_dyn_sized_stack, 0
	.set _ZN9rocsparseL41csrgemm_numeric_fill_block_per_row_kernelILj1024ELj64ELj8192ELj137ELj64ElifEEvT5_PKS1_S3_NS_24const_host_device_scalarIT6_EEPKT4_S3_PKS5_S9_S3_SB_S6_S9_S3_SB_S9_S3_PS5_21rocsparse_index_base_SD_SD_SD_bbb.has_recursion, 0
	.set _ZN9rocsparseL41csrgemm_numeric_fill_block_per_row_kernelILj1024ELj64ELj8192ELj137ELj64ElifEEvT5_PKS1_S3_NS_24const_host_device_scalarIT6_EEPKT4_S3_PKS5_S9_S3_SB_S6_S9_S3_SB_S9_S3_PS5_21rocsparse_index_base_SD_SD_SD_bbb.has_indirect_call, 0
	.section	.AMDGPU.csdata,"",@progbits
; Kernel info:
; codeLenInByte = 3216
; TotalNumSgprs: 67
; NumVgprs: 30
; NumAgprs: 0
; TotalNumVgprs: 30
; ScratchSize: 0
; MemoryBound: 0
; FloatMode: 240
; IeeeMode: 1
; LDSByteSize: 0 bytes/workgroup (compile time only)
; SGPRBlocks: 8
; VGPRBlocks: 3
; NumSGPRsForWavesPerEU: 67
; NumVGPRsForWavesPerEU: 30
; AccumOffset: 32
; Occupancy: 8
; WaveLimiterHint : 1
; COMPUTE_PGM_RSRC2:SCRATCH_EN: 0
; COMPUTE_PGM_RSRC2:USER_SGPR: 2
; COMPUTE_PGM_RSRC2:TRAP_HANDLER: 0
; COMPUTE_PGM_RSRC2:TGID_X_EN: 1
; COMPUTE_PGM_RSRC2:TGID_Y_EN: 0
; COMPUTE_PGM_RSRC2:TGID_Z_EN: 0
; COMPUTE_PGM_RSRC2:TIDIG_COMP_CNT: 0
; COMPUTE_PGM_RSRC3_GFX90A:ACCUM_OFFSET: 7
; COMPUTE_PGM_RSRC3_GFX90A:TG_SPLIT: 0
	.section	.text._ZN9rocsparseL41csrgemm_numeric_fill_block_per_row_kernelILj1024ELj64ELj16384ELj137ELj32ElifEEvT5_PKS1_S3_NS_24const_host_device_scalarIT6_EEPKT4_S3_PKS5_S9_S3_SB_S6_S9_S3_SB_S9_S3_PS5_21rocsparse_index_base_SD_SD_SD_bbb,"axG",@progbits,_ZN9rocsparseL41csrgemm_numeric_fill_block_per_row_kernelILj1024ELj64ELj16384ELj137ELj32ElifEEvT5_PKS1_S3_NS_24const_host_device_scalarIT6_EEPKT4_S3_PKS5_S9_S3_SB_S6_S9_S3_SB_S9_S3_PS5_21rocsparse_index_base_SD_SD_SD_bbb,comdat
	.globl	_ZN9rocsparseL41csrgemm_numeric_fill_block_per_row_kernelILj1024ELj64ELj16384ELj137ELj32ElifEEvT5_PKS1_S3_NS_24const_host_device_scalarIT6_EEPKT4_S3_PKS5_S9_S3_SB_S6_S9_S3_SB_S9_S3_PS5_21rocsparse_index_base_SD_SD_SD_bbb ; -- Begin function _ZN9rocsparseL41csrgemm_numeric_fill_block_per_row_kernelILj1024ELj64ELj16384ELj137ELj32ElifEEvT5_PKS1_S3_NS_24const_host_device_scalarIT6_EEPKT4_S3_PKS5_S9_S3_SB_S6_S9_S3_SB_S9_S3_PS5_21rocsparse_index_base_SD_SD_SD_bbb
	.p2align	8
	.type	_ZN9rocsparseL41csrgemm_numeric_fill_block_per_row_kernelILj1024ELj64ELj16384ELj137ELj32ElifEEvT5_PKS1_S3_NS_24const_host_device_scalarIT6_EEPKT4_S3_PKS5_S9_S3_SB_S6_S9_S3_SB_S9_S3_PS5_21rocsparse_index_base_SD_SD_SD_bbb,@function
_ZN9rocsparseL41csrgemm_numeric_fill_block_per_row_kernelILj1024ELj64ELj16384ELj137ELj32ElifEEvT5_PKS1_S3_NS_24const_host_device_scalarIT6_EEPKT4_S3_PKS5_S9_S3_SB_S6_S9_S3_SB_S9_S3_PS5_21rocsparse_index_base_SD_SD_SD_bbb: ; @_ZN9rocsparseL41csrgemm_numeric_fill_block_per_row_kernelILj1024ELj64ELj16384ELj137ELj32ElifEEvT5_PKS1_S3_NS_24const_host_device_scalarIT6_EEPKT4_S3_PKS5_S9_S3_SB_S6_S9_S3_SB_S9_S3_PS5_21rocsparse_index_base_SD_SD_SD_bbb
; %bb.0:
	s_load_dword s3, s[0:1], 0x98
	s_load_dwordx4 s[64:67], s[0:1], 0x88
	s_load_dwordx2 s[4:5], s[0:1], 0x18
	s_load_dwordx2 s[16:17], s[0:1], 0x50
	s_waitcnt lgkmcnt(0)
	s_bitcmp1_b32 s3, 0
	s_cselect_b64 s[6:7], -1, 0
	s_bitcmp1_b32 s3, 16
	s_cselect_b64 s[18:19], -1, 0
	s_xor_b64 s[8:9], s[6:7], -1
	s_or_b64 s[8:9], s[18:19], s[8:9]
	s_and_b64 vcc, exec, s[8:9]
	s_cbranch_vccnz .LBB174_2
; %bb.1:
	s_load_dword s4, s[4:5], 0x0
	s_waitcnt lgkmcnt(0)
	v_mov_b32_e32 v12, s4
	s_branch .LBB174_3
.LBB174_2:
	v_mov_b32_e32 v1, s4
	v_cndmask_b32_e64 v12, 0, v1, s[6:7]
.LBB174_3:
	s_load_dwordx2 s[4:5], s[0:1], 0x80
                                        ; implicit-def: $vgpr30 : SGPR spill to VGPR lane
	s_load_dwordx2 s[28:29], s[0:1], 0x58
	s_load_dwordx4 s[24:27], s[0:1], 0x8
	s_load_dwordx8 s[8:15], s[0:1], 0x20
	s_bitcmp1_b32 s3, 8
	s_waitcnt lgkmcnt(0)
	v_writelane_b32 v30, s4, 0
	s_nop 1
	v_writelane_b32 v30, s5, 1
	s_load_dwordx2 s[4:5], s[0:1], 0x70
	s_waitcnt lgkmcnt(0)
	v_writelane_b32 v30, s4, 2
	s_nop 1
	v_writelane_b32 v30, s5, 3
	s_cselect_b64 s[4:5], -1, 0
	s_xor_b64 s[20:21], s[4:5], -1
	s_or_b64 s[18:19], s[18:19], s[20:21]
	s_and_b64 vcc, exec, s[18:19]
	s_cbranch_vccnz .LBB174_5
; %bb.4:
	s_load_dword s3, s[16:17], 0x0
	s_waitcnt lgkmcnt(0)
	v_mov_b32_e32 v11, s3
	s_branch .LBB174_6
.LBB174_5:
	v_mov_b32_e32 v1, s16
	v_cndmask_b32_e64 v11, 0, v1, s[4:5]
.LBB174_6:
	s_load_dwordx4 s[20:23], s[0:1], 0x40
	s_load_dword s33, s[0:1], 0x0
	s_load_dwordx4 s[16:19], s[0:1], 0x60
	v_or_b32_e32 v1, 0xfffffc00, v0
	v_lshl_add_u32 v10, v0, 2, 0
	s_mov_b64 s[0:1], 0
	s_waitcnt lgkmcnt(0)
	v_mov_b32_e32 v5, s33
	v_mov_b32_e32 v2, 0
	s_movk_i32 s3, 0x3bff
	v_mov_b32_e32 v3, v10
	v_mov_b32_e32 v4, v1
.LBB174_7:                              ; =>This Inner Loop Header: Depth=1
	v_add_u32_e32 v4, 0x400, v4
	v_cmp_lt_u32_e32 vcc, s3, v4
	ds_write_b32 v3, v5
	v_add_u32_e32 v6, 0x10000, v3
	v_add_u32_e32 v3, 0x1000, v3
	s_or_b64 s[0:1], vcc, s[0:1]
	ds_write_b32 v6, v2
	s_andn2_b64 exec, exec, s[0:1]
	s_cbranch_execnz .LBB174_7
; %bb.8:
	s_or_b64 exec, exec, s[0:1]
	s_waitcnt lgkmcnt(0)
	s_barrier
	s_load_dword s0, s[24:25], 0x0
	s_mov_b32 s1, 0
	s_waitcnt lgkmcnt(0)
	s_add_i32 s0, s0, s2
	s_lshl_b64 s[0:1], s[0:1], 2
	s_add_u32 s0, s26, s0
	s_addc_u32 s1, s27, s1
	s_load_dword s42, s[0:1], 0x0
	s_and_b64 vcc, exec, s[6:7]
	s_cbranch_vccz .LBB174_26
; %bb.9:
	s_waitcnt lgkmcnt(0)
	s_ashr_i32 s43, s42, 31
	s_lshl_b64 s[0:1], s[42:43], 3
	s_add_u32 s0, s8, s0
	s_addc_u32 s1, s9, s1
	s_load_dwordx4 s[24:27], s[0:1], 0x0
	v_lshrrev_b32_e32 v2, 6, v0
	v_subrev_co_u32_e32 v2, vcc, s64, v2
	s_waitcnt lgkmcnt(0)
	s_sub_u32 s0, s26, s64
	v_subb_co_u32_e64 v3, s[2:3], 0, 0, vcc
	s_subb_u32 s1, s27, 0
	v_lshl_add_u64 v[2:3], s[24:25], 0, v[2:3]
	v_cmp_gt_i64_e32 vcc, s[0:1], v[2:3]
	s_and_saveexec_b64 s[2:3], vcc
	s_cbranch_execz .LBB174_25
; %bb.10:
	v_and_b32_e32 v4, 63, v0
	v_subrev_co_u32_e32 v4, vcc, s65, v4
	s_mov_b32 s40, s65
	s_nop 0
	v_subb_co_u32_e64 v5, s[6:7], 0, 0, vcc
	s_mov_b64 s[6:7], 0
	s_movk_i32 s41, 0x89
	s_branch .LBB174_12
.LBB174_11:                             ;   in Loop: Header=BB174_12 Depth=1
	s_or_b64 exec, exec, s[8:9]
	v_lshl_add_u64 v[2:3], v[2:3], 0, 16
	v_cmp_le_i64_e32 vcc, s[0:1], v[2:3]
	s_or_b64 s[6:7], vcc, s[6:7]
	s_andn2_b64 exec, exec, s[6:7]
	s_cbranch_execz .LBB174_25
.LBB174_12:                             ; =>This Loop Header: Depth=1
                                        ;     Child Loop BB174_16 Depth 2
                                        ;       Child Loop BB174_19 Depth 3
	v_lshl_add_u64 v[6:7], v[2:3], 2, s[10:11]
	global_load_dword v6, v[6:7], off
	s_waitcnt vmcnt(0)
	v_subrev_u32_e32 v6, s64, v6
	v_ashrrev_i32_e32 v7, 31, v6
	v_lshl_add_u64 v[6:7], v[6:7], 3, s[14:15]
	global_load_dwordx4 v[14:17], v[6:7], off
	s_waitcnt vmcnt(0)
	v_subrev_co_u32_e32 v6, vcc, s40, v16
	s_nop 1
	v_subbrev_co_u32_e32 v7, vcc, 0, v17, vcc
	v_lshl_add_u64 v[8:9], v[14:15], 0, v[4:5]
	v_cmp_lt_i64_e32 vcc, v[8:9], v[6:7]
	s_and_saveexec_b64 s[8:9], vcc
	s_cbranch_execz .LBB174_11
; %bb.13:                               ;   in Loop: Header=BB174_12 Depth=1
	v_lshl_add_u64 v[14:15], v[2:3], 2, s[12:13]
	global_load_dword v13, v[14:15], off
	s_mov_b64 s[24:25], 0
	s_waitcnt vmcnt(0)
	v_mul_f32_e32 v13, v12, v13
	s_branch .LBB174_16
.LBB174_14:                             ;   in Loop: Header=BB174_16 Depth=2
	s_or_b64 exec, exec, s[30:31]
.LBB174_15:                             ;   in Loop: Header=BB174_16 Depth=2
	s_or_b64 exec, exec, s[26:27]
	v_lshl_add_u32 v15, v15, 2, 0
	s_waitcnt vmcnt(0)
	v_mul_f32_e32 v14, v13, v14
	v_add_u32_e32 v15, 0x10000, v15
	ds_add_f32 v15, v14
	v_lshl_add_u64 v[8:9], v[8:9], 0, 64
	v_cmp_ge_i64_e32 vcc, v[8:9], v[6:7]
	s_or_b64 s[24:25], vcc, s[24:25]
	s_andn2_b64 exec, exec, s[24:25]
	s_cbranch_execz .LBB174_11
.LBB174_16:                             ;   Parent Loop BB174_12 Depth=1
                                        ; =>  This Loop Header: Depth=2
                                        ;       Child Loop BB174_19 Depth 3
	v_lshlrev_b64 v[14:15], 2, v[8:9]
	v_lshl_add_u64 v[16:17], s[20:21], 0, v[14:15]
	global_load_dword v16, v[16:17], off
	v_lshl_add_u64 v[14:15], s[22:23], 0, v[14:15]
	global_load_dword v14, v[14:15], off
	s_waitcnt vmcnt(1)
	v_subrev_u32_e32 v16, s65, v16
	v_mul_lo_u32 v15, v16, s41
	v_and_b32_e32 v15, 0x3fff, v15
	v_lshl_add_u32 v17, v15, 2, 0
	ds_read_b32 v18, v17
	s_waitcnt lgkmcnt(0)
	v_cmp_ne_u32_e32 vcc, v18, v16
	s_and_saveexec_b64 s[26:27], vcc
	s_cbranch_execz .LBB174_15
; %bb.17:                               ;   in Loop: Header=BB174_16 Depth=2
	s_mov_b64 s[30:31], 0
	s_branch .LBB174_19
.LBB174_18:                             ;   in Loop: Header=BB174_19 Depth=3
	s_or_b64 exec, exec, s[38:39]
	s_and_b64 s[34:35], exec, s[36:37]
	s_or_b64 s[30:31], s[34:35], s[30:31]
	s_andn2_b64 exec, exec, s[30:31]
	s_cbranch_execz .LBB174_14
.LBB174_19:                             ;   Parent Loop BB174_12 Depth=1
                                        ;     Parent Loop BB174_16 Depth=2
                                        ; =>    This Inner Loop Header: Depth=3
	v_cmp_ne_u32_e32 vcc, s33, v18
	s_mov_b64 s[34:35], 0
	s_and_saveexec_b64 s[36:37], vcc
	s_xor_b64 s[36:37], exec, s[36:37]
	s_cbranch_execz .LBB174_21
; %bb.20:                               ;   in Loop: Header=BB174_19 Depth=3
	v_add_u32_e32 v15, 1, v15
	s_mov_b64 s[34:35], exec
	v_and_b32_e32 v15, 0x3fff, v15
                                        ; implicit-def: $vgpr17
	s_andn2_saveexec_b64 s[36:37], s[36:37]
	s_cbranch_execz .LBB174_23
	s_branch .LBB174_22
.LBB174_21:                             ;   in Loop: Header=BB174_19 Depth=3
	s_andn2_saveexec_b64 s[36:37], s[36:37]
	s_cbranch_execz .LBB174_23
.LBB174_22:                             ;   in Loop: Header=BB174_19 Depth=3
	v_mov_b32_e32 v18, s33
	ds_cmpst_rtn_b32 v17, v17, v18, v16
	s_andn2_b64 s[34:35], s[34:35], exec
	s_waitcnt lgkmcnt(0)
	v_cmp_ne_u32_e32 vcc, s33, v17
	s_and_b64 s[38:39], vcc, exec
	s_or_b64 s[34:35], s[34:35], s[38:39]
.LBB174_23:                             ;   in Loop: Header=BB174_19 Depth=3
	s_or_b64 exec, exec, s[36:37]
	s_mov_b64 s[36:37], -1
                                        ; implicit-def: $vgpr17
                                        ; implicit-def: $vgpr18
	s_and_saveexec_b64 s[38:39], s[34:35]
	s_cbranch_execz .LBB174_18
; %bb.24:                               ;   in Loop: Header=BB174_19 Depth=3
	v_lshl_add_u32 v17, v15, 2, 0
	ds_read_b32 v18, v17
	s_waitcnt lgkmcnt(0)
	v_cmp_eq_u32_e32 vcc, v18, v16
	s_orn2_b64 s[36:37], vcc, exec
	s_branch .LBB174_18
.LBB174_25:
	s_or_b64 exec, exec, s[2:3]
.LBB174_26:
	s_andn2_b64 vcc, exec, s[4:5]
	s_cbranch_vccnz .LBB174_41
; %bb.27:
	s_waitcnt lgkmcnt(0)
	s_ashr_i32 s43, s42, 31
	s_lshl_b64 s[0:1], s[42:43], 3
	s_add_u32 s0, s28, s0
	s_addc_u32 s1, s29, s1
	s_load_dwordx4 s[4:7], s[0:1], 0x0
	v_subrev_co_u32_e32 v2, vcc, s67, v0
	s_nop 1
	v_subb_co_u32_e64 v3, s[0:1], 0, 0, vcc
	s_waitcnt lgkmcnt(0)
	s_sub_u32 s0, s6, s67
	s_subb_u32 s1, s7, 0
	v_lshl_add_u64 v[2:3], s[4:5], 0, v[2:3]
	v_cmp_gt_i64_e32 vcc, s[0:1], v[2:3]
	s_and_saveexec_b64 s[2:3], vcc
	s_cbranch_execz .LBB174_40
; %bb.28:
	s_mov_b64 s[4:5], 0
	s_movk_i32 s22, 0x89
	s_mov_b64 s[6:7], 0x400
	s_branch .LBB174_31
.LBB174_29:                             ;   in Loop: Header=BB174_31 Depth=1
	s_or_b64 exec, exec, s[10:11]
.LBB174_30:                             ;   in Loop: Header=BB174_31 Depth=1
	s_or_b64 exec, exec, s[8:9]
	v_lshl_add_u32 v5, v5, 2, 0
	s_waitcnt vmcnt(0)
	v_mul_f32_e32 v4, v11, v4
	v_add_u32_e32 v5, 0x10000, v5
	ds_add_f32 v5, v4
	v_lshl_add_u64 v[2:3], v[2:3], 0, s[6:7]
	v_cmp_le_i64_e32 vcc, s[0:1], v[2:3]
	s_or_b64 s[4:5], vcc, s[4:5]
	s_andn2_b64 exec, exec, s[4:5]
	s_cbranch_execz .LBB174_40
.LBB174_31:                             ; =>This Loop Header: Depth=1
                                        ;     Child Loop BB174_34 Depth 2
	v_lshlrev_b64 v[4:5], 2, v[2:3]
	v_lshl_add_u64 v[6:7], s[16:17], 0, v[4:5]
	global_load_dword v6, v[6:7], off
	v_lshl_add_u64 v[4:5], s[18:19], 0, v[4:5]
	global_load_dword v4, v[4:5], off
	s_waitcnt vmcnt(1)
	v_subrev_u32_e32 v6, s67, v6
	v_mul_lo_u32 v5, v6, s22
	v_and_b32_e32 v5, 0x3fff, v5
	v_lshl_add_u32 v7, v5, 2, 0
	ds_read_b32 v8, v7
	s_waitcnt lgkmcnt(0)
	v_cmp_ne_u32_e32 vcc, v8, v6
	s_and_saveexec_b64 s[8:9], vcc
	s_cbranch_execz .LBB174_30
; %bb.32:                               ;   in Loop: Header=BB174_31 Depth=1
	s_mov_b64 s[10:11], 0
	s_branch .LBB174_34
.LBB174_33:                             ;   in Loop: Header=BB174_34 Depth=2
	s_or_b64 exec, exec, s[20:21]
	s_and_b64 s[12:13], exec, s[14:15]
	s_or_b64 s[10:11], s[12:13], s[10:11]
	s_andn2_b64 exec, exec, s[10:11]
	s_cbranch_execz .LBB174_29
.LBB174_34:                             ;   Parent Loop BB174_31 Depth=1
                                        ; =>  This Inner Loop Header: Depth=2
	v_cmp_ne_u32_e32 vcc, s33, v8
	s_mov_b64 s[12:13], 0
	s_and_saveexec_b64 s[14:15], vcc
	s_xor_b64 s[14:15], exec, s[14:15]
	s_cbranch_execz .LBB174_36
; %bb.35:                               ;   in Loop: Header=BB174_34 Depth=2
	v_add_u32_e32 v5, 1, v5
	s_mov_b64 s[12:13], exec
	v_and_b32_e32 v5, 0x3fff, v5
                                        ; implicit-def: $vgpr7
	s_andn2_saveexec_b64 s[14:15], s[14:15]
	s_cbranch_execz .LBB174_38
	s_branch .LBB174_37
.LBB174_36:                             ;   in Loop: Header=BB174_34 Depth=2
	s_andn2_saveexec_b64 s[14:15], s[14:15]
	s_cbranch_execz .LBB174_38
.LBB174_37:                             ;   in Loop: Header=BB174_34 Depth=2
	v_mov_b32_e32 v8, s33
	ds_cmpst_rtn_b32 v7, v7, v8, v6
	s_andn2_b64 s[12:13], s[12:13], exec
	s_waitcnt lgkmcnt(0)
	v_cmp_ne_u32_e32 vcc, s33, v7
	s_and_b64 s[20:21], vcc, exec
	s_or_b64 s[12:13], s[12:13], s[20:21]
.LBB174_38:                             ;   in Loop: Header=BB174_34 Depth=2
	s_or_b64 exec, exec, s[14:15]
	s_mov_b64 s[14:15], -1
                                        ; implicit-def: $vgpr7
                                        ; implicit-def: $vgpr8
	s_and_saveexec_b64 s[20:21], s[12:13]
	s_cbranch_execz .LBB174_33
; %bb.39:                               ;   in Loop: Header=BB174_34 Depth=2
	v_lshl_add_u32 v7, v5, 2, 0
	ds_read_b32 v8, v7
	s_waitcnt lgkmcnt(0)
	v_cmp_eq_u32_e32 vcc, v8, v6
	s_orn2_b64 s[14:15], vcc, exec
	s_branch .LBB174_33
.LBB174_40:
	s_or_b64 exec, exec, s[2:3]
.LBB174_41:
	s_waitcnt lgkmcnt(0)
	v_writelane_b32 v30, s42, 4
	s_add_i32 s0, 0, 0x20000
	v_lshrrev_b32_e32 v4, 3, v0
	v_writelane_b32 v30, s43, 5
	v_writelane_b32 v30, s0, 6
	s_add_i32 s60, 0, 0x20004
	v_mbcnt_lo_u32_b32 v2, -1, 0
	v_and_b32_e32 v4, 0x7c, v4
	v_writelane_b32 v30, s60, 7
	s_add_i32 s60, 0, 0x20008
	v_mbcnt_hi_u32_b32 v2, -1, v2
	v_add_u32_e32 v4, s0, v4
	s_movk_i32 s0, 0x3ff
	v_writelane_b32 v30, s60, 8
	s_add_i32 s60, 0, 0x2000c
	v_sub_u32_e32 v2, 63, v2
	v_cmp_eq_u32_e32 vcc, s0, v0
	s_movk_i32 s0, 0x5f
	s_movk_i32 s2, 0x7f
	s_movk_i32 s4, 0x9f
	s_movk_i32 s6, 0xbf
	s_movk_i32 s8, 0xdf
	s_movk_i32 s10, 0xff
	s_movk_i32 s12, 0x11f
	s_movk_i32 s14, 0x13f
	s_movk_i32 s16, 0x15f
	s_movk_i32 s18, 0x17f
	s_movk_i32 s20, 0x19f
	s_movk_i32 s22, 0x1bf
	s_movk_i32 s24, 0x1df
	s_movk_i32 s26, 0x1ff
	s_movk_i32 s28, 0x21f
	s_movk_i32 s30, 0x23f
	s_movk_i32 s34, 0x25f
	s_movk_i32 s36, 0x27f
	s_movk_i32 s38, 0x29f
	s_movk_i32 s40, 0x2bf
	s_movk_i32 s42, 0x2df
	s_movk_i32 s44, 0x2ff
	s_movk_i32 s46, 0x31f
	s_movk_i32 s48, 0x33f
	s_movk_i32 s50, 0x35f
	s_movk_i32 s52, 0x37f
	s_movk_i32 s54, 0x39f
	s_movk_i32 s56, 0x3bf
	s_movk_i32 s58, 0x3df
	v_writelane_b32 v30, s60, 9
	s_add_i32 s60, 0, 0x20014
	v_lshrrev_b64 v[2:3], v2, -1
	v_cmp_lt_u32_e64 s[0:1], s0, v0
	v_cmp_lt_u32_e64 s[2:3], s2, v0
	v_cmp_lt_u32_e64 s[4:5], s4, v0
	v_cmp_lt_u32_e64 s[6:7], s6, v0
	v_cmp_lt_u32_e64 s[8:9], s8, v0
	v_cmp_lt_u32_e64 s[10:11], s10, v0
	v_cmp_lt_u32_e64 s[12:13], s12, v0
	v_cmp_lt_u32_e64 s[14:15], s14, v0
	v_cmp_lt_u32_e64 s[16:17], s16, v0
	v_cmp_lt_u32_e64 s[18:19], s18, v0
	v_cmp_lt_u32_e64 s[20:21], s20, v0
	v_cmp_lt_u32_e64 s[22:23], s22, v0
	v_cmp_lt_u32_e64 s[24:25], s24, v0
	v_cmp_lt_u32_e64 s[26:27], s26, v0
	v_cmp_lt_u32_e64 s[28:29], s28, v0
	v_cmp_lt_u32_e64 s[30:31], s30, v0
	v_cmp_lt_u32_e64 s[34:35], s34, v0
	v_cmp_lt_u32_e64 s[36:37], s36, v0
	v_cmp_lt_u32_e64 s[38:39], s38, v0
	v_cmp_lt_u32_e64 s[40:41], s40, v0
	v_cmp_lt_u32_e64 s[42:43], s42, v0
	v_cmp_lt_u32_e64 s[44:45], s44, v0
	v_cmp_lt_u32_e64 s[46:47], s46, v0
	v_cmp_lt_u32_e64 s[48:49], s48, v0
	v_cmp_lt_u32_e64 s[50:51], s50, v0
	v_cmp_lt_u32_e64 s[52:53], s52, v0
	v_cmp_lt_u32_e64 s[54:55], s54, v0
	v_cmp_lt_u32_e64 s[56:57], s56, v0
	v_cmp_lt_u32_e64 s[58:59], s58, v0
	v_mov_b32_e32 v5, 0
	s_add_i32 s79, 0, 0x20010
	v_writelane_b32 v30, s60, 10
	s_add_i32 s82, 0, 0x20018
	s_add_i32 s83, 0, 0x2001c
	s_add_i32 s84, 0, 0x20020
	s_add_i32 s85, 0, 0x20024
	s_add_i32 s86, 0, 0x20028
	s_add_i32 s87, 0, 0x2002c
	s_add_i32 s88, 0, 0x20030
	s_add_i32 s89, 0, 0x20034
	s_add_i32 s90, 0, 0x20038
	s_add_i32 s91, 0, 0x2003c
	s_add_i32 s92, 0, 0x20040
	s_add_i32 s93, 0, 0x20044
	s_add_i32 s94, 0, 0x20048
	s_add_i32 s95, 0, 0x2004c
	s_add_i32 s96, 0, 0x20050
	s_add_i32 s97, 0, 0x20054
	s_add_i32 s98, 0, 0x20058
	s_add_i32 s99, 0, 0x2005c
	s_add_i32 s70, 0, 0x20060
	s_add_i32 s71, 0, 0x20064
	s_add_i32 s72, 0, 0x20068
	s_add_i32 s68, 0, 0x2006c
	s_add_i32 s69, 0, 0x20070
	s_add_i32 s67, 0, 0x20074
	s_add_i32 s73, 0, 0x20078
	s_add_i32 s78, 0, 0x2007c
	v_cmp_lt_u32_e64 s[60:61], 31, v0
	v_cmp_lt_u32_e64 s[62:63], 63, v0
	s_mov_b64 s[74:75], 0
	s_barrier
	s_branch .LBB174_43
.LBB174_42:                             ;   in Loop: Header=BB174_43 Depth=1
	s_or_b64 exec, exec, s[64:65]
	v_mov_b32_e32 v6, s78
	s_waitcnt lgkmcnt(0)
	s_barrier
	ds_read_b32 v6, v6
	v_add_u32_e32 v1, 0x400, v1
	s_movk_i32 s64, 0x3bff
	v_cmp_lt_u32_e64 s[64:65], s64, v1
	s_or_b64 s[74:75], s[64:65], s[74:75]
	s_waitcnt lgkmcnt(0)
	v_add_u32_e32 v5, v6, v5
	v_add_u32_e32 v10, 0x1000, v10
	s_andn2_b64 exec, exec, s[74:75]
	s_cbranch_execz .LBB174_109
.LBB174_43:                             ; =>This Inner Loop Header: Depth=1
	ds_read_b32 v7, v10
	v_add_u32_e32 v6, 0x10000, v10
	ds_read_b32 v8, v6
	s_waitcnt lgkmcnt(0)
	s_barrier
	v_cmp_gt_i32_e64 s[64:65], s33, v7
	s_bcnt1_i32_b64 s76, s[64:65]
	s_nop 0
	v_and_b32_e32 v9, s64, v2
	v_and_b32_e32 v6, s65, v3
	v_bcnt_u32_b32 v9, v9, 0
	v_bcnt_u32_b32 v6, v6, v9
	v_mov_b32_e32 v9, s76
	ds_write_b32 v4, v9
	s_waitcnt lgkmcnt(0)
	s_barrier
	s_and_saveexec_b64 s[76:77], s[60:61]
	s_cbranch_execz .LBB174_76
; %bb.44:                               ;   in Loop: Header=BB174_43 Depth=1
	v_readlane_b32 s80, v30, 6
	s_nop 1
	v_mov_b32_e32 v9, s80
	ds_read_b32 v9, v9
	s_waitcnt lgkmcnt(0)
	v_add_u32_e32 v6, v9, v6
	s_or_b64 exec, exec, s[76:77]
	s_and_saveexec_b64 s[76:77], s[62:63]
	s_cbranch_execnz .LBB174_77
.LBB174_45:                             ;   in Loop: Header=BB174_43 Depth=1
	s_or_b64 exec, exec, s[76:77]
	s_and_saveexec_b64 s[76:77], s[0:1]
	s_cbranch_execz .LBB174_78
.LBB174_46:                             ;   in Loop: Header=BB174_43 Depth=1
	v_readlane_b32 s80, v30, 8
	s_nop 1
	v_mov_b32_e32 v9, s80
	ds_read_b32 v9, v9
	s_waitcnt lgkmcnt(0)
	v_add_u32_e32 v6, v9, v6
	s_or_b64 exec, exec, s[76:77]
	s_and_saveexec_b64 s[76:77], s[2:3]
	s_cbranch_execnz .LBB174_79
.LBB174_47:                             ;   in Loop: Header=BB174_43 Depth=1
	s_or_b64 exec, exec, s[76:77]
	s_and_saveexec_b64 s[76:77], s[4:5]
	s_cbranch_execz .LBB174_80
.LBB174_48:                             ;   in Loop: Header=BB174_43 Depth=1
	v_mov_b32_e32 v9, s79
	ds_read_b32 v9, v9
	s_waitcnt lgkmcnt(0)
	v_add_u32_e32 v6, v9, v6
	s_or_b64 exec, exec, s[76:77]
	s_and_saveexec_b64 s[76:77], s[6:7]
	s_cbranch_execnz .LBB174_81
.LBB174_49:                             ;   in Loop: Header=BB174_43 Depth=1
	s_or_b64 exec, exec, s[76:77]
	s_and_saveexec_b64 s[76:77], s[8:9]
	s_cbranch_execz .LBB174_82
.LBB174_50:                             ;   in Loop: Header=BB174_43 Depth=1
	v_mov_b32_e32 v9, s82
	ds_read_b32 v9, v9
	s_waitcnt lgkmcnt(0)
	v_add_u32_e32 v6, v9, v6
	s_or_b64 exec, exec, s[76:77]
	s_and_saveexec_b64 s[76:77], s[10:11]
	s_cbranch_execnz .LBB174_83
.LBB174_51:                             ;   in Loop: Header=BB174_43 Depth=1
	s_or_b64 exec, exec, s[76:77]
	s_and_saveexec_b64 s[76:77], s[12:13]
	s_cbranch_execz .LBB174_84
.LBB174_52:                             ;   in Loop: Header=BB174_43 Depth=1
	v_mov_b32_e32 v9, s84
	ds_read_b32 v9, v9
	s_waitcnt lgkmcnt(0)
	v_add_u32_e32 v6, v9, v6
	s_or_b64 exec, exec, s[76:77]
	s_and_saveexec_b64 s[76:77], s[14:15]
	s_cbranch_execnz .LBB174_85
.LBB174_53:                             ;   in Loop: Header=BB174_43 Depth=1
	s_or_b64 exec, exec, s[76:77]
	s_and_saveexec_b64 s[76:77], s[16:17]
	s_cbranch_execz .LBB174_86
.LBB174_54:                             ;   in Loop: Header=BB174_43 Depth=1
	v_mov_b32_e32 v9, s86
	ds_read_b32 v9, v9
	s_waitcnt lgkmcnt(0)
	v_add_u32_e32 v6, v9, v6
	s_or_b64 exec, exec, s[76:77]
	s_and_saveexec_b64 s[76:77], s[18:19]
	s_cbranch_execnz .LBB174_87
.LBB174_55:                             ;   in Loop: Header=BB174_43 Depth=1
	s_or_b64 exec, exec, s[76:77]
	s_and_saveexec_b64 s[76:77], s[20:21]
	s_cbranch_execz .LBB174_88
.LBB174_56:                             ;   in Loop: Header=BB174_43 Depth=1
	v_mov_b32_e32 v9, s88
	ds_read_b32 v9, v9
	s_waitcnt lgkmcnt(0)
	v_add_u32_e32 v6, v9, v6
	s_or_b64 exec, exec, s[76:77]
	s_and_saveexec_b64 s[76:77], s[22:23]
	s_cbranch_execnz .LBB174_89
.LBB174_57:                             ;   in Loop: Header=BB174_43 Depth=1
	s_or_b64 exec, exec, s[76:77]
	s_and_saveexec_b64 s[76:77], s[24:25]
	s_cbranch_execz .LBB174_90
.LBB174_58:                             ;   in Loop: Header=BB174_43 Depth=1
	v_mov_b32_e32 v9, s90
	ds_read_b32 v9, v9
	s_waitcnt lgkmcnt(0)
	v_add_u32_e32 v6, v9, v6
	s_or_b64 exec, exec, s[76:77]
	s_and_saveexec_b64 s[76:77], s[26:27]
	s_cbranch_execnz .LBB174_91
.LBB174_59:                             ;   in Loop: Header=BB174_43 Depth=1
	s_or_b64 exec, exec, s[76:77]
	s_and_saveexec_b64 s[76:77], s[28:29]
	s_cbranch_execz .LBB174_92
.LBB174_60:                             ;   in Loop: Header=BB174_43 Depth=1
	v_mov_b32_e32 v9, s92
	ds_read_b32 v9, v9
	s_waitcnt lgkmcnt(0)
	v_add_u32_e32 v6, v9, v6
	s_or_b64 exec, exec, s[76:77]
	s_and_saveexec_b64 s[76:77], s[30:31]
	s_cbranch_execnz .LBB174_93
.LBB174_61:                             ;   in Loop: Header=BB174_43 Depth=1
	s_or_b64 exec, exec, s[76:77]
	s_and_saveexec_b64 s[76:77], s[34:35]
	s_cbranch_execz .LBB174_94
.LBB174_62:                             ;   in Loop: Header=BB174_43 Depth=1
	v_mov_b32_e32 v9, s94
	ds_read_b32 v9, v9
	s_waitcnt lgkmcnt(0)
	v_add_u32_e32 v6, v9, v6
	s_or_b64 exec, exec, s[76:77]
	s_and_saveexec_b64 s[76:77], s[36:37]
	s_cbranch_execnz .LBB174_95
.LBB174_63:                             ;   in Loop: Header=BB174_43 Depth=1
	s_or_b64 exec, exec, s[76:77]
	s_and_saveexec_b64 s[76:77], s[38:39]
	s_cbranch_execz .LBB174_96
.LBB174_64:                             ;   in Loop: Header=BB174_43 Depth=1
	v_mov_b32_e32 v9, s96
	ds_read_b32 v9, v9
	s_waitcnt lgkmcnt(0)
	v_add_u32_e32 v6, v9, v6
	s_or_b64 exec, exec, s[76:77]
	s_and_saveexec_b64 s[76:77], s[40:41]
	s_cbranch_execnz .LBB174_97
.LBB174_65:                             ;   in Loop: Header=BB174_43 Depth=1
	s_or_b64 exec, exec, s[76:77]
	s_and_saveexec_b64 s[76:77], s[42:43]
	s_cbranch_execz .LBB174_98
.LBB174_66:                             ;   in Loop: Header=BB174_43 Depth=1
	v_mov_b32_e32 v9, s98
	ds_read_b32 v9, v9
	s_waitcnt lgkmcnt(0)
	v_add_u32_e32 v6, v9, v6
	s_or_b64 exec, exec, s[76:77]
	s_and_saveexec_b64 s[76:77], s[44:45]
	s_cbranch_execnz .LBB174_99
.LBB174_67:                             ;   in Loop: Header=BB174_43 Depth=1
	s_or_b64 exec, exec, s[76:77]
	s_and_saveexec_b64 s[76:77], s[46:47]
	s_cbranch_execz .LBB174_100
.LBB174_68:                             ;   in Loop: Header=BB174_43 Depth=1
	v_mov_b32_e32 v9, s70
	ds_read_b32 v9, v9
	s_waitcnt lgkmcnt(0)
	v_add_u32_e32 v6, v9, v6
	s_or_b64 exec, exec, s[76:77]
	s_and_saveexec_b64 s[76:77], s[48:49]
	s_cbranch_execnz .LBB174_101
.LBB174_69:                             ;   in Loop: Header=BB174_43 Depth=1
	s_or_b64 exec, exec, s[76:77]
	s_and_saveexec_b64 s[76:77], s[50:51]
	s_cbranch_execz .LBB174_102
.LBB174_70:                             ;   in Loop: Header=BB174_43 Depth=1
	v_mov_b32_e32 v9, s72
	ds_read_b32 v9, v9
	s_waitcnt lgkmcnt(0)
	v_add_u32_e32 v6, v9, v6
	s_or_b64 exec, exec, s[76:77]
	s_and_saveexec_b64 s[76:77], s[52:53]
	s_cbranch_execnz .LBB174_103
.LBB174_71:                             ;   in Loop: Header=BB174_43 Depth=1
	s_or_b64 exec, exec, s[76:77]
	s_and_saveexec_b64 s[76:77], s[54:55]
	s_cbranch_execz .LBB174_104
.LBB174_72:                             ;   in Loop: Header=BB174_43 Depth=1
	v_mov_b32_e32 v9, s69
	ds_read_b32 v9, v9
	s_waitcnt lgkmcnt(0)
	v_add_u32_e32 v6, v9, v6
	s_or_b64 exec, exec, s[76:77]
	s_and_saveexec_b64 s[76:77], s[56:57]
	s_cbranch_execnz .LBB174_105
.LBB174_73:                             ;   in Loop: Header=BB174_43 Depth=1
	s_or_b64 exec, exec, s[76:77]
	s_and_saveexec_b64 s[76:77], s[58:59]
	s_cbranch_execz .LBB174_106
.LBB174_74:                             ;   in Loop: Header=BB174_43 Depth=1
	v_mov_b32_e32 v9, s73
	ds_read_b32 v9, v9
	s_waitcnt lgkmcnt(0)
	v_add_u32_e32 v6, v9, v6
	s_or_b64 exec, exec, s[76:77]
	s_and_saveexec_b64 s[76:77], s[64:65]
	s_cbranch_execnz .LBB174_107
.LBB174_75:                             ;   in Loop: Header=BB174_43 Depth=1
	s_or_b64 exec, exec, s[76:77]
	s_and_saveexec_b64 s[64:65], vcc
	s_cbranch_execz .LBB174_42
	s_branch .LBB174_108
.LBB174_76:                             ;   in Loop: Header=BB174_43 Depth=1
	s_or_b64 exec, exec, s[76:77]
	s_and_saveexec_b64 s[76:77], s[62:63]
	s_cbranch_execz .LBB174_45
.LBB174_77:                             ;   in Loop: Header=BB174_43 Depth=1
	v_readlane_b32 s80, v30, 7
	s_nop 1
	v_mov_b32_e32 v9, s80
	ds_read_b32 v9, v9
	s_waitcnt lgkmcnt(0)
	v_add_u32_e32 v6, v9, v6
	s_or_b64 exec, exec, s[76:77]
	s_and_saveexec_b64 s[76:77], s[0:1]
	s_cbranch_execnz .LBB174_46
.LBB174_78:                             ;   in Loop: Header=BB174_43 Depth=1
	s_or_b64 exec, exec, s[76:77]
	s_and_saveexec_b64 s[76:77], s[2:3]
	s_cbranch_execz .LBB174_47
.LBB174_79:                             ;   in Loop: Header=BB174_43 Depth=1
	v_readlane_b32 s80, v30, 9
	s_nop 1
	v_mov_b32_e32 v9, s80
	ds_read_b32 v9, v9
	s_waitcnt lgkmcnt(0)
	v_add_u32_e32 v6, v9, v6
	s_or_b64 exec, exec, s[76:77]
	s_and_saveexec_b64 s[76:77], s[4:5]
	s_cbranch_execnz .LBB174_48
.LBB174_80:                             ;   in Loop: Header=BB174_43 Depth=1
	s_or_b64 exec, exec, s[76:77]
	s_and_saveexec_b64 s[76:77], s[6:7]
	s_cbranch_execz .LBB174_49
.LBB174_81:                             ;   in Loop: Header=BB174_43 Depth=1
	v_readlane_b32 s80, v30, 10
	s_nop 1
	v_mov_b32_e32 v9, s80
	ds_read_b32 v9, v9
	s_waitcnt lgkmcnt(0)
	v_add_u32_e32 v6, v9, v6
	s_or_b64 exec, exec, s[76:77]
	s_and_saveexec_b64 s[76:77], s[8:9]
	s_cbranch_execnz .LBB174_50
.LBB174_82:                             ;   in Loop: Header=BB174_43 Depth=1
	s_or_b64 exec, exec, s[76:77]
	s_and_saveexec_b64 s[76:77], s[10:11]
	s_cbranch_execz .LBB174_51
.LBB174_83:                             ;   in Loop: Header=BB174_43 Depth=1
	v_mov_b32_e32 v9, s83
	ds_read_b32 v9, v9
	s_waitcnt lgkmcnt(0)
	v_add_u32_e32 v6, v9, v6
	s_or_b64 exec, exec, s[76:77]
	s_and_saveexec_b64 s[76:77], s[12:13]
	s_cbranch_execnz .LBB174_52
.LBB174_84:                             ;   in Loop: Header=BB174_43 Depth=1
	s_or_b64 exec, exec, s[76:77]
	s_and_saveexec_b64 s[76:77], s[14:15]
	s_cbranch_execz .LBB174_53
.LBB174_85:                             ;   in Loop: Header=BB174_43 Depth=1
	v_mov_b32_e32 v9, s85
	ds_read_b32 v9, v9
	s_waitcnt lgkmcnt(0)
	v_add_u32_e32 v6, v9, v6
	s_or_b64 exec, exec, s[76:77]
	s_and_saveexec_b64 s[76:77], s[16:17]
	s_cbranch_execnz .LBB174_54
.LBB174_86:                             ;   in Loop: Header=BB174_43 Depth=1
	s_or_b64 exec, exec, s[76:77]
	s_and_saveexec_b64 s[76:77], s[18:19]
	s_cbranch_execz .LBB174_55
.LBB174_87:                             ;   in Loop: Header=BB174_43 Depth=1
	v_mov_b32_e32 v9, s87
	ds_read_b32 v9, v9
	s_waitcnt lgkmcnt(0)
	v_add_u32_e32 v6, v9, v6
	s_or_b64 exec, exec, s[76:77]
	s_and_saveexec_b64 s[76:77], s[20:21]
	s_cbranch_execnz .LBB174_56
.LBB174_88:                             ;   in Loop: Header=BB174_43 Depth=1
	s_or_b64 exec, exec, s[76:77]
	s_and_saveexec_b64 s[76:77], s[22:23]
	s_cbranch_execz .LBB174_57
.LBB174_89:                             ;   in Loop: Header=BB174_43 Depth=1
	v_mov_b32_e32 v9, s89
	ds_read_b32 v9, v9
	s_waitcnt lgkmcnt(0)
	v_add_u32_e32 v6, v9, v6
	s_or_b64 exec, exec, s[76:77]
	s_and_saveexec_b64 s[76:77], s[24:25]
	s_cbranch_execnz .LBB174_58
.LBB174_90:                             ;   in Loop: Header=BB174_43 Depth=1
	s_or_b64 exec, exec, s[76:77]
	s_and_saveexec_b64 s[76:77], s[26:27]
	s_cbranch_execz .LBB174_59
.LBB174_91:                             ;   in Loop: Header=BB174_43 Depth=1
	v_mov_b32_e32 v9, s91
	ds_read_b32 v9, v9
	s_waitcnt lgkmcnt(0)
	v_add_u32_e32 v6, v9, v6
	s_or_b64 exec, exec, s[76:77]
	s_and_saveexec_b64 s[76:77], s[28:29]
	s_cbranch_execnz .LBB174_60
.LBB174_92:                             ;   in Loop: Header=BB174_43 Depth=1
	s_or_b64 exec, exec, s[76:77]
	s_and_saveexec_b64 s[76:77], s[30:31]
	s_cbranch_execz .LBB174_61
.LBB174_93:                             ;   in Loop: Header=BB174_43 Depth=1
	v_mov_b32_e32 v9, s93
	ds_read_b32 v9, v9
	s_waitcnt lgkmcnt(0)
	v_add_u32_e32 v6, v9, v6
	s_or_b64 exec, exec, s[76:77]
	s_and_saveexec_b64 s[76:77], s[34:35]
	s_cbranch_execnz .LBB174_62
.LBB174_94:                             ;   in Loop: Header=BB174_43 Depth=1
	s_or_b64 exec, exec, s[76:77]
	s_and_saveexec_b64 s[76:77], s[36:37]
	s_cbranch_execz .LBB174_63
.LBB174_95:                             ;   in Loop: Header=BB174_43 Depth=1
	v_mov_b32_e32 v9, s95
	ds_read_b32 v9, v9
	s_waitcnt lgkmcnt(0)
	v_add_u32_e32 v6, v9, v6
	s_or_b64 exec, exec, s[76:77]
	s_and_saveexec_b64 s[76:77], s[38:39]
	s_cbranch_execnz .LBB174_64
.LBB174_96:                             ;   in Loop: Header=BB174_43 Depth=1
	s_or_b64 exec, exec, s[76:77]
	s_and_saveexec_b64 s[76:77], s[40:41]
	s_cbranch_execz .LBB174_65
.LBB174_97:                             ;   in Loop: Header=BB174_43 Depth=1
	v_mov_b32_e32 v9, s97
	ds_read_b32 v9, v9
	s_waitcnt lgkmcnt(0)
	v_add_u32_e32 v6, v9, v6
	s_or_b64 exec, exec, s[76:77]
	s_and_saveexec_b64 s[76:77], s[42:43]
	s_cbranch_execnz .LBB174_66
.LBB174_98:                             ;   in Loop: Header=BB174_43 Depth=1
	s_or_b64 exec, exec, s[76:77]
	s_and_saveexec_b64 s[76:77], s[44:45]
	s_cbranch_execz .LBB174_67
.LBB174_99:                             ;   in Loop: Header=BB174_43 Depth=1
	v_mov_b32_e32 v9, s99
	ds_read_b32 v9, v9
	s_waitcnt lgkmcnt(0)
	v_add_u32_e32 v6, v9, v6
	s_or_b64 exec, exec, s[76:77]
	s_and_saveexec_b64 s[76:77], s[46:47]
	s_cbranch_execnz .LBB174_68
.LBB174_100:                            ;   in Loop: Header=BB174_43 Depth=1
	s_or_b64 exec, exec, s[76:77]
	s_and_saveexec_b64 s[76:77], s[48:49]
	s_cbranch_execz .LBB174_69
.LBB174_101:                            ;   in Loop: Header=BB174_43 Depth=1
	v_mov_b32_e32 v9, s71
	ds_read_b32 v9, v9
	s_waitcnt lgkmcnt(0)
	v_add_u32_e32 v6, v9, v6
	s_or_b64 exec, exec, s[76:77]
	s_and_saveexec_b64 s[76:77], s[50:51]
	s_cbranch_execnz .LBB174_70
.LBB174_102:                            ;   in Loop: Header=BB174_43 Depth=1
	s_or_b64 exec, exec, s[76:77]
	s_and_saveexec_b64 s[76:77], s[52:53]
	s_cbranch_execz .LBB174_71
.LBB174_103:                            ;   in Loop: Header=BB174_43 Depth=1
	v_mov_b32_e32 v9, s68
	ds_read_b32 v9, v9
	s_waitcnt lgkmcnt(0)
	v_add_u32_e32 v6, v9, v6
	s_or_b64 exec, exec, s[76:77]
	s_and_saveexec_b64 s[76:77], s[54:55]
	s_cbranch_execnz .LBB174_72
.LBB174_104:                            ;   in Loop: Header=BB174_43 Depth=1
	s_or_b64 exec, exec, s[76:77]
	s_and_saveexec_b64 s[76:77], s[56:57]
	s_cbranch_execz .LBB174_73
.LBB174_105:                            ;   in Loop: Header=BB174_43 Depth=1
	v_mov_b32_e32 v9, s67
	ds_read_b32 v9, v9
	s_waitcnt lgkmcnt(0)
	v_add_u32_e32 v6, v9, v6
	s_or_b64 exec, exec, s[76:77]
	s_and_saveexec_b64 s[76:77], s[58:59]
	s_cbranch_execnz .LBB174_74
.LBB174_106:                            ;   in Loop: Header=BB174_43 Depth=1
	s_or_b64 exec, exec, s[76:77]
	s_and_saveexec_b64 s[76:77], s[64:65]
	s_cbranch_execz .LBB174_75
.LBB174_107:                            ;   in Loop: Header=BB174_43 Depth=1
	v_add3_u32 v9, v5, -1, v6
	v_lshl_add_u32 v9, v9, 2, 0
	v_add_u32_e32 v11, v5, v6
	v_lshl_add_u32 v11, v11, 2, 0
	ds_write_b32 v9, v7
	ds_write_b32 v11, v8 offset:65532
	s_or_b64 exec, exec, s[76:77]
	s_and_saveexec_b64 s[64:65], vcc
	s_cbranch_execz .LBB174_42
.LBB174_108:                            ;   in Loop: Header=BB174_43 Depth=1
	v_mov_b32_e32 v7, s78
	ds_write_b32 v7, v6
	s_branch .LBB174_42
.LBB174_109:
	s_or_b64 exec, exec, s[74:75]
	v_readlane_b32 s0, v30, 4
	v_readlane_b32 s1, v30, 5
	s_ashr_i32 s1, s0, 31
	s_lshl_b64 s[0:1], s[0:1], 3
	v_readlane_b32 s2, v30, 2
	v_readlane_b32 s3, v30, 3
	s_add_u32 s4, s2, s0
	s_addc_u32 s5, s3, s1
	s_load_dwordx4 s[0:3], s[4:5], 0x0
	s_waitcnt lgkmcnt(0)
	s_sub_i32 s8, s2, s0
	v_cmp_gt_i32_e32 vcc, s8, v0
	s_and_saveexec_b64 s[4:5], vcc
	s_cbranch_execz .LBB174_119
; %bb.110:
	s_sub_u32 s4, s0, s66
	s_subb_u32 s5, s1, 0
	s_and_b32 s10, s8, 7
	s_sub_i32 s0, s0, s2
	s_cmp_lt_u32 s0, -7
	s_cselect_b64 s[0:1], -1, 0
	s_and_b32 s11, s8, -8
	s_cmp_lg_u32 s10, 0
	v_cndmask_b32_e64 v1, 0, 1, s[0:1]
	s_cselect_b64 s[2:3], -1, 0
	v_cmp_ne_u32_e64 s[0:1], 1, v1
	v_cndmask_b32_e64 v1, 0, 1, s[2:3]
	s_mov_b32 s9, 0
	s_mov_b64 s[6:7], 0
	v_cmp_ne_u32_e64 s[2:3], 1, v1
	s_branch .LBB174_112
.LBB174_111:                            ;   in Loop: Header=BB174_112 Depth=1
	v_readlane_b32 s12, v30, 0
	v_add_u32_e32 v0, 0x400, v0
	v_readlane_b32 s13, v30, 1
	v_cmp_le_i32_e32 vcc, s8, v0
	s_or_b64 s[6:7], vcc, s[6:7]
	v_lshl_add_u64 v[2:3], v[2:3], 2, s[12:13]
	s_waitcnt lgkmcnt(0)
	global_store_dword v[2:3], v1, off
	s_andn2_b64 exec, exec, s[6:7]
	s_cbranch_execz .LBB174_119
.LBB174_112:                            ; =>This Loop Header: Depth=1
                                        ;     Child Loop BB174_114 Depth 2
                                        ;     Child Loop BB174_118 Depth 2
	v_lshl_add_u32 v1, v0, 2, 0
	v_add_u32_e32 v2, 0x10000, v1
	ds_read_b32 v4, v1
	ds_read_b32 v1, v2
	s_and_b64 vcc, exec, s[0:1]
	v_mov_b64_e32 v[2:3], s[4:5]
	s_mov_b32 s12, 0
	s_cbranch_vccnz .LBB174_116
; %bb.113:                              ;   in Loop: Header=BB174_112 Depth=1
	s_mov_b32 s13, 0
	v_mov_b64_e32 v[2:3], s[4:5]
.LBB174_114:                            ;   Parent Loop BB174_112 Depth=1
                                        ; =>  This Inner Loop Header: Depth=2
	v_mov_b32_e32 v5, s13
	ds_read2_b32 v[22:23], v5 offset1:1
	ds_read2_b32 v[24:25], v5 offset0:2 offset1:3
	ds_read2_b32 v[26:27], v5 offset0:4 offset1:5
	ds_read2_b32 v[28:29], v5 offset0:6 offset1:7
	v_mov_b32_e32 v7, s9
	s_waitcnt lgkmcnt(3)
	v_cmp_gt_i32_e32 vcc, v4, v22
	v_mov_b32_e32 v9, s9
	v_mov_b32_e32 v11, s9
	v_cndmask_b32_e64 v6, 0, 1, vcc
	v_cmp_gt_i32_e32 vcc, v4, v23
	v_lshl_add_u64 v[2:3], v[2:3], 0, v[6:7]
	v_mov_b32_e32 v13, s9
	v_cndmask_b32_e64 v8, 0, 1, vcc
	s_waitcnt lgkmcnt(2)
	v_cmp_gt_i32_e32 vcc, v4, v24
	v_lshl_add_u64 v[2:3], v[2:3], 0, v[8:9]
	v_mov_b32_e32 v15, s9
	v_cndmask_b32_e64 v10, 0, 1, vcc
	v_cmp_gt_i32_e32 vcc, v4, v25
	v_lshl_add_u64 v[2:3], v[2:3], 0, v[10:11]
	v_mov_b32_e32 v17, s9
	v_cndmask_b32_e64 v12, 0, 1, vcc
	s_waitcnt lgkmcnt(1)
	v_cmp_gt_i32_e32 vcc, v4, v26
	v_lshl_add_u64 v[2:3], v[2:3], 0, v[12:13]
	;; [unrolled: 9-line block ×3, first 2 shown]
	s_add_i32 s12, s12, 8
	v_cndmask_b32_e64 v18, 0, 1, vcc
	v_cmp_gt_i32_e32 vcc, v4, v29
	s_add_i32 s13, s13, 32
	v_lshl_add_u64 v[2:3], v[2:3], 0, v[18:19]
	v_cndmask_b32_e64 v20, 0, 1, vcc
	s_cmp_eq_u32 s11, s12
	v_lshl_add_u64 v[2:3], v[2:3], 0, v[20:21]
	s_cbranch_scc0 .LBB174_114
; %bb.115:                              ;   in Loop: Header=BB174_112 Depth=1
	s_mov_b32 s12, s11
.LBB174_116:                            ;   in Loop: Header=BB174_112 Depth=1
	s_and_b64 vcc, exec, s[2:3]
	s_cbranch_vccnz .LBB174_111
; %bb.117:                              ;   in Loop: Header=BB174_112 Depth=1
	s_lshl_b32 s12, s12, 2
	s_add_i32 s12, s12, 0
	s_mov_b32 s13, s10
.LBB174_118:                            ;   Parent Loop BB174_112 Depth=1
                                        ; =>  This Inner Loop Header: Depth=2
	v_mov_b32_e32 v5, s12
	ds_read_b32 v5, v5
	v_mov_b32_e32 v7, s9
	s_add_i32 s12, s12, 4
	s_add_i32 s13, s13, -1
	s_cmp_lg_u32 s13, 0
	s_waitcnt lgkmcnt(0)
	v_cmp_gt_i32_e32 vcc, v4, v5
	s_nop 1
	v_cndmask_b32_e64 v6, 0, 1, vcc
	v_lshl_add_u64 v[2:3], v[2:3], 0, v[6:7]
	s_cbranch_scc1 .LBB174_118
	s_branch .LBB174_111
.LBB174_119:
	s_endpgm
	.section	.rodata,"a",@progbits
	.p2align	6, 0x0
	.amdhsa_kernel _ZN9rocsparseL41csrgemm_numeric_fill_block_per_row_kernelILj1024ELj64ELj16384ELj137ELj32ElifEEvT5_PKS1_S3_NS_24const_host_device_scalarIT6_EEPKT4_S3_PKS5_S9_S3_SB_S6_S9_S3_SB_S9_S3_PS5_21rocsparse_index_base_SD_SD_SD_bbb
		.amdhsa_group_segment_fixed_size 0
		.amdhsa_private_segment_fixed_size 0
		.amdhsa_kernarg_size 156
		.amdhsa_user_sgpr_count 2
		.amdhsa_user_sgpr_dispatch_ptr 0
		.amdhsa_user_sgpr_queue_ptr 0
		.amdhsa_user_sgpr_kernarg_segment_ptr 1
		.amdhsa_user_sgpr_dispatch_id 0
		.amdhsa_user_sgpr_kernarg_preload_length 0
		.amdhsa_user_sgpr_kernarg_preload_offset 0
		.amdhsa_user_sgpr_private_segment_size 0
		.amdhsa_uses_dynamic_stack 0
		.amdhsa_enable_private_segment 0
		.amdhsa_system_sgpr_workgroup_id_x 1
		.amdhsa_system_sgpr_workgroup_id_y 0
		.amdhsa_system_sgpr_workgroup_id_z 0
		.amdhsa_system_sgpr_workgroup_info 0
		.amdhsa_system_vgpr_workitem_id 0
		.amdhsa_next_free_vgpr 31
		.amdhsa_next_free_sgpr 100
		.amdhsa_accum_offset 32
		.amdhsa_reserve_vcc 1
		.amdhsa_float_round_mode_32 0
		.amdhsa_float_round_mode_16_64 0
		.amdhsa_float_denorm_mode_32 3
		.amdhsa_float_denorm_mode_16_64 3
		.amdhsa_dx10_clamp 1
		.amdhsa_ieee_mode 1
		.amdhsa_fp16_overflow 0
		.amdhsa_tg_split 0
		.amdhsa_exception_fp_ieee_invalid_op 0
		.amdhsa_exception_fp_denorm_src 0
		.amdhsa_exception_fp_ieee_div_zero 0
		.amdhsa_exception_fp_ieee_overflow 0
		.amdhsa_exception_fp_ieee_underflow 0
		.amdhsa_exception_fp_ieee_inexact 0
		.amdhsa_exception_int_div_zero 0
	.end_amdhsa_kernel
	.section	.text._ZN9rocsparseL41csrgemm_numeric_fill_block_per_row_kernelILj1024ELj64ELj16384ELj137ELj32ElifEEvT5_PKS1_S3_NS_24const_host_device_scalarIT6_EEPKT4_S3_PKS5_S9_S3_SB_S6_S9_S3_SB_S9_S3_PS5_21rocsparse_index_base_SD_SD_SD_bbb,"axG",@progbits,_ZN9rocsparseL41csrgemm_numeric_fill_block_per_row_kernelILj1024ELj64ELj16384ELj137ELj32ElifEEvT5_PKS1_S3_NS_24const_host_device_scalarIT6_EEPKT4_S3_PKS5_S9_S3_SB_S6_S9_S3_SB_S9_S3_PS5_21rocsparse_index_base_SD_SD_SD_bbb,comdat
.Lfunc_end174:
	.size	_ZN9rocsparseL41csrgemm_numeric_fill_block_per_row_kernelILj1024ELj64ELj16384ELj137ELj32ElifEEvT5_PKS1_S3_NS_24const_host_device_scalarIT6_EEPKT4_S3_PKS5_S9_S3_SB_S6_S9_S3_SB_S9_S3_PS5_21rocsparse_index_base_SD_SD_SD_bbb, .Lfunc_end174-_ZN9rocsparseL41csrgemm_numeric_fill_block_per_row_kernelILj1024ELj64ELj16384ELj137ELj32ElifEEvT5_PKS1_S3_NS_24const_host_device_scalarIT6_EEPKT4_S3_PKS5_S9_S3_SB_S6_S9_S3_SB_S9_S3_PS5_21rocsparse_index_base_SD_SD_SD_bbb
                                        ; -- End function
	.set _ZN9rocsparseL41csrgemm_numeric_fill_block_per_row_kernelILj1024ELj64ELj16384ELj137ELj32ElifEEvT5_PKS1_S3_NS_24const_host_device_scalarIT6_EEPKT4_S3_PKS5_S9_S3_SB_S6_S9_S3_SB_S9_S3_PS5_21rocsparse_index_base_SD_SD_SD_bbb.num_vgpr, 31
	.set _ZN9rocsparseL41csrgemm_numeric_fill_block_per_row_kernelILj1024ELj64ELj16384ELj137ELj32ElifEEvT5_PKS1_S3_NS_24const_host_device_scalarIT6_EEPKT4_S3_PKS5_S9_S3_SB_S6_S9_S3_SB_S9_S3_PS5_21rocsparse_index_base_SD_SD_SD_bbb.num_agpr, 0
	.set _ZN9rocsparseL41csrgemm_numeric_fill_block_per_row_kernelILj1024ELj64ELj16384ELj137ELj32ElifEEvT5_PKS1_S3_NS_24const_host_device_scalarIT6_EEPKT4_S3_PKS5_S9_S3_SB_S6_S9_S3_SB_S9_S3_PS5_21rocsparse_index_base_SD_SD_SD_bbb.numbered_sgpr, 100
	.set _ZN9rocsparseL41csrgemm_numeric_fill_block_per_row_kernelILj1024ELj64ELj16384ELj137ELj32ElifEEvT5_PKS1_S3_NS_24const_host_device_scalarIT6_EEPKT4_S3_PKS5_S9_S3_SB_S6_S9_S3_SB_S9_S3_PS5_21rocsparse_index_base_SD_SD_SD_bbb.num_named_barrier, 0
	.set _ZN9rocsparseL41csrgemm_numeric_fill_block_per_row_kernelILj1024ELj64ELj16384ELj137ELj32ElifEEvT5_PKS1_S3_NS_24const_host_device_scalarIT6_EEPKT4_S3_PKS5_S9_S3_SB_S6_S9_S3_SB_S9_S3_PS5_21rocsparse_index_base_SD_SD_SD_bbb.private_seg_size, 0
	.set _ZN9rocsparseL41csrgemm_numeric_fill_block_per_row_kernelILj1024ELj64ELj16384ELj137ELj32ElifEEvT5_PKS1_S3_NS_24const_host_device_scalarIT6_EEPKT4_S3_PKS5_S9_S3_SB_S6_S9_S3_SB_S9_S3_PS5_21rocsparse_index_base_SD_SD_SD_bbb.uses_vcc, 1
	.set _ZN9rocsparseL41csrgemm_numeric_fill_block_per_row_kernelILj1024ELj64ELj16384ELj137ELj32ElifEEvT5_PKS1_S3_NS_24const_host_device_scalarIT6_EEPKT4_S3_PKS5_S9_S3_SB_S6_S9_S3_SB_S9_S3_PS5_21rocsparse_index_base_SD_SD_SD_bbb.uses_flat_scratch, 0
	.set _ZN9rocsparseL41csrgemm_numeric_fill_block_per_row_kernelILj1024ELj64ELj16384ELj137ELj32ElifEEvT5_PKS1_S3_NS_24const_host_device_scalarIT6_EEPKT4_S3_PKS5_S9_S3_SB_S6_S9_S3_SB_S9_S3_PS5_21rocsparse_index_base_SD_SD_SD_bbb.has_dyn_sized_stack, 0
	.set _ZN9rocsparseL41csrgemm_numeric_fill_block_per_row_kernelILj1024ELj64ELj16384ELj137ELj32ElifEEvT5_PKS1_S3_NS_24const_host_device_scalarIT6_EEPKT4_S3_PKS5_S9_S3_SB_S6_S9_S3_SB_S9_S3_PS5_21rocsparse_index_base_SD_SD_SD_bbb.has_recursion, 0
	.set _ZN9rocsparseL41csrgemm_numeric_fill_block_per_row_kernelILj1024ELj64ELj16384ELj137ELj32ElifEEvT5_PKS1_S3_NS_24const_host_device_scalarIT6_EEPKT4_S3_PKS5_S9_S3_SB_S6_S9_S3_SB_S9_S3_PS5_21rocsparse_index_base_SD_SD_SD_bbb.has_indirect_call, 0
	.section	.AMDGPU.csdata,"",@progbits
; Kernel info:
; codeLenInByte = 4500
; TotalNumSgprs: 106
; NumVgprs: 31
; NumAgprs: 0
; TotalNumVgprs: 31
; ScratchSize: 0
; MemoryBound: 0
; FloatMode: 240
; IeeeMode: 1
; LDSByteSize: 0 bytes/workgroup (compile time only)
; SGPRBlocks: 13
; VGPRBlocks: 3
; NumSGPRsForWavesPerEU: 106
; NumVGPRsForWavesPerEU: 31
; AccumOffset: 32
; Occupancy: 7
; WaveLimiterHint : 1
; COMPUTE_PGM_RSRC2:SCRATCH_EN: 0
; COMPUTE_PGM_RSRC2:USER_SGPR: 2
; COMPUTE_PGM_RSRC2:TRAP_HANDLER: 0
; COMPUTE_PGM_RSRC2:TGID_X_EN: 1
; COMPUTE_PGM_RSRC2:TGID_Y_EN: 0
; COMPUTE_PGM_RSRC2:TGID_Z_EN: 0
; COMPUTE_PGM_RSRC2:TIDIG_COMP_CNT: 0
; COMPUTE_PGM_RSRC3_GFX90A:ACCUM_OFFSET: 7
; COMPUTE_PGM_RSRC3_GFX90A:TG_SPLIT: 0
	.section	.text._ZN9rocsparseL41csrgemm_numeric_fill_block_per_row_kernelILj1024ELj64ELj16384ELj137ELj64ElifEEvT5_PKS1_S3_NS_24const_host_device_scalarIT6_EEPKT4_S3_PKS5_S9_S3_SB_S6_S9_S3_SB_S9_S3_PS5_21rocsparse_index_base_SD_SD_SD_bbb,"axG",@progbits,_ZN9rocsparseL41csrgemm_numeric_fill_block_per_row_kernelILj1024ELj64ELj16384ELj137ELj64ElifEEvT5_PKS1_S3_NS_24const_host_device_scalarIT6_EEPKT4_S3_PKS5_S9_S3_SB_S6_S9_S3_SB_S9_S3_PS5_21rocsparse_index_base_SD_SD_SD_bbb,comdat
	.globl	_ZN9rocsparseL41csrgemm_numeric_fill_block_per_row_kernelILj1024ELj64ELj16384ELj137ELj64ElifEEvT5_PKS1_S3_NS_24const_host_device_scalarIT6_EEPKT4_S3_PKS5_S9_S3_SB_S6_S9_S3_SB_S9_S3_PS5_21rocsparse_index_base_SD_SD_SD_bbb ; -- Begin function _ZN9rocsparseL41csrgemm_numeric_fill_block_per_row_kernelILj1024ELj64ELj16384ELj137ELj64ElifEEvT5_PKS1_S3_NS_24const_host_device_scalarIT6_EEPKT4_S3_PKS5_S9_S3_SB_S6_S9_S3_SB_S9_S3_PS5_21rocsparse_index_base_SD_SD_SD_bbb
	.p2align	8
	.type	_ZN9rocsparseL41csrgemm_numeric_fill_block_per_row_kernelILj1024ELj64ELj16384ELj137ELj64ElifEEvT5_PKS1_S3_NS_24const_host_device_scalarIT6_EEPKT4_S3_PKS5_S9_S3_SB_S6_S9_S3_SB_S9_S3_PS5_21rocsparse_index_base_SD_SD_SD_bbb,@function
_ZN9rocsparseL41csrgemm_numeric_fill_block_per_row_kernelILj1024ELj64ELj16384ELj137ELj64ElifEEvT5_PKS1_S3_NS_24const_host_device_scalarIT6_EEPKT4_S3_PKS5_S9_S3_SB_S6_S9_S3_SB_S9_S3_PS5_21rocsparse_index_base_SD_SD_SD_bbb: ; @_ZN9rocsparseL41csrgemm_numeric_fill_block_per_row_kernelILj1024ELj64ELj16384ELj137ELj64ElifEEvT5_PKS1_S3_NS_24const_host_device_scalarIT6_EEPKT4_S3_PKS5_S9_S3_SB_S6_S9_S3_SB_S9_S3_PS5_21rocsparse_index_base_SD_SD_SD_bbb
; %bb.0:
	s_load_dword s3, s[0:1], 0x98
	s_load_dwordx4 s[36:39], s[0:1], 0x88
	s_load_dwordx2 s[4:5], s[0:1], 0x18
	s_load_dwordx2 s[16:17], s[0:1], 0x50
	s_waitcnt lgkmcnt(0)
	s_bitcmp1_b32 s3, 0
	s_cselect_b64 s[6:7], -1, 0
	s_bitcmp1_b32 s3, 16
	s_cselect_b64 s[18:19], -1, 0
	s_xor_b64 s[8:9], s[6:7], -1
	s_or_b64 s[8:9], s[18:19], s[8:9]
	s_and_b64 vcc, exec, s[8:9]
	s_cbranch_vccnz .LBB175_2
; %bb.1:
	s_load_dword s4, s[4:5], 0x0
	s_waitcnt lgkmcnt(0)
	v_mov_b32_e32 v13, s4
	s_branch .LBB175_3
.LBB175_2:
	v_mov_b32_e32 v1, s4
	v_cndmask_b32_e64 v13, 0, v1, s[6:7]
.LBB175_3:
	s_load_dwordx2 s[34:35], s[0:1], 0x80
	s_load_dwordx2 s[40:41], s[0:1], 0x70
	;; [unrolled: 1-line block ×3, first 2 shown]
	s_load_dwordx4 s[24:27], s[0:1], 0x8
	s_load_dwordx8 s[8:15], s[0:1], 0x20
	s_bitcmp1_b32 s3, 8
	s_cselect_b64 s[4:5], -1, 0
	s_xor_b64 s[20:21], s[4:5], -1
	s_or_b64 s[18:19], s[18:19], s[20:21]
	s_and_b64 vcc, exec, s[18:19]
	s_cbranch_vccnz .LBB175_5
; %bb.4:
	s_load_dword s3, s[16:17], 0x0
	s_waitcnt lgkmcnt(0)
	v_mov_b32_e32 v11, s3
	s_branch .LBB175_6
.LBB175_5:
	v_mov_b32_e32 v1, s16
	v_cndmask_b32_e64 v11, 0, v1, s[4:5]
.LBB175_6:
	s_load_dwordx4 s[20:23], s[0:1], 0x40
	s_load_dword s33, s[0:1], 0x0
	s_load_dwordx4 s[16:19], s[0:1], 0x60
	v_or_b32_e32 v1, 0xfffffc00, v0
	v_lshl_add_u32 v10, v0, 2, 0
	s_mov_b64 s[0:1], 0
	s_waitcnt lgkmcnt(0)
	v_mov_b32_e32 v5, s33
	v_mov_b32_e32 v2, 0
	s_movk_i32 s3, 0x3bff
	v_mov_b32_e32 v3, v10
	v_mov_b32_e32 v4, v1
.LBB175_7:                              ; =>This Inner Loop Header: Depth=1
	v_add_u32_e32 v4, 0x400, v4
	v_cmp_lt_u32_e32 vcc, s3, v4
	ds_write_b32 v3, v5
	v_add_u32_e32 v6, 0x10000, v3
	v_add_u32_e32 v3, 0x1000, v3
	s_or_b64 s[0:1], vcc, s[0:1]
	ds_write_b32 v6, v2
	s_andn2_b64 exec, exec, s[0:1]
	s_cbranch_execnz .LBB175_7
; %bb.8:
	s_or_b64 exec, exec, s[0:1]
	s_waitcnt lgkmcnt(0)
	s_barrier
	s_load_dword s0, s[24:25], 0x0
	s_mov_b32 s1, 0
	v_lshrrev_b32_e32 v12, 6, v0
	s_waitcnt lgkmcnt(0)
	s_add_i32 s0, s0, s2
	s_lshl_b64 s[0:1], s[0:1], 2
	s_add_u32 s0, s26, s0
	s_addc_u32 s1, s27, s1
	s_load_dword s42, s[0:1], 0x0
	s_and_b64 vcc, exec, s[6:7]
	s_cbranch_vccz .LBB175_26
; %bb.9:
	s_waitcnt lgkmcnt(0)
	s_ashr_i32 s43, s42, 31
	s_lshl_b64 s[0:1], s[42:43], 3
	s_add_u32 s0, s8, s0
	s_addc_u32 s1, s9, s1
	s_load_dwordx4 s[24:27], s[0:1], 0x0
	v_subrev_co_u32_e32 v2, vcc, s36, v12
	s_nop 1
	v_subb_co_u32_e64 v3, s[0:1], 0, 0, vcc
	s_waitcnt lgkmcnt(0)
	s_sub_u32 s0, s26, s36
	s_subb_u32 s1, s27, 0
	v_lshl_add_u64 v[2:3], s[24:25], 0, v[2:3]
	v_cmp_gt_i64_e32 vcc, s[0:1], v[2:3]
	s_and_saveexec_b64 s[2:3], vcc
	s_cbranch_execz .LBB175_25
; %bb.10:
	v_and_b32_e32 v4, 63, v0
	v_subrev_co_u32_e32 v4, vcc, s37, v4
	s_mov_b32 s43, s37
	s_nop 0
	v_subb_co_u32_e64 v5, s[6:7], 0, 0, vcc
	s_mov_b64 s[6:7], 0
	s_movk_i32 s50, 0x89
	s_branch .LBB175_12
.LBB175_11:                             ;   in Loop: Header=BB175_12 Depth=1
	s_or_b64 exec, exec, s[8:9]
	v_lshl_add_u64 v[2:3], v[2:3], 0, 16
	v_cmp_le_i64_e32 vcc, s[0:1], v[2:3]
	s_or_b64 s[6:7], vcc, s[6:7]
	s_andn2_b64 exec, exec, s[6:7]
	s_cbranch_execz .LBB175_25
.LBB175_12:                             ; =>This Loop Header: Depth=1
                                        ;     Child Loop BB175_16 Depth 2
                                        ;       Child Loop BB175_19 Depth 3
	v_lshl_add_u64 v[6:7], v[2:3], 2, s[10:11]
	global_load_dword v6, v[6:7], off
	s_waitcnt vmcnt(0)
	v_subrev_u32_e32 v6, s36, v6
	v_ashrrev_i32_e32 v7, 31, v6
	v_lshl_add_u64 v[6:7], v[6:7], 3, s[14:15]
	global_load_dwordx4 v[14:17], v[6:7], off
	s_waitcnt vmcnt(0)
	v_subrev_co_u32_e32 v6, vcc, s43, v16
	s_nop 1
	v_subbrev_co_u32_e32 v7, vcc, 0, v17, vcc
	v_lshl_add_u64 v[8:9], v[14:15], 0, v[4:5]
	v_cmp_lt_i64_e32 vcc, v[8:9], v[6:7]
	s_and_saveexec_b64 s[8:9], vcc
	s_cbranch_execz .LBB175_11
; %bb.13:                               ;   in Loop: Header=BB175_12 Depth=1
	v_lshl_add_u64 v[14:15], v[2:3], 2, s[12:13]
	global_load_dword v14, v[14:15], off
	s_mov_b64 s[24:25], 0
	s_waitcnt vmcnt(0)
	v_mul_f32_e32 v14, v13, v14
	s_branch .LBB175_16
.LBB175_14:                             ;   in Loop: Header=BB175_16 Depth=2
	s_or_b64 exec, exec, s[30:31]
.LBB175_15:                             ;   in Loop: Header=BB175_16 Depth=2
	s_or_b64 exec, exec, s[26:27]
	v_lshl_add_u32 v16, v16, 2, 0
	s_waitcnt vmcnt(0)
	v_mul_f32_e32 v15, v14, v15
	v_add_u32_e32 v16, 0x10000, v16
	ds_add_f32 v16, v15
	v_lshl_add_u64 v[8:9], v[8:9], 0, 64
	v_cmp_ge_i64_e32 vcc, v[8:9], v[6:7]
	s_or_b64 s[24:25], vcc, s[24:25]
	s_andn2_b64 exec, exec, s[24:25]
	s_cbranch_execz .LBB175_11
.LBB175_16:                             ;   Parent Loop BB175_12 Depth=1
                                        ; =>  This Loop Header: Depth=2
                                        ;       Child Loop BB175_19 Depth 3
	v_lshlrev_b64 v[16:17], 2, v[8:9]
	v_lshl_add_u64 v[18:19], s[20:21], 0, v[16:17]
	global_load_dword v18, v[18:19], off
	v_lshl_add_u64 v[16:17], s[22:23], 0, v[16:17]
	global_load_dword v15, v[16:17], off
	s_waitcnt vmcnt(1)
	v_subrev_u32_e32 v17, s37, v18
	v_mul_lo_u32 v16, v17, s50
	v_and_b32_e32 v16, 0x3fff, v16
	v_lshl_add_u32 v18, v16, 2, 0
	ds_read_b32 v19, v18
	s_waitcnt lgkmcnt(0)
	v_cmp_ne_u32_e32 vcc, v19, v17
	s_and_saveexec_b64 s[26:27], vcc
	s_cbranch_execz .LBB175_15
; %bb.17:                               ;   in Loop: Header=BB175_16 Depth=2
	s_mov_b64 s[30:31], 0
	s_branch .LBB175_19
.LBB175_18:                             ;   in Loop: Header=BB175_19 Depth=3
	s_or_b64 exec, exec, s[48:49]
	s_and_b64 s[44:45], exec, s[46:47]
	s_or_b64 s[30:31], s[44:45], s[30:31]
	s_andn2_b64 exec, exec, s[30:31]
	s_cbranch_execz .LBB175_14
.LBB175_19:                             ;   Parent Loop BB175_12 Depth=1
                                        ;     Parent Loop BB175_16 Depth=2
                                        ; =>    This Inner Loop Header: Depth=3
	v_cmp_ne_u32_e32 vcc, s33, v19
	s_mov_b64 s[44:45], 0
	s_and_saveexec_b64 s[46:47], vcc
	s_xor_b64 s[46:47], exec, s[46:47]
	s_cbranch_execz .LBB175_21
; %bb.20:                               ;   in Loop: Header=BB175_19 Depth=3
	v_add_u32_e32 v16, 1, v16
	s_mov_b64 s[44:45], exec
	v_and_b32_e32 v16, 0x3fff, v16
                                        ; implicit-def: $vgpr18
	s_andn2_saveexec_b64 s[46:47], s[46:47]
	s_cbranch_execz .LBB175_23
	s_branch .LBB175_22
.LBB175_21:                             ;   in Loop: Header=BB175_19 Depth=3
	s_andn2_saveexec_b64 s[46:47], s[46:47]
	s_cbranch_execz .LBB175_23
.LBB175_22:                             ;   in Loop: Header=BB175_19 Depth=3
	v_mov_b32_e32 v19, s33
	ds_cmpst_rtn_b32 v18, v18, v19, v17
	s_andn2_b64 s[44:45], s[44:45], exec
	s_waitcnt lgkmcnt(0)
	v_cmp_ne_u32_e32 vcc, s33, v18
	s_and_b64 s[48:49], vcc, exec
	s_or_b64 s[44:45], s[44:45], s[48:49]
.LBB175_23:                             ;   in Loop: Header=BB175_19 Depth=3
	s_or_b64 exec, exec, s[46:47]
	s_mov_b64 s[46:47], -1
                                        ; implicit-def: $vgpr18
                                        ; implicit-def: $vgpr19
	s_and_saveexec_b64 s[48:49], s[44:45]
	s_cbranch_execz .LBB175_18
; %bb.24:                               ;   in Loop: Header=BB175_19 Depth=3
	v_lshl_add_u32 v18, v16, 2, 0
	ds_read_b32 v19, v18
	s_waitcnt lgkmcnt(0)
	v_cmp_eq_u32_e32 vcc, v19, v17
	s_orn2_b64 s[46:47], vcc, exec
	s_branch .LBB175_18
.LBB175_25:
	s_or_b64 exec, exec, s[2:3]
.LBB175_26:
	s_andn2_b64 vcc, exec, s[4:5]
	s_cbranch_vccnz .LBB175_41
; %bb.27:
	s_waitcnt lgkmcnt(0)
	s_ashr_i32 s43, s42, 31
	s_lshl_b64 s[0:1], s[42:43], 3
	s_add_u32 s0, s28, s0
	s_addc_u32 s1, s29, s1
	s_load_dwordx4 s[4:7], s[0:1], 0x0
	v_subrev_co_u32_e32 v2, vcc, s39, v0
	s_nop 1
	v_subb_co_u32_e64 v3, s[0:1], 0, 0, vcc
	s_waitcnt lgkmcnt(0)
	s_sub_u32 s0, s6, s39
	s_subb_u32 s1, s7, 0
	v_lshl_add_u64 v[2:3], s[4:5], 0, v[2:3]
	v_cmp_gt_i64_e32 vcc, s[0:1], v[2:3]
	s_and_saveexec_b64 s[2:3], vcc
	s_cbranch_execz .LBB175_40
; %bb.28:
	s_mov_b64 s[4:5], 0
	s_movk_i32 s22, 0x89
	s_mov_b64 s[6:7], 0x400
	s_branch .LBB175_31
.LBB175_29:                             ;   in Loop: Header=BB175_31 Depth=1
	s_or_b64 exec, exec, s[10:11]
.LBB175_30:                             ;   in Loop: Header=BB175_31 Depth=1
	s_or_b64 exec, exec, s[8:9]
	v_lshl_add_u32 v5, v5, 2, 0
	s_waitcnt vmcnt(0)
	v_mul_f32_e32 v4, v11, v4
	v_add_u32_e32 v5, 0x10000, v5
	ds_add_f32 v5, v4
	v_lshl_add_u64 v[2:3], v[2:3], 0, s[6:7]
	v_cmp_le_i64_e32 vcc, s[0:1], v[2:3]
	s_or_b64 s[4:5], vcc, s[4:5]
	s_andn2_b64 exec, exec, s[4:5]
	s_cbranch_execz .LBB175_40
.LBB175_31:                             ; =>This Loop Header: Depth=1
                                        ;     Child Loop BB175_34 Depth 2
	v_lshlrev_b64 v[4:5], 2, v[2:3]
	v_lshl_add_u64 v[6:7], s[16:17], 0, v[4:5]
	global_load_dword v6, v[6:7], off
	v_lshl_add_u64 v[4:5], s[18:19], 0, v[4:5]
	global_load_dword v4, v[4:5], off
	s_waitcnt vmcnt(1)
	v_subrev_u32_e32 v6, s39, v6
	v_mul_lo_u32 v5, v6, s22
	v_and_b32_e32 v5, 0x3fff, v5
	v_lshl_add_u32 v7, v5, 2, 0
	ds_read_b32 v8, v7
	s_waitcnt lgkmcnt(0)
	v_cmp_ne_u32_e32 vcc, v8, v6
	s_and_saveexec_b64 s[8:9], vcc
	s_cbranch_execz .LBB175_30
; %bb.32:                               ;   in Loop: Header=BB175_31 Depth=1
	s_mov_b64 s[10:11], 0
	s_branch .LBB175_34
.LBB175_33:                             ;   in Loop: Header=BB175_34 Depth=2
	s_or_b64 exec, exec, s[20:21]
	s_and_b64 s[12:13], exec, s[14:15]
	s_or_b64 s[10:11], s[12:13], s[10:11]
	s_andn2_b64 exec, exec, s[10:11]
	s_cbranch_execz .LBB175_29
.LBB175_34:                             ;   Parent Loop BB175_31 Depth=1
                                        ; =>  This Inner Loop Header: Depth=2
	v_cmp_ne_u32_e32 vcc, s33, v8
	s_mov_b64 s[12:13], 0
	s_and_saveexec_b64 s[14:15], vcc
	s_xor_b64 s[14:15], exec, s[14:15]
	s_cbranch_execz .LBB175_36
; %bb.35:                               ;   in Loop: Header=BB175_34 Depth=2
	v_add_u32_e32 v5, 1, v5
	s_mov_b64 s[12:13], exec
	v_and_b32_e32 v5, 0x3fff, v5
                                        ; implicit-def: $vgpr7
	s_andn2_saveexec_b64 s[14:15], s[14:15]
	s_cbranch_execz .LBB175_38
	s_branch .LBB175_37
.LBB175_36:                             ;   in Loop: Header=BB175_34 Depth=2
	s_andn2_saveexec_b64 s[14:15], s[14:15]
	s_cbranch_execz .LBB175_38
.LBB175_37:                             ;   in Loop: Header=BB175_34 Depth=2
	v_mov_b32_e32 v8, s33
	ds_cmpst_rtn_b32 v7, v7, v8, v6
	s_andn2_b64 s[12:13], s[12:13], exec
	s_waitcnt lgkmcnt(0)
	v_cmp_ne_u32_e32 vcc, s33, v7
	s_and_b64 s[20:21], vcc, exec
	s_or_b64 s[12:13], s[12:13], s[20:21]
.LBB175_38:                             ;   in Loop: Header=BB175_34 Depth=2
	s_or_b64 exec, exec, s[14:15]
	s_mov_b64 s[14:15], -1
                                        ; implicit-def: $vgpr7
                                        ; implicit-def: $vgpr8
	s_and_saveexec_b64 s[20:21], s[12:13]
	s_cbranch_execz .LBB175_33
; %bb.39:                               ;   in Loop: Header=BB175_34 Depth=2
	v_lshl_add_u32 v7, v5, 2, 0
	ds_read_b32 v8, v7
	s_waitcnt lgkmcnt(0)
	v_cmp_eq_u32_e32 vcc, v8, v6
	s_orn2_b64 s[14:15], vcc, exec
	s_branch .LBB175_33
.LBB175_40:
	s_or_b64 exec, exec, s[2:3]
.LBB175_41:
	v_mbcnt_lo_u32_b32 v2, -1, 0
	v_mbcnt_hi_u32_b32 v2, -1, v2
	v_sub_u32_e32 v2, 63, v2
	s_add_i32 s39, 0, 0x20000
	s_movk_i32 s0, 0x3ff
	s_movk_i32 s2, 0x7f
	;; [unrolled: 1-line block ×15, first 2 shown]
	s_add_i32 s59, 0, 0x2003c
	v_lshrrev_b64 v[2:3], v2, -1
	v_lshl_add_u32 v4, v12, 2, s39
	v_cmp_eq_u32_e32 vcc, s0, v0
	v_cmp_lt_u32_e64 s[0:1], 63, v0
	v_cmp_lt_u32_e64 s[2:3], s2, v0
	;; [unrolled: 1-line block ×15, first 2 shown]
	s_mov_b64 s[36:37], 0
	v_mov_b32_e32 v5, 0
	s_add_i32 s43, 0, 0x20004
	s_add_i32 s46, 0, 0x20008
	;; [unrolled: 1-line block ×14, first 2 shown]
	v_mov_b32_e32 v6, s59
	s_movk_i32 s60, 0x3bff
	s_waitcnt lgkmcnt(0)
	s_barrier
	s_branch .LBB175_43
.LBB175_42:                             ;   in Loop: Header=BB175_43 Depth=1
	s_or_b64 exec, exec, s[30:31]
	s_waitcnt lgkmcnt(0)
	s_barrier
	ds_read_b32 v7, v6
	v_add_u32_e32 v1, 0x400, v1
	v_cmp_lt_u32_e64 s[30:31], s60, v1
	s_or_b64 s[36:37], s[30:31], s[36:37]
	v_add_u32_e32 v10, 0x1000, v10
	s_waitcnt lgkmcnt(0)
	v_add_u32_e32 v5, v7, v5
	s_andn2_b64 exec, exec, s[36:37]
	s_cbranch_execz .LBB175_77
.LBB175_43:                             ; =>This Inner Loop Header: Depth=1
	ds_read_b32 v8, v10
	v_add_u32_e32 v7, 0x10000, v10
	ds_read_b32 v9, v7
	s_waitcnt lgkmcnt(0)
	s_barrier
	v_cmp_gt_i32_e64 s[30:31], s33, v8
	s_bcnt1_i32_b64 s44, s[30:31]
	s_nop 0
	v_and_b32_e32 v11, s30, v2
	v_and_b32_e32 v7, s31, v3
	v_bcnt_u32_b32 v11, v11, 0
	v_bcnt_u32_b32 v7, v7, v11
	v_mov_b32_e32 v11, s44
	ds_write_b32 v4, v11
	s_waitcnt lgkmcnt(0)
	s_barrier
	s_and_saveexec_b64 s[44:45], s[0:1]
	s_cbranch_execz .LBB175_60
; %bb.44:                               ;   in Loop: Header=BB175_43 Depth=1
	v_mov_b32_e32 v11, s39
	ds_read_b32 v11, v11
	s_waitcnt lgkmcnt(0)
	v_add_u32_e32 v7, v11, v7
	s_or_b64 exec, exec, s[44:45]
	s_and_saveexec_b64 s[44:45], s[2:3]
	s_cbranch_execnz .LBB175_61
.LBB175_45:                             ;   in Loop: Header=BB175_43 Depth=1
	s_or_b64 exec, exec, s[44:45]
	s_and_saveexec_b64 s[44:45], s[4:5]
	s_cbranch_execz .LBB175_62
.LBB175_46:                             ;   in Loop: Header=BB175_43 Depth=1
	v_mov_b32_e32 v11, s46
	ds_read_b32 v11, v11
	s_waitcnt lgkmcnt(0)
	v_add_u32_e32 v7, v11, v7
	s_or_b64 exec, exec, s[44:45]
	s_and_saveexec_b64 s[44:45], s[6:7]
	s_cbranch_execnz .LBB175_63
.LBB175_47:                             ;   in Loop: Header=BB175_43 Depth=1
	s_or_b64 exec, exec, s[44:45]
	s_and_saveexec_b64 s[44:45], s[8:9]
	s_cbranch_execz .LBB175_64
.LBB175_48:                             ;   in Loop: Header=BB175_43 Depth=1
	v_mov_b32_e32 v11, s48
	ds_read_b32 v11, v11
	s_waitcnt lgkmcnt(0)
	v_add_u32_e32 v7, v11, v7
	s_or_b64 exec, exec, s[44:45]
	s_and_saveexec_b64 s[44:45], s[10:11]
	s_cbranch_execnz .LBB175_65
.LBB175_49:                             ;   in Loop: Header=BB175_43 Depth=1
	s_or_b64 exec, exec, s[44:45]
	s_and_saveexec_b64 s[44:45], s[12:13]
	s_cbranch_execz .LBB175_66
.LBB175_50:                             ;   in Loop: Header=BB175_43 Depth=1
	v_mov_b32_e32 v11, s50
	ds_read_b32 v11, v11
	s_waitcnt lgkmcnt(0)
	v_add_u32_e32 v7, v11, v7
	s_or_b64 exec, exec, s[44:45]
	s_and_saveexec_b64 s[44:45], s[14:15]
	s_cbranch_execnz .LBB175_67
.LBB175_51:                             ;   in Loop: Header=BB175_43 Depth=1
	s_or_b64 exec, exec, s[44:45]
	s_and_saveexec_b64 s[44:45], s[16:17]
	s_cbranch_execz .LBB175_68
.LBB175_52:                             ;   in Loop: Header=BB175_43 Depth=1
	v_mov_b32_e32 v11, s52
	ds_read_b32 v11, v11
	s_waitcnt lgkmcnt(0)
	v_add_u32_e32 v7, v11, v7
	s_or_b64 exec, exec, s[44:45]
	s_and_saveexec_b64 s[44:45], s[18:19]
	s_cbranch_execnz .LBB175_69
.LBB175_53:                             ;   in Loop: Header=BB175_43 Depth=1
	s_or_b64 exec, exec, s[44:45]
	s_and_saveexec_b64 s[44:45], s[20:21]
	s_cbranch_execz .LBB175_70
.LBB175_54:                             ;   in Loop: Header=BB175_43 Depth=1
	v_mov_b32_e32 v11, s54
	ds_read_b32 v11, v11
	s_waitcnt lgkmcnt(0)
	v_add_u32_e32 v7, v11, v7
	s_or_b64 exec, exec, s[44:45]
	s_and_saveexec_b64 s[44:45], s[22:23]
	s_cbranch_execnz .LBB175_71
.LBB175_55:                             ;   in Loop: Header=BB175_43 Depth=1
	s_or_b64 exec, exec, s[44:45]
	s_and_saveexec_b64 s[44:45], s[24:25]
	s_cbranch_execz .LBB175_72
.LBB175_56:                             ;   in Loop: Header=BB175_43 Depth=1
	v_mov_b32_e32 v11, s56
	ds_read_b32 v11, v11
	s_waitcnt lgkmcnt(0)
	v_add_u32_e32 v7, v11, v7
	s_or_b64 exec, exec, s[44:45]
	s_and_saveexec_b64 s[44:45], s[26:27]
	s_cbranch_execnz .LBB175_73
.LBB175_57:                             ;   in Loop: Header=BB175_43 Depth=1
	s_or_b64 exec, exec, s[44:45]
	s_and_saveexec_b64 s[44:45], s[28:29]
	s_cbranch_execz .LBB175_74
.LBB175_58:                             ;   in Loop: Header=BB175_43 Depth=1
	v_mov_b32_e32 v11, s58
	ds_read_b32 v11, v11
	s_waitcnt lgkmcnt(0)
	v_add_u32_e32 v7, v11, v7
	s_or_b64 exec, exec, s[44:45]
	s_and_saveexec_b64 s[44:45], s[30:31]
	s_cbranch_execnz .LBB175_75
.LBB175_59:                             ;   in Loop: Header=BB175_43 Depth=1
	s_or_b64 exec, exec, s[44:45]
	s_and_saveexec_b64 s[30:31], vcc
	s_cbranch_execz .LBB175_42
	s_branch .LBB175_76
.LBB175_60:                             ;   in Loop: Header=BB175_43 Depth=1
	s_or_b64 exec, exec, s[44:45]
	s_and_saveexec_b64 s[44:45], s[2:3]
	s_cbranch_execz .LBB175_45
.LBB175_61:                             ;   in Loop: Header=BB175_43 Depth=1
	v_mov_b32_e32 v11, s43
	ds_read_b32 v11, v11
	s_waitcnt lgkmcnt(0)
	v_add_u32_e32 v7, v11, v7
	s_or_b64 exec, exec, s[44:45]
	s_and_saveexec_b64 s[44:45], s[4:5]
	s_cbranch_execnz .LBB175_46
.LBB175_62:                             ;   in Loop: Header=BB175_43 Depth=1
	s_or_b64 exec, exec, s[44:45]
	s_and_saveexec_b64 s[44:45], s[6:7]
	s_cbranch_execz .LBB175_47
.LBB175_63:                             ;   in Loop: Header=BB175_43 Depth=1
	v_mov_b32_e32 v11, s47
	ds_read_b32 v11, v11
	s_waitcnt lgkmcnt(0)
	v_add_u32_e32 v7, v11, v7
	s_or_b64 exec, exec, s[44:45]
	s_and_saveexec_b64 s[44:45], s[8:9]
	s_cbranch_execnz .LBB175_48
.LBB175_64:                             ;   in Loop: Header=BB175_43 Depth=1
	s_or_b64 exec, exec, s[44:45]
	s_and_saveexec_b64 s[44:45], s[10:11]
	s_cbranch_execz .LBB175_49
.LBB175_65:                             ;   in Loop: Header=BB175_43 Depth=1
	v_mov_b32_e32 v11, s49
	ds_read_b32 v11, v11
	s_waitcnt lgkmcnt(0)
	v_add_u32_e32 v7, v11, v7
	s_or_b64 exec, exec, s[44:45]
	s_and_saveexec_b64 s[44:45], s[12:13]
	s_cbranch_execnz .LBB175_50
.LBB175_66:                             ;   in Loop: Header=BB175_43 Depth=1
	s_or_b64 exec, exec, s[44:45]
	s_and_saveexec_b64 s[44:45], s[14:15]
	s_cbranch_execz .LBB175_51
.LBB175_67:                             ;   in Loop: Header=BB175_43 Depth=1
	v_mov_b32_e32 v11, s51
	ds_read_b32 v11, v11
	s_waitcnt lgkmcnt(0)
	v_add_u32_e32 v7, v11, v7
	s_or_b64 exec, exec, s[44:45]
	s_and_saveexec_b64 s[44:45], s[16:17]
	s_cbranch_execnz .LBB175_52
.LBB175_68:                             ;   in Loop: Header=BB175_43 Depth=1
	s_or_b64 exec, exec, s[44:45]
	s_and_saveexec_b64 s[44:45], s[18:19]
	s_cbranch_execz .LBB175_53
.LBB175_69:                             ;   in Loop: Header=BB175_43 Depth=1
	v_mov_b32_e32 v11, s53
	ds_read_b32 v11, v11
	s_waitcnt lgkmcnt(0)
	v_add_u32_e32 v7, v11, v7
	s_or_b64 exec, exec, s[44:45]
	s_and_saveexec_b64 s[44:45], s[20:21]
	s_cbranch_execnz .LBB175_54
.LBB175_70:                             ;   in Loop: Header=BB175_43 Depth=1
	s_or_b64 exec, exec, s[44:45]
	s_and_saveexec_b64 s[44:45], s[22:23]
	s_cbranch_execz .LBB175_55
.LBB175_71:                             ;   in Loop: Header=BB175_43 Depth=1
	v_mov_b32_e32 v11, s55
	ds_read_b32 v11, v11
	s_waitcnt lgkmcnt(0)
	v_add_u32_e32 v7, v11, v7
	s_or_b64 exec, exec, s[44:45]
	s_and_saveexec_b64 s[44:45], s[24:25]
	s_cbranch_execnz .LBB175_56
.LBB175_72:                             ;   in Loop: Header=BB175_43 Depth=1
	s_or_b64 exec, exec, s[44:45]
	s_and_saveexec_b64 s[44:45], s[26:27]
	s_cbranch_execz .LBB175_57
.LBB175_73:                             ;   in Loop: Header=BB175_43 Depth=1
	v_mov_b32_e32 v11, s57
	ds_read_b32 v11, v11
	s_waitcnt lgkmcnt(0)
	v_add_u32_e32 v7, v11, v7
	s_or_b64 exec, exec, s[44:45]
	s_and_saveexec_b64 s[44:45], s[28:29]
	s_cbranch_execnz .LBB175_58
.LBB175_74:                             ;   in Loop: Header=BB175_43 Depth=1
	s_or_b64 exec, exec, s[44:45]
	s_and_saveexec_b64 s[44:45], s[30:31]
	s_cbranch_execz .LBB175_59
.LBB175_75:                             ;   in Loop: Header=BB175_43 Depth=1
	v_add3_u32 v11, v5, -1, v7
	v_lshl_add_u32 v11, v11, 2, 0
	v_add_u32_e32 v12, v5, v7
	v_lshl_add_u32 v12, v12, 2, 0
	ds_write_b32 v11, v8
	ds_write_b32 v12, v9 offset:65532
	s_or_b64 exec, exec, s[44:45]
	s_and_saveexec_b64 s[30:31], vcc
	s_cbranch_execz .LBB175_42
.LBB175_76:                             ;   in Loop: Header=BB175_43 Depth=1
	v_mov_b32_e32 v8, s59
	ds_write_b32 v8, v7
	s_branch .LBB175_42
.LBB175_77:
	s_or_b64 exec, exec, s[36:37]
	s_ashr_i32 s43, s42, 31
	s_lshl_b64 s[0:1], s[42:43], 3
	s_add_u32 s4, s40, s0
	s_addc_u32 s5, s41, s1
	s_load_dwordx4 s[0:3], s[4:5], 0x0
	s_waitcnt lgkmcnt(0)
	s_sub_i32 s8, s2, s0
	v_cmp_gt_i32_e32 vcc, s8, v0
	s_and_saveexec_b64 s[4:5], vcc
	s_cbranch_execz .LBB175_87
; %bb.78:
	s_sub_u32 s4, s0, s38
	s_subb_u32 s5, s1, 0
	s_and_b32 s10, s8, 7
	s_sub_i32 s0, s0, s2
	s_cmp_lt_u32 s0, -7
	s_cselect_b64 s[0:1], -1, 0
	s_and_b32 s11, s8, -8
	s_cmp_lg_u32 s10, 0
	v_cndmask_b32_e64 v1, 0, 1, s[0:1]
	s_cselect_b64 s[2:3], -1, 0
	v_cmp_ne_u32_e64 s[0:1], 1, v1
	v_cndmask_b32_e64 v1, 0, 1, s[2:3]
	s_mov_b32 s9, 0
	s_mov_b64 s[6:7], 0
	v_cmp_ne_u32_e64 s[2:3], 1, v1
	s_branch .LBB175_80
.LBB175_79:                             ;   in Loop: Header=BB175_80 Depth=1
	v_add_u32_e32 v0, 0x400, v0
	v_cmp_le_i32_e32 vcc, s8, v0
	v_lshl_add_u64 v[2:3], v[2:3], 2, s[34:35]
	s_or_b64 s[6:7], vcc, s[6:7]
	s_waitcnt lgkmcnt(0)
	global_store_dword v[2:3], v1, off
	s_andn2_b64 exec, exec, s[6:7]
	s_cbranch_execz .LBB175_87
.LBB175_80:                             ; =>This Loop Header: Depth=1
                                        ;     Child Loop BB175_82 Depth 2
                                        ;     Child Loop BB175_86 Depth 2
	v_lshl_add_u32 v1, v0, 2, 0
	v_add_u32_e32 v2, 0x10000, v1
	ds_read_b32 v4, v1
	ds_read_b32 v1, v2
	s_and_b64 vcc, exec, s[0:1]
	v_mov_b64_e32 v[2:3], s[4:5]
	s_mov_b32 s12, 0
	s_cbranch_vccnz .LBB175_84
; %bb.81:                               ;   in Loop: Header=BB175_80 Depth=1
	s_mov_b32 s13, 0
	v_mov_b64_e32 v[2:3], s[4:5]
.LBB175_82:                             ;   Parent Loop BB175_80 Depth=1
                                        ; =>  This Inner Loop Header: Depth=2
	v_mov_b32_e32 v5, s13
	ds_read2_b32 v[22:23], v5 offset1:1
	ds_read2_b32 v[24:25], v5 offset0:2 offset1:3
	ds_read2_b32 v[26:27], v5 offset0:4 offset1:5
	;; [unrolled: 1-line block ×3, first 2 shown]
	v_mov_b32_e32 v7, s9
	s_waitcnt lgkmcnt(3)
	v_cmp_gt_i32_e32 vcc, v4, v22
	v_mov_b32_e32 v9, s9
	v_mov_b32_e32 v11, s9
	v_cndmask_b32_e64 v6, 0, 1, vcc
	v_cmp_gt_i32_e32 vcc, v4, v23
	v_lshl_add_u64 v[2:3], v[2:3], 0, v[6:7]
	v_mov_b32_e32 v13, s9
	v_cndmask_b32_e64 v8, 0, 1, vcc
	s_waitcnt lgkmcnt(2)
	v_cmp_gt_i32_e32 vcc, v4, v24
	v_lshl_add_u64 v[2:3], v[2:3], 0, v[8:9]
	v_mov_b32_e32 v15, s9
	v_cndmask_b32_e64 v10, 0, 1, vcc
	v_cmp_gt_i32_e32 vcc, v4, v25
	v_lshl_add_u64 v[2:3], v[2:3], 0, v[10:11]
	v_mov_b32_e32 v17, s9
	v_cndmask_b32_e64 v12, 0, 1, vcc
	s_waitcnt lgkmcnt(1)
	v_cmp_gt_i32_e32 vcc, v4, v26
	v_lshl_add_u64 v[2:3], v[2:3], 0, v[12:13]
	;; [unrolled: 9-line block ×3, first 2 shown]
	s_add_i32 s12, s12, 8
	v_cndmask_b32_e64 v18, 0, 1, vcc
	v_cmp_gt_i32_e32 vcc, v4, v29
	s_add_i32 s13, s13, 32
	v_lshl_add_u64 v[2:3], v[2:3], 0, v[18:19]
	v_cndmask_b32_e64 v20, 0, 1, vcc
	s_cmp_eq_u32 s11, s12
	v_lshl_add_u64 v[2:3], v[2:3], 0, v[20:21]
	s_cbranch_scc0 .LBB175_82
; %bb.83:                               ;   in Loop: Header=BB175_80 Depth=1
	s_mov_b32 s12, s11
.LBB175_84:                             ;   in Loop: Header=BB175_80 Depth=1
	s_and_b64 vcc, exec, s[2:3]
	s_cbranch_vccnz .LBB175_79
; %bb.85:                               ;   in Loop: Header=BB175_80 Depth=1
	s_lshl_b32 s12, s12, 2
	s_add_i32 s12, s12, 0
	s_mov_b32 s13, s10
.LBB175_86:                             ;   Parent Loop BB175_80 Depth=1
                                        ; =>  This Inner Loop Header: Depth=2
	v_mov_b32_e32 v5, s12
	ds_read_b32 v5, v5
	v_mov_b32_e32 v7, s9
	s_add_i32 s12, s12, 4
	s_add_i32 s13, s13, -1
	s_cmp_lg_u32 s13, 0
	s_waitcnt lgkmcnt(0)
	v_cmp_gt_i32_e32 vcc, v4, v5
	s_nop 1
	v_cndmask_b32_e64 v6, 0, 1, vcc
	v_lshl_add_u64 v[2:3], v[2:3], 0, v[6:7]
	s_cbranch_scc1 .LBB175_86
	s_branch .LBB175_79
.LBB175_87:
	s_endpgm
	.section	.rodata,"a",@progbits
	.p2align	6, 0x0
	.amdhsa_kernel _ZN9rocsparseL41csrgemm_numeric_fill_block_per_row_kernelILj1024ELj64ELj16384ELj137ELj64ElifEEvT5_PKS1_S3_NS_24const_host_device_scalarIT6_EEPKT4_S3_PKS5_S9_S3_SB_S6_S9_S3_SB_S9_S3_PS5_21rocsparse_index_base_SD_SD_SD_bbb
		.amdhsa_group_segment_fixed_size 0
		.amdhsa_private_segment_fixed_size 0
		.amdhsa_kernarg_size 156
		.amdhsa_user_sgpr_count 2
		.amdhsa_user_sgpr_dispatch_ptr 0
		.amdhsa_user_sgpr_queue_ptr 0
		.amdhsa_user_sgpr_kernarg_segment_ptr 1
		.amdhsa_user_sgpr_dispatch_id 0
		.amdhsa_user_sgpr_kernarg_preload_length 0
		.amdhsa_user_sgpr_kernarg_preload_offset 0
		.amdhsa_user_sgpr_private_segment_size 0
		.amdhsa_uses_dynamic_stack 0
		.amdhsa_enable_private_segment 0
		.amdhsa_system_sgpr_workgroup_id_x 1
		.amdhsa_system_sgpr_workgroup_id_y 0
		.amdhsa_system_sgpr_workgroup_id_z 0
		.amdhsa_system_sgpr_workgroup_info 0
		.amdhsa_system_vgpr_workitem_id 0
		.amdhsa_next_free_vgpr 30
		.amdhsa_next_free_sgpr 61
		.amdhsa_accum_offset 32
		.amdhsa_reserve_vcc 1
		.amdhsa_float_round_mode_32 0
		.amdhsa_float_round_mode_16_64 0
		.amdhsa_float_denorm_mode_32 3
		.amdhsa_float_denorm_mode_16_64 3
		.amdhsa_dx10_clamp 1
		.amdhsa_ieee_mode 1
		.amdhsa_fp16_overflow 0
		.amdhsa_tg_split 0
		.amdhsa_exception_fp_ieee_invalid_op 0
		.amdhsa_exception_fp_denorm_src 0
		.amdhsa_exception_fp_ieee_div_zero 0
		.amdhsa_exception_fp_ieee_overflow 0
		.amdhsa_exception_fp_ieee_underflow 0
		.amdhsa_exception_fp_ieee_inexact 0
		.amdhsa_exception_int_div_zero 0
	.end_amdhsa_kernel
	.section	.text._ZN9rocsparseL41csrgemm_numeric_fill_block_per_row_kernelILj1024ELj64ELj16384ELj137ELj64ElifEEvT5_PKS1_S3_NS_24const_host_device_scalarIT6_EEPKT4_S3_PKS5_S9_S3_SB_S6_S9_S3_SB_S9_S3_PS5_21rocsparse_index_base_SD_SD_SD_bbb,"axG",@progbits,_ZN9rocsparseL41csrgemm_numeric_fill_block_per_row_kernelILj1024ELj64ELj16384ELj137ELj64ElifEEvT5_PKS1_S3_NS_24const_host_device_scalarIT6_EEPKT4_S3_PKS5_S9_S3_SB_S6_S9_S3_SB_S9_S3_PS5_21rocsparse_index_base_SD_SD_SD_bbb,comdat
.Lfunc_end175:
	.size	_ZN9rocsparseL41csrgemm_numeric_fill_block_per_row_kernelILj1024ELj64ELj16384ELj137ELj64ElifEEvT5_PKS1_S3_NS_24const_host_device_scalarIT6_EEPKT4_S3_PKS5_S9_S3_SB_S6_S9_S3_SB_S9_S3_PS5_21rocsparse_index_base_SD_SD_SD_bbb, .Lfunc_end175-_ZN9rocsparseL41csrgemm_numeric_fill_block_per_row_kernelILj1024ELj64ELj16384ELj137ELj64ElifEEvT5_PKS1_S3_NS_24const_host_device_scalarIT6_EEPKT4_S3_PKS5_S9_S3_SB_S6_S9_S3_SB_S9_S3_PS5_21rocsparse_index_base_SD_SD_SD_bbb
                                        ; -- End function
	.set _ZN9rocsparseL41csrgemm_numeric_fill_block_per_row_kernelILj1024ELj64ELj16384ELj137ELj64ElifEEvT5_PKS1_S3_NS_24const_host_device_scalarIT6_EEPKT4_S3_PKS5_S9_S3_SB_S6_S9_S3_SB_S9_S3_PS5_21rocsparse_index_base_SD_SD_SD_bbb.num_vgpr, 30
	.set _ZN9rocsparseL41csrgemm_numeric_fill_block_per_row_kernelILj1024ELj64ELj16384ELj137ELj64ElifEEvT5_PKS1_S3_NS_24const_host_device_scalarIT6_EEPKT4_S3_PKS5_S9_S3_SB_S6_S9_S3_SB_S9_S3_PS5_21rocsparse_index_base_SD_SD_SD_bbb.num_agpr, 0
	.set _ZN9rocsparseL41csrgemm_numeric_fill_block_per_row_kernelILj1024ELj64ELj16384ELj137ELj64ElifEEvT5_PKS1_S3_NS_24const_host_device_scalarIT6_EEPKT4_S3_PKS5_S9_S3_SB_S6_S9_S3_SB_S9_S3_PS5_21rocsparse_index_base_SD_SD_SD_bbb.numbered_sgpr, 61
	.set _ZN9rocsparseL41csrgemm_numeric_fill_block_per_row_kernelILj1024ELj64ELj16384ELj137ELj64ElifEEvT5_PKS1_S3_NS_24const_host_device_scalarIT6_EEPKT4_S3_PKS5_S9_S3_SB_S6_S9_S3_SB_S9_S3_PS5_21rocsparse_index_base_SD_SD_SD_bbb.num_named_barrier, 0
	.set _ZN9rocsparseL41csrgemm_numeric_fill_block_per_row_kernelILj1024ELj64ELj16384ELj137ELj64ElifEEvT5_PKS1_S3_NS_24const_host_device_scalarIT6_EEPKT4_S3_PKS5_S9_S3_SB_S6_S9_S3_SB_S9_S3_PS5_21rocsparse_index_base_SD_SD_SD_bbb.private_seg_size, 0
	.set _ZN9rocsparseL41csrgemm_numeric_fill_block_per_row_kernelILj1024ELj64ELj16384ELj137ELj64ElifEEvT5_PKS1_S3_NS_24const_host_device_scalarIT6_EEPKT4_S3_PKS5_S9_S3_SB_S6_S9_S3_SB_S9_S3_PS5_21rocsparse_index_base_SD_SD_SD_bbb.uses_vcc, 1
	.set _ZN9rocsparseL41csrgemm_numeric_fill_block_per_row_kernelILj1024ELj64ELj16384ELj137ELj64ElifEEvT5_PKS1_S3_NS_24const_host_device_scalarIT6_EEPKT4_S3_PKS5_S9_S3_SB_S6_S9_S3_SB_S9_S3_PS5_21rocsparse_index_base_SD_SD_SD_bbb.uses_flat_scratch, 0
	.set _ZN9rocsparseL41csrgemm_numeric_fill_block_per_row_kernelILj1024ELj64ELj16384ELj137ELj64ElifEEvT5_PKS1_S3_NS_24const_host_device_scalarIT6_EEPKT4_S3_PKS5_S9_S3_SB_S6_S9_S3_SB_S9_S3_PS5_21rocsparse_index_base_SD_SD_SD_bbb.has_dyn_sized_stack, 0
	.set _ZN9rocsparseL41csrgemm_numeric_fill_block_per_row_kernelILj1024ELj64ELj16384ELj137ELj64ElifEEvT5_PKS1_S3_NS_24const_host_device_scalarIT6_EEPKT4_S3_PKS5_S9_S3_SB_S6_S9_S3_SB_S9_S3_PS5_21rocsparse_index_base_SD_SD_SD_bbb.has_recursion, 0
	.set _ZN9rocsparseL41csrgemm_numeric_fill_block_per_row_kernelILj1024ELj64ELj16384ELj137ELj64ElifEEvT5_PKS1_S3_NS_24const_host_device_scalarIT6_EEPKT4_S3_PKS5_S9_S3_SB_S6_S9_S3_SB_S9_S3_PS5_21rocsparse_index_base_SD_SD_SD_bbb.has_indirect_call, 0
	.section	.AMDGPU.csdata,"",@progbits
; Kernel info:
; codeLenInByte = 3264
; TotalNumSgprs: 67
; NumVgprs: 30
; NumAgprs: 0
; TotalNumVgprs: 30
; ScratchSize: 0
; MemoryBound: 0
; FloatMode: 240
; IeeeMode: 1
; LDSByteSize: 0 bytes/workgroup (compile time only)
; SGPRBlocks: 8
; VGPRBlocks: 3
; NumSGPRsForWavesPerEU: 67
; NumVGPRsForWavesPerEU: 30
; AccumOffset: 32
; Occupancy: 8
; WaveLimiterHint : 1
; COMPUTE_PGM_RSRC2:SCRATCH_EN: 0
; COMPUTE_PGM_RSRC2:USER_SGPR: 2
; COMPUTE_PGM_RSRC2:TRAP_HANDLER: 0
; COMPUTE_PGM_RSRC2:TGID_X_EN: 1
; COMPUTE_PGM_RSRC2:TGID_Y_EN: 0
; COMPUTE_PGM_RSRC2:TGID_Z_EN: 0
; COMPUTE_PGM_RSRC2:TIDIG_COMP_CNT: 0
; COMPUTE_PGM_RSRC3_GFX90A:ACCUM_OFFSET: 7
; COMPUTE_PGM_RSRC3_GFX90A:TG_SPLIT: 0
	.section	.text._ZN9rocsparseL41csrgemm_numeric_fill_block_per_row_kernelILj1024ELj64ELj32768ELj137ELj32ElifEEvT5_PKS1_S3_NS_24const_host_device_scalarIT6_EEPKT4_S3_PKS5_S9_S3_SB_S6_S9_S3_SB_S9_S3_PS5_21rocsparse_index_base_SD_SD_SD_bbb,"axG",@progbits,_ZN9rocsparseL41csrgemm_numeric_fill_block_per_row_kernelILj1024ELj64ELj32768ELj137ELj32ElifEEvT5_PKS1_S3_NS_24const_host_device_scalarIT6_EEPKT4_S3_PKS5_S9_S3_SB_S6_S9_S3_SB_S9_S3_PS5_21rocsparse_index_base_SD_SD_SD_bbb,comdat
	.globl	_ZN9rocsparseL41csrgemm_numeric_fill_block_per_row_kernelILj1024ELj64ELj32768ELj137ELj32ElifEEvT5_PKS1_S3_NS_24const_host_device_scalarIT6_EEPKT4_S3_PKS5_S9_S3_SB_S6_S9_S3_SB_S9_S3_PS5_21rocsparse_index_base_SD_SD_SD_bbb ; -- Begin function _ZN9rocsparseL41csrgemm_numeric_fill_block_per_row_kernelILj1024ELj64ELj32768ELj137ELj32ElifEEvT5_PKS1_S3_NS_24const_host_device_scalarIT6_EEPKT4_S3_PKS5_S9_S3_SB_S6_S9_S3_SB_S9_S3_PS5_21rocsparse_index_base_SD_SD_SD_bbb
	.p2align	8
	.type	_ZN9rocsparseL41csrgemm_numeric_fill_block_per_row_kernelILj1024ELj64ELj32768ELj137ELj32ElifEEvT5_PKS1_S3_NS_24const_host_device_scalarIT6_EEPKT4_S3_PKS5_S9_S3_SB_S6_S9_S3_SB_S9_S3_PS5_21rocsparse_index_base_SD_SD_SD_bbb,@function
_ZN9rocsparseL41csrgemm_numeric_fill_block_per_row_kernelILj1024ELj64ELj32768ELj137ELj32ElifEEvT5_PKS1_S3_NS_24const_host_device_scalarIT6_EEPKT4_S3_PKS5_S9_S3_SB_S6_S9_S3_SB_S9_S3_PS5_21rocsparse_index_base_SD_SD_SD_bbb: ; @_ZN9rocsparseL41csrgemm_numeric_fill_block_per_row_kernelILj1024ELj64ELj32768ELj137ELj32ElifEEvT5_PKS1_S3_NS_24const_host_device_scalarIT6_EEPKT4_S3_PKS5_S9_S3_SB_S6_S9_S3_SB_S9_S3_PS5_21rocsparse_index_base_SD_SD_SD_bbb
; %bb.0:
	s_load_dword s3, s[0:1], 0x98
	s_load_dwordx4 s[64:67], s[0:1], 0x88
	s_load_dwordx2 s[4:5], s[0:1], 0x18
	s_load_dwordx2 s[16:17], s[0:1], 0x50
	s_waitcnt lgkmcnt(0)
	s_bitcmp1_b32 s3, 0
	s_cselect_b64 s[6:7], -1, 0
	s_bitcmp1_b32 s3, 16
	s_cselect_b64 s[18:19], -1, 0
	s_xor_b64 s[8:9], s[6:7], -1
	s_or_b64 s[8:9], s[18:19], s[8:9]
	s_and_b64 vcc, exec, s[8:9]
	s_cbranch_vccnz .LBB176_2
; %bb.1:
	s_load_dword s4, s[4:5], 0x0
	s_waitcnt lgkmcnt(0)
	v_mov_b32_e32 v12, s4
	s_branch .LBB176_3
.LBB176_2:
	v_mov_b32_e32 v1, s4
	v_cndmask_b32_e64 v12, 0, v1, s[6:7]
.LBB176_3:
	s_load_dwordx2 s[4:5], s[0:1], 0x80
                                        ; implicit-def: $vgpr30 : SGPR spill to VGPR lane
	s_load_dwordx2 s[28:29], s[0:1], 0x58
	s_load_dwordx4 s[24:27], s[0:1], 0x8
	s_load_dwordx8 s[8:15], s[0:1], 0x20
	s_bitcmp1_b32 s3, 8
	s_waitcnt lgkmcnt(0)
	v_writelane_b32 v30, s4, 0
	s_nop 1
	v_writelane_b32 v30, s5, 1
	s_load_dwordx2 s[4:5], s[0:1], 0x70
	s_waitcnt lgkmcnt(0)
	v_writelane_b32 v30, s4, 2
	s_nop 1
	v_writelane_b32 v30, s5, 3
	s_cselect_b64 s[4:5], -1, 0
	s_xor_b64 s[20:21], s[4:5], -1
	s_or_b64 s[18:19], s[18:19], s[20:21]
	s_and_b64 vcc, exec, s[18:19]
	s_cbranch_vccnz .LBB176_5
; %bb.4:
	s_load_dword s3, s[16:17], 0x0
	s_waitcnt lgkmcnt(0)
	v_mov_b32_e32 v11, s3
	s_branch .LBB176_6
.LBB176_5:
	v_mov_b32_e32 v1, s16
	v_cndmask_b32_e64 v11, 0, v1, s[4:5]
.LBB176_6:
	s_load_dwordx4 s[20:23], s[0:1], 0x40
	s_load_dword s33, s[0:1], 0x0
	s_load_dwordx4 s[16:19], s[0:1], 0x60
	v_or_b32_e32 v1, 0xfffffc00, v0
	v_lshl_add_u32 v10, v0, 2, 0
	s_mov_b64 s[0:1], 0
	s_waitcnt lgkmcnt(0)
	v_mov_b32_e32 v5, s33
	v_mov_b32_e32 v2, 0
	s_movk_i32 s3, 0x7bff
	v_mov_b32_e32 v3, v10
	v_mov_b32_e32 v4, v1
.LBB176_7:                              ; =>This Inner Loop Header: Depth=1
	v_add_u32_e32 v4, 0x400, v4
	v_cmp_lt_u32_e32 vcc, s3, v4
	ds_write_b32 v3, v5
	v_add_u32_e32 v6, 0x20000, v3
	v_add_u32_e32 v3, 0x1000, v3
	s_or_b64 s[0:1], vcc, s[0:1]
	ds_write_b32 v6, v2
	s_andn2_b64 exec, exec, s[0:1]
	s_cbranch_execnz .LBB176_7
; %bb.8:
	s_or_b64 exec, exec, s[0:1]
	s_waitcnt lgkmcnt(0)
	s_barrier
	s_load_dword s0, s[24:25], 0x0
	s_mov_b32 s1, 0
	s_waitcnt lgkmcnt(0)
	s_add_i32 s0, s0, s2
	s_lshl_b64 s[0:1], s[0:1], 2
	s_add_u32 s0, s26, s0
	s_addc_u32 s1, s27, s1
	s_load_dword s42, s[0:1], 0x0
	s_and_b64 vcc, exec, s[6:7]
	s_cbranch_vccz .LBB176_26
; %bb.9:
	s_waitcnt lgkmcnt(0)
	s_ashr_i32 s43, s42, 31
	s_lshl_b64 s[0:1], s[42:43], 3
	s_add_u32 s0, s8, s0
	s_addc_u32 s1, s9, s1
	s_load_dwordx4 s[24:27], s[0:1], 0x0
	v_lshrrev_b32_e32 v2, 6, v0
	v_subrev_co_u32_e32 v2, vcc, s64, v2
	s_waitcnt lgkmcnt(0)
	s_sub_u32 s0, s26, s64
	v_subb_co_u32_e64 v3, s[2:3], 0, 0, vcc
	s_subb_u32 s1, s27, 0
	v_lshl_add_u64 v[2:3], s[24:25], 0, v[2:3]
	v_cmp_gt_i64_e32 vcc, s[0:1], v[2:3]
	s_and_saveexec_b64 s[2:3], vcc
	s_cbranch_execz .LBB176_25
; %bb.10:
	v_and_b32_e32 v4, 63, v0
	v_subrev_co_u32_e32 v4, vcc, s65, v4
	s_mov_b32 s40, s65
	s_nop 0
	v_subb_co_u32_e64 v5, s[6:7], 0, 0, vcc
	s_mov_b64 s[6:7], 0
	s_movk_i32 s41, 0x89
	s_branch .LBB176_12
.LBB176_11:                             ;   in Loop: Header=BB176_12 Depth=1
	s_or_b64 exec, exec, s[8:9]
	v_lshl_add_u64 v[2:3], v[2:3], 0, 16
	v_cmp_le_i64_e32 vcc, s[0:1], v[2:3]
	s_or_b64 s[6:7], vcc, s[6:7]
	s_andn2_b64 exec, exec, s[6:7]
	s_cbranch_execz .LBB176_25
.LBB176_12:                             ; =>This Loop Header: Depth=1
                                        ;     Child Loop BB176_16 Depth 2
                                        ;       Child Loop BB176_19 Depth 3
	v_lshl_add_u64 v[6:7], v[2:3], 2, s[10:11]
	global_load_dword v6, v[6:7], off
	s_waitcnt vmcnt(0)
	v_subrev_u32_e32 v6, s64, v6
	v_ashrrev_i32_e32 v7, 31, v6
	v_lshl_add_u64 v[6:7], v[6:7], 3, s[14:15]
	global_load_dwordx4 v[14:17], v[6:7], off
	s_waitcnt vmcnt(0)
	v_subrev_co_u32_e32 v6, vcc, s40, v16
	s_nop 1
	v_subbrev_co_u32_e32 v7, vcc, 0, v17, vcc
	v_lshl_add_u64 v[8:9], v[14:15], 0, v[4:5]
	v_cmp_lt_i64_e32 vcc, v[8:9], v[6:7]
	s_and_saveexec_b64 s[8:9], vcc
	s_cbranch_execz .LBB176_11
; %bb.13:                               ;   in Loop: Header=BB176_12 Depth=1
	v_lshl_add_u64 v[14:15], v[2:3], 2, s[12:13]
	global_load_dword v13, v[14:15], off
	s_mov_b64 s[24:25], 0
	s_waitcnt vmcnt(0)
	v_mul_f32_e32 v13, v12, v13
	s_branch .LBB176_16
.LBB176_14:                             ;   in Loop: Header=BB176_16 Depth=2
	s_or_b64 exec, exec, s[30:31]
.LBB176_15:                             ;   in Loop: Header=BB176_16 Depth=2
	s_or_b64 exec, exec, s[26:27]
	v_lshl_add_u32 v15, v15, 2, 0
	s_waitcnt vmcnt(0)
	v_mul_f32_e32 v14, v13, v14
	v_add_u32_e32 v15, 0x20000, v15
	ds_add_f32 v15, v14
	v_lshl_add_u64 v[8:9], v[8:9], 0, 64
	v_cmp_ge_i64_e32 vcc, v[8:9], v[6:7]
	s_or_b64 s[24:25], vcc, s[24:25]
	s_andn2_b64 exec, exec, s[24:25]
	s_cbranch_execz .LBB176_11
.LBB176_16:                             ;   Parent Loop BB176_12 Depth=1
                                        ; =>  This Loop Header: Depth=2
                                        ;       Child Loop BB176_19 Depth 3
	v_lshlrev_b64 v[14:15], 2, v[8:9]
	v_lshl_add_u64 v[16:17], s[20:21], 0, v[14:15]
	global_load_dword v16, v[16:17], off
	v_lshl_add_u64 v[14:15], s[22:23], 0, v[14:15]
	global_load_dword v14, v[14:15], off
	s_waitcnt vmcnt(1)
	v_subrev_u32_e32 v16, s65, v16
	v_mul_lo_u32 v15, v16, s41
	v_and_b32_e32 v15, 0x7fff, v15
	v_lshl_add_u32 v17, v15, 2, 0
	ds_read_b32 v18, v17
	s_waitcnt lgkmcnt(0)
	v_cmp_ne_u32_e32 vcc, v18, v16
	s_and_saveexec_b64 s[26:27], vcc
	s_cbranch_execz .LBB176_15
; %bb.17:                               ;   in Loop: Header=BB176_16 Depth=2
	s_mov_b64 s[30:31], 0
	s_branch .LBB176_19
.LBB176_18:                             ;   in Loop: Header=BB176_19 Depth=3
	s_or_b64 exec, exec, s[38:39]
	s_and_b64 s[34:35], exec, s[36:37]
	s_or_b64 s[30:31], s[34:35], s[30:31]
	s_andn2_b64 exec, exec, s[30:31]
	s_cbranch_execz .LBB176_14
.LBB176_19:                             ;   Parent Loop BB176_12 Depth=1
                                        ;     Parent Loop BB176_16 Depth=2
                                        ; =>    This Inner Loop Header: Depth=3
	v_cmp_ne_u32_e32 vcc, s33, v18
	s_mov_b64 s[34:35], 0
	s_and_saveexec_b64 s[36:37], vcc
	s_xor_b64 s[36:37], exec, s[36:37]
	s_cbranch_execz .LBB176_21
; %bb.20:                               ;   in Loop: Header=BB176_19 Depth=3
	v_add_u32_e32 v15, 1, v15
	s_mov_b64 s[34:35], exec
	v_and_b32_e32 v15, 0x7fff, v15
                                        ; implicit-def: $vgpr17
	s_andn2_saveexec_b64 s[36:37], s[36:37]
	s_cbranch_execz .LBB176_23
	s_branch .LBB176_22
.LBB176_21:                             ;   in Loop: Header=BB176_19 Depth=3
	s_andn2_saveexec_b64 s[36:37], s[36:37]
	s_cbranch_execz .LBB176_23
.LBB176_22:                             ;   in Loop: Header=BB176_19 Depth=3
	v_mov_b32_e32 v18, s33
	ds_cmpst_rtn_b32 v17, v17, v18, v16
	s_andn2_b64 s[34:35], s[34:35], exec
	s_waitcnt lgkmcnt(0)
	v_cmp_ne_u32_e32 vcc, s33, v17
	s_and_b64 s[38:39], vcc, exec
	s_or_b64 s[34:35], s[34:35], s[38:39]
.LBB176_23:                             ;   in Loop: Header=BB176_19 Depth=3
	s_or_b64 exec, exec, s[36:37]
	s_mov_b64 s[36:37], -1
                                        ; implicit-def: $vgpr17
                                        ; implicit-def: $vgpr18
	s_and_saveexec_b64 s[38:39], s[34:35]
	s_cbranch_execz .LBB176_18
; %bb.24:                               ;   in Loop: Header=BB176_19 Depth=3
	v_lshl_add_u32 v17, v15, 2, 0
	ds_read_b32 v18, v17
	s_waitcnt lgkmcnt(0)
	v_cmp_eq_u32_e32 vcc, v18, v16
	s_orn2_b64 s[36:37], vcc, exec
	s_branch .LBB176_18
.LBB176_25:
	s_or_b64 exec, exec, s[2:3]
.LBB176_26:
	s_andn2_b64 vcc, exec, s[4:5]
	s_cbranch_vccnz .LBB176_41
; %bb.27:
	s_waitcnt lgkmcnt(0)
	s_ashr_i32 s43, s42, 31
	s_lshl_b64 s[0:1], s[42:43], 3
	s_add_u32 s0, s28, s0
	s_addc_u32 s1, s29, s1
	s_load_dwordx4 s[4:7], s[0:1], 0x0
	v_subrev_co_u32_e32 v2, vcc, s67, v0
	s_nop 1
	v_subb_co_u32_e64 v3, s[0:1], 0, 0, vcc
	s_waitcnt lgkmcnt(0)
	s_sub_u32 s0, s6, s67
	s_subb_u32 s1, s7, 0
	v_lshl_add_u64 v[2:3], s[4:5], 0, v[2:3]
	v_cmp_gt_i64_e32 vcc, s[0:1], v[2:3]
	s_and_saveexec_b64 s[2:3], vcc
	s_cbranch_execz .LBB176_40
; %bb.28:
	s_mov_b64 s[4:5], 0
	s_movk_i32 s22, 0x89
	s_mov_b64 s[6:7], 0x400
	s_branch .LBB176_31
.LBB176_29:                             ;   in Loop: Header=BB176_31 Depth=1
	s_or_b64 exec, exec, s[10:11]
.LBB176_30:                             ;   in Loop: Header=BB176_31 Depth=1
	s_or_b64 exec, exec, s[8:9]
	v_lshl_add_u32 v5, v5, 2, 0
	s_waitcnt vmcnt(0)
	v_mul_f32_e32 v4, v11, v4
	v_add_u32_e32 v5, 0x20000, v5
	ds_add_f32 v5, v4
	v_lshl_add_u64 v[2:3], v[2:3], 0, s[6:7]
	v_cmp_le_i64_e32 vcc, s[0:1], v[2:3]
	s_or_b64 s[4:5], vcc, s[4:5]
	s_andn2_b64 exec, exec, s[4:5]
	s_cbranch_execz .LBB176_40
.LBB176_31:                             ; =>This Loop Header: Depth=1
                                        ;     Child Loop BB176_34 Depth 2
	v_lshlrev_b64 v[4:5], 2, v[2:3]
	v_lshl_add_u64 v[6:7], s[16:17], 0, v[4:5]
	global_load_dword v6, v[6:7], off
	v_lshl_add_u64 v[4:5], s[18:19], 0, v[4:5]
	global_load_dword v4, v[4:5], off
	s_waitcnt vmcnt(1)
	v_subrev_u32_e32 v6, s67, v6
	v_mul_lo_u32 v5, v6, s22
	v_and_b32_e32 v5, 0x7fff, v5
	v_lshl_add_u32 v7, v5, 2, 0
	ds_read_b32 v8, v7
	s_waitcnt lgkmcnt(0)
	v_cmp_ne_u32_e32 vcc, v8, v6
	s_and_saveexec_b64 s[8:9], vcc
	s_cbranch_execz .LBB176_30
; %bb.32:                               ;   in Loop: Header=BB176_31 Depth=1
	s_mov_b64 s[10:11], 0
	s_branch .LBB176_34
.LBB176_33:                             ;   in Loop: Header=BB176_34 Depth=2
	s_or_b64 exec, exec, s[20:21]
	s_and_b64 s[12:13], exec, s[14:15]
	s_or_b64 s[10:11], s[12:13], s[10:11]
	s_andn2_b64 exec, exec, s[10:11]
	s_cbranch_execz .LBB176_29
.LBB176_34:                             ;   Parent Loop BB176_31 Depth=1
                                        ; =>  This Inner Loop Header: Depth=2
	v_cmp_ne_u32_e32 vcc, s33, v8
	s_mov_b64 s[12:13], 0
	s_and_saveexec_b64 s[14:15], vcc
	s_xor_b64 s[14:15], exec, s[14:15]
	s_cbranch_execz .LBB176_36
; %bb.35:                               ;   in Loop: Header=BB176_34 Depth=2
	v_add_u32_e32 v5, 1, v5
	s_mov_b64 s[12:13], exec
	v_and_b32_e32 v5, 0x7fff, v5
                                        ; implicit-def: $vgpr7
	s_andn2_saveexec_b64 s[14:15], s[14:15]
	s_cbranch_execz .LBB176_38
	s_branch .LBB176_37
.LBB176_36:                             ;   in Loop: Header=BB176_34 Depth=2
	s_andn2_saveexec_b64 s[14:15], s[14:15]
	s_cbranch_execz .LBB176_38
.LBB176_37:                             ;   in Loop: Header=BB176_34 Depth=2
	v_mov_b32_e32 v8, s33
	ds_cmpst_rtn_b32 v7, v7, v8, v6
	s_andn2_b64 s[12:13], s[12:13], exec
	s_waitcnt lgkmcnt(0)
	v_cmp_ne_u32_e32 vcc, s33, v7
	s_and_b64 s[20:21], vcc, exec
	s_or_b64 s[12:13], s[12:13], s[20:21]
.LBB176_38:                             ;   in Loop: Header=BB176_34 Depth=2
	s_or_b64 exec, exec, s[14:15]
	s_mov_b64 s[14:15], -1
                                        ; implicit-def: $vgpr7
                                        ; implicit-def: $vgpr8
	s_and_saveexec_b64 s[20:21], s[12:13]
	s_cbranch_execz .LBB176_33
; %bb.39:                               ;   in Loop: Header=BB176_34 Depth=2
	v_lshl_add_u32 v7, v5, 2, 0
	ds_read_b32 v8, v7
	s_waitcnt lgkmcnt(0)
	v_cmp_eq_u32_e32 vcc, v8, v6
	s_orn2_b64 s[14:15], vcc, exec
	s_branch .LBB176_33
.LBB176_40:
	s_or_b64 exec, exec, s[2:3]
.LBB176_41:
	s_waitcnt lgkmcnt(0)
	v_writelane_b32 v30, s42, 4
	s_add_i32 s0, 0, 0x40000
	v_lshrrev_b32_e32 v4, 3, v0
	v_writelane_b32 v30, s43, 5
	v_writelane_b32 v30, s0, 6
	s_add_i32 s60, 0, 0x40004
	v_mbcnt_lo_u32_b32 v2, -1, 0
	v_and_b32_e32 v4, 0x7c, v4
	v_writelane_b32 v30, s60, 7
	s_add_i32 s60, 0, 0x40008
	v_mbcnt_hi_u32_b32 v2, -1, v2
	v_add_u32_e32 v4, s0, v4
	s_movk_i32 s0, 0x3ff
	v_writelane_b32 v30, s60, 8
	s_add_i32 s60, 0, 0x4000c
	v_sub_u32_e32 v2, 63, v2
	v_cmp_eq_u32_e32 vcc, s0, v0
	s_movk_i32 s0, 0x5f
	s_movk_i32 s2, 0x7f
	s_movk_i32 s4, 0x9f
	s_movk_i32 s6, 0xbf
	s_movk_i32 s8, 0xdf
	s_movk_i32 s10, 0xff
	s_movk_i32 s12, 0x11f
	s_movk_i32 s14, 0x13f
	s_movk_i32 s16, 0x15f
	s_movk_i32 s18, 0x17f
	s_movk_i32 s20, 0x19f
	s_movk_i32 s22, 0x1bf
	s_movk_i32 s24, 0x1df
	s_movk_i32 s26, 0x1ff
	s_movk_i32 s28, 0x21f
	s_movk_i32 s30, 0x23f
	s_movk_i32 s34, 0x25f
	s_movk_i32 s36, 0x27f
	s_movk_i32 s38, 0x29f
	s_movk_i32 s40, 0x2bf
	s_movk_i32 s42, 0x2df
	s_movk_i32 s44, 0x2ff
	s_movk_i32 s46, 0x31f
	s_movk_i32 s48, 0x33f
	s_movk_i32 s50, 0x35f
	s_movk_i32 s52, 0x37f
	s_movk_i32 s54, 0x39f
	s_movk_i32 s56, 0x3bf
	s_movk_i32 s58, 0x3df
	v_writelane_b32 v30, s60, 9
	s_add_i32 s60, 0, 0x40014
	v_lshrrev_b64 v[2:3], v2, -1
	v_cmp_lt_u32_e64 s[0:1], s0, v0
	v_cmp_lt_u32_e64 s[2:3], s2, v0
	;; [unrolled: 1-line block ×29, first 2 shown]
	v_mov_b32_e32 v5, 0
	s_add_i32 s79, 0, 0x40010
	v_writelane_b32 v30, s60, 10
	s_add_i32 s82, 0, 0x40018
	s_add_i32 s83, 0, 0x4001c
	;; [unrolled: 1-line block ×26, first 2 shown]
	v_cmp_lt_u32_e64 s[60:61], 31, v0
	v_cmp_lt_u32_e64 s[62:63], 63, v0
	s_mov_b64 s[74:75], 0
	s_barrier
	s_branch .LBB176_43
.LBB176_42:                             ;   in Loop: Header=BB176_43 Depth=1
	s_or_b64 exec, exec, s[64:65]
	v_mov_b32_e32 v6, s78
	s_waitcnt lgkmcnt(0)
	s_barrier
	ds_read_b32 v6, v6
	v_add_u32_e32 v1, 0x400, v1
	s_movk_i32 s64, 0x7bff
	v_cmp_lt_u32_e64 s[64:65], s64, v1
	s_or_b64 s[74:75], s[64:65], s[74:75]
	s_waitcnt lgkmcnt(0)
	v_add_u32_e32 v5, v6, v5
	v_add_u32_e32 v10, 0x1000, v10
	s_andn2_b64 exec, exec, s[74:75]
	s_cbranch_execz .LBB176_109
.LBB176_43:                             ; =>This Inner Loop Header: Depth=1
	ds_read_b32 v7, v10
	v_add_u32_e32 v6, 0x20000, v10
	ds_read_b32 v8, v6
	s_waitcnt lgkmcnt(0)
	s_barrier
	v_cmp_gt_i32_e64 s[64:65], s33, v7
	s_bcnt1_i32_b64 s76, s[64:65]
	s_nop 0
	v_and_b32_e32 v9, s64, v2
	v_and_b32_e32 v6, s65, v3
	v_bcnt_u32_b32 v9, v9, 0
	v_bcnt_u32_b32 v6, v6, v9
	v_mov_b32_e32 v9, s76
	ds_write_b32 v4, v9
	s_waitcnt lgkmcnt(0)
	s_barrier
	s_and_saveexec_b64 s[76:77], s[60:61]
	s_cbranch_execz .LBB176_76
; %bb.44:                               ;   in Loop: Header=BB176_43 Depth=1
	v_readlane_b32 s80, v30, 6
	s_nop 1
	v_mov_b32_e32 v9, s80
	ds_read_b32 v9, v9
	s_waitcnt lgkmcnt(0)
	v_add_u32_e32 v6, v9, v6
	s_or_b64 exec, exec, s[76:77]
	s_and_saveexec_b64 s[76:77], s[62:63]
	s_cbranch_execnz .LBB176_77
.LBB176_45:                             ;   in Loop: Header=BB176_43 Depth=1
	s_or_b64 exec, exec, s[76:77]
	s_and_saveexec_b64 s[76:77], s[0:1]
	s_cbranch_execz .LBB176_78
.LBB176_46:                             ;   in Loop: Header=BB176_43 Depth=1
	v_readlane_b32 s80, v30, 8
	s_nop 1
	v_mov_b32_e32 v9, s80
	ds_read_b32 v9, v9
	s_waitcnt lgkmcnt(0)
	v_add_u32_e32 v6, v9, v6
	s_or_b64 exec, exec, s[76:77]
	s_and_saveexec_b64 s[76:77], s[2:3]
	s_cbranch_execnz .LBB176_79
.LBB176_47:                             ;   in Loop: Header=BB176_43 Depth=1
	s_or_b64 exec, exec, s[76:77]
	s_and_saveexec_b64 s[76:77], s[4:5]
	s_cbranch_execz .LBB176_80
.LBB176_48:                             ;   in Loop: Header=BB176_43 Depth=1
	v_mov_b32_e32 v9, s79
	ds_read_b32 v9, v9
	s_waitcnt lgkmcnt(0)
	v_add_u32_e32 v6, v9, v6
	s_or_b64 exec, exec, s[76:77]
	s_and_saveexec_b64 s[76:77], s[6:7]
	s_cbranch_execnz .LBB176_81
.LBB176_49:                             ;   in Loop: Header=BB176_43 Depth=1
	s_or_b64 exec, exec, s[76:77]
	s_and_saveexec_b64 s[76:77], s[8:9]
	s_cbranch_execz .LBB176_82
.LBB176_50:                             ;   in Loop: Header=BB176_43 Depth=1
	v_mov_b32_e32 v9, s82
	ds_read_b32 v9, v9
	s_waitcnt lgkmcnt(0)
	v_add_u32_e32 v6, v9, v6
	s_or_b64 exec, exec, s[76:77]
	s_and_saveexec_b64 s[76:77], s[10:11]
	s_cbranch_execnz .LBB176_83
.LBB176_51:                             ;   in Loop: Header=BB176_43 Depth=1
	s_or_b64 exec, exec, s[76:77]
	s_and_saveexec_b64 s[76:77], s[12:13]
	s_cbranch_execz .LBB176_84
.LBB176_52:                             ;   in Loop: Header=BB176_43 Depth=1
	v_mov_b32_e32 v9, s84
	ds_read_b32 v9, v9
	s_waitcnt lgkmcnt(0)
	v_add_u32_e32 v6, v9, v6
	s_or_b64 exec, exec, s[76:77]
	s_and_saveexec_b64 s[76:77], s[14:15]
	s_cbranch_execnz .LBB176_85
.LBB176_53:                             ;   in Loop: Header=BB176_43 Depth=1
	s_or_b64 exec, exec, s[76:77]
	s_and_saveexec_b64 s[76:77], s[16:17]
	s_cbranch_execz .LBB176_86
.LBB176_54:                             ;   in Loop: Header=BB176_43 Depth=1
	v_mov_b32_e32 v9, s86
	ds_read_b32 v9, v9
	s_waitcnt lgkmcnt(0)
	v_add_u32_e32 v6, v9, v6
	s_or_b64 exec, exec, s[76:77]
	s_and_saveexec_b64 s[76:77], s[18:19]
	s_cbranch_execnz .LBB176_87
.LBB176_55:                             ;   in Loop: Header=BB176_43 Depth=1
	s_or_b64 exec, exec, s[76:77]
	s_and_saveexec_b64 s[76:77], s[20:21]
	s_cbranch_execz .LBB176_88
.LBB176_56:                             ;   in Loop: Header=BB176_43 Depth=1
	v_mov_b32_e32 v9, s88
	ds_read_b32 v9, v9
	s_waitcnt lgkmcnt(0)
	v_add_u32_e32 v6, v9, v6
	s_or_b64 exec, exec, s[76:77]
	s_and_saveexec_b64 s[76:77], s[22:23]
	s_cbranch_execnz .LBB176_89
.LBB176_57:                             ;   in Loop: Header=BB176_43 Depth=1
	s_or_b64 exec, exec, s[76:77]
	s_and_saveexec_b64 s[76:77], s[24:25]
	s_cbranch_execz .LBB176_90
.LBB176_58:                             ;   in Loop: Header=BB176_43 Depth=1
	v_mov_b32_e32 v9, s90
	ds_read_b32 v9, v9
	s_waitcnt lgkmcnt(0)
	v_add_u32_e32 v6, v9, v6
	s_or_b64 exec, exec, s[76:77]
	s_and_saveexec_b64 s[76:77], s[26:27]
	s_cbranch_execnz .LBB176_91
.LBB176_59:                             ;   in Loop: Header=BB176_43 Depth=1
	s_or_b64 exec, exec, s[76:77]
	s_and_saveexec_b64 s[76:77], s[28:29]
	s_cbranch_execz .LBB176_92
.LBB176_60:                             ;   in Loop: Header=BB176_43 Depth=1
	v_mov_b32_e32 v9, s92
	ds_read_b32 v9, v9
	s_waitcnt lgkmcnt(0)
	v_add_u32_e32 v6, v9, v6
	s_or_b64 exec, exec, s[76:77]
	s_and_saveexec_b64 s[76:77], s[30:31]
	s_cbranch_execnz .LBB176_93
.LBB176_61:                             ;   in Loop: Header=BB176_43 Depth=1
	s_or_b64 exec, exec, s[76:77]
	s_and_saveexec_b64 s[76:77], s[34:35]
	s_cbranch_execz .LBB176_94
.LBB176_62:                             ;   in Loop: Header=BB176_43 Depth=1
	v_mov_b32_e32 v9, s94
	ds_read_b32 v9, v9
	s_waitcnt lgkmcnt(0)
	v_add_u32_e32 v6, v9, v6
	s_or_b64 exec, exec, s[76:77]
	s_and_saveexec_b64 s[76:77], s[36:37]
	s_cbranch_execnz .LBB176_95
.LBB176_63:                             ;   in Loop: Header=BB176_43 Depth=1
	s_or_b64 exec, exec, s[76:77]
	s_and_saveexec_b64 s[76:77], s[38:39]
	s_cbranch_execz .LBB176_96
.LBB176_64:                             ;   in Loop: Header=BB176_43 Depth=1
	v_mov_b32_e32 v9, s96
	ds_read_b32 v9, v9
	s_waitcnt lgkmcnt(0)
	v_add_u32_e32 v6, v9, v6
	s_or_b64 exec, exec, s[76:77]
	s_and_saveexec_b64 s[76:77], s[40:41]
	s_cbranch_execnz .LBB176_97
.LBB176_65:                             ;   in Loop: Header=BB176_43 Depth=1
	s_or_b64 exec, exec, s[76:77]
	s_and_saveexec_b64 s[76:77], s[42:43]
	s_cbranch_execz .LBB176_98
.LBB176_66:                             ;   in Loop: Header=BB176_43 Depth=1
	v_mov_b32_e32 v9, s98
	ds_read_b32 v9, v9
	s_waitcnt lgkmcnt(0)
	v_add_u32_e32 v6, v9, v6
	s_or_b64 exec, exec, s[76:77]
	s_and_saveexec_b64 s[76:77], s[44:45]
	s_cbranch_execnz .LBB176_99
.LBB176_67:                             ;   in Loop: Header=BB176_43 Depth=1
	s_or_b64 exec, exec, s[76:77]
	s_and_saveexec_b64 s[76:77], s[46:47]
	s_cbranch_execz .LBB176_100
.LBB176_68:                             ;   in Loop: Header=BB176_43 Depth=1
	v_mov_b32_e32 v9, s70
	ds_read_b32 v9, v9
	s_waitcnt lgkmcnt(0)
	v_add_u32_e32 v6, v9, v6
	s_or_b64 exec, exec, s[76:77]
	s_and_saveexec_b64 s[76:77], s[48:49]
	s_cbranch_execnz .LBB176_101
.LBB176_69:                             ;   in Loop: Header=BB176_43 Depth=1
	s_or_b64 exec, exec, s[76:77]
	s_and_saveexec_b64 s[76:77], s[50:51]
	s_cbranch_execz .LBB176_102
.LBB176_70:                             ;   in Loop: Header=BB176_43 Depth=1
	v_mov_b32_e32 v9, s72
	ds_read_b32 v9, v9
	s_waitcnt lgkmcnt(0)
	v_add_u32_e32 v6, v9, v6
	s_or_b64 exec, exec, s[76:77]
	s_and_saveexec_b64 s[76:77], s[52:53]
	s_cbranch_execnz .LBB176_103
.LBB176_71:                             ;   in Loop: Header=BB176_43 Depth=1
	s_or_b64 exec, exec, s[76:77]
	s_and_saveexec_b64 s[76:77], s[54:55]
	s_cbranch_execz .LBB176_104
.LBB176_72:                             ;   in Loop: Header=BB176_43 Depth=1
	v_mov_b32_e32 v9, s69
	ds_read_b32 v9, v9
	s_waitcnt lgkmcnt(0)
	v_add_u32_e32 v6, v9, v6
	s_or_b64 exec, exec, s[76:77]
	s_and_saveexec_b64 s[76:77], s[56:57]
	s_cbranch_execnz .LBB176_105
.LBB176_73:                             ;   in Loop: Header=BB176_43 Depth=1
	s_or_b64 exec, exec, s[76:77]
	s_and_saveexec_b64 s[76:77], s[58:59]
	s_cbranch_execz .LBB176_106
.LBB176_74:                             ;   in Loop: Header=BB176_43 Depth=1
	v_mov_b32_e32 v9, s73
	ds_read_b32 v9, v9
	s_waitcnt lgkmcnt(0)
	v_add_u32_e32 v6, v9, v6
	s_or_b64 exec, exec, s[76:77]
	s_and_saveexec_b64 s[76:77], s[64:65]
	s_cbranch_execnz .LBB176_107
.LBB176_75:                             ;   in Loop: Header=BB176_43 Depth=1
	s_or_b64 exec, exec, s[76:77]
	s_and_saveexec_b64 s[64:65], vcc
	s_cbranch_execz .LBB176_42
	s_branch .LBB176_108
.LBB176_76:                             ;   in Loop: Header=BB176_43 Depth=1
	s_or_b64 exec, exec, s[76:77]
	s_and_saveexec_b64 s[76:77], s[62:63]
	s_cbranch_execz .LBB176_45
.LBB176_77:                             ;   in Loop: Header=BB176_43 Depth=1
	v_readlane_b32 s80, v30, 7
	s_nop 1
	v_mov_b32_e32 v9, s80
	ds_read_b32 v9, v9
	s_waitcnt lgkmcnt(0)
	v_add_u32_e32 v6, v9, v6
	s_or_b64 exec, exec, s[76:77]
	s_and_saveexec_b64 s[76:77], s[0:1]
	s_cbranch_execnz .LBB176_46
.LBB176_78:                             ;   in Loop: Header=BB176_43 Depth=1
	s_or_b64 exec, exec, s[76:77]
	s_and_saveexec_b64 s[76:77], s[2:3]
	s_cbranch_execz .LBB176_47
.LBB176_79:                             ;   in Loop: Header=BB176_43 Depth=1
	v_readlane_b32 s80, v30, 9
	s_nop 1
	v_mov_b32_e32 v9, s80
	ds_read_b32 v9, v9
	s_waitcnt lgkmcnt(0)
	v_add_u32_e32 v6, v9, v6
	s_or_b64 exec, exec, s[76:77]
	s_and_saveexec_b64 s[76:77], s[4:5]
	s_cbranch_execnz .LBB176_48
.LBB176_80:                             ;   in Loop: Header=BB176_43 Depth=1
	s_or_b64 exec, exec, s[76:77]
	s_and_saveexec_b64 s[76:77], s[6:7]
	s_cbranch_execz .LBB176_49
.LBB176_81:                             ;   in Loop: Header=BB176_43 Depth=1
	v_readlane_b32 s80, v30, 10
	s_nop 1
	v_mov_b32_e32 v9, s80
	ds_read_b32 v9, v9
	s_waitcnt lgkmcnt(0)
	v_add_u32_e32 v6, v9, v6
	s_or_b64 exec, exec, s[76:77]
	s_and_saveexec_b64 s[76:77], s[8:9]
	s_cbranch_execnz .LBB176_50
.LBB176_82:                             ;   in Loop: Header=BB176_43 Depth=1
	s_or_b64 exec, exec, s[76:77]
	s_and_saveexec_b64 s[76:77], s[10:11]
	s_cbranch_execz .LBB176_51
.LBB176_83:                             ;   in Loop: Header=BB176_43 Depth=1
	v_mov_b32_e32 v9, s83
	ds_read_b32 v9, v9
	s_waitcnt lgkmcnt(0)
	v_add_u32_e32 v6, v9, v6
	s_or_b64 exec, exec, s[76:77]
	s_and_saveexec_b64 s[76:77], s[12:13]
	s_cbranch_execnz .LBB176_52
.LBB176_84:                             ;   in Loop: Header=BB176_43 Depth=1
	s_or_b64 exec, exec, s[76:77]
	s_and_saveexec_b64 s[76:77], s[14:15]
	s_cbranch_execz .LBB176_53
.LBB176_85:                             ;   in Loop: Header=BB176_43 Depth=1
	v_mov_b32_e32 v9, s85
	ds_read_b32 v9, v9
	s_waitcnt lgkmcnt(0)
	v_add_u32_e32 v6, v9, v6
	s_or_b64 exec, exec, s[76:77]
	s_and_saveexec_b64 s[76:77], s[16:17]
	s_cbranch_execnz .LBB176_54
.LBB176_86:                             ;   in Loop: Header=BB176_43 Depth=1
	s_or_b64 exec, exec, s[76:77]
	s_and_saveexec_b64 s[76:77], s[18:19]
	s_cbranch_execz .LBB176_55
.LBB176_87:                             ;   in Loop: Header=BB176_43 Depth=1
	v_mov_b32_e32 v9, s87
	ds_read_b32 v9, v9
	s_waitcnt lgkmcnt(0)
	v_add_u32_e32 v6, v9, v6
	s_or_b64 exec, exec, s[76:77]
	s_and_saveexec_b64 s[76:77], s[20:21]
	s_cbranch_execnz .LBB176_56
.LBB176_88:                             ;   in Loop: Header=BB176_43 Depth=1
	s_or_b64 exec, exec, s[76:77]
	s_and_saveexec_b64 s[76:77], s[22:23]
	s_cbranch_execz .LBB176_57
.LBB176_89:                             ;   in Loop: Header=BB176_43 Depth=1
	v_mov_b32_e32 v9, s89
	ds_read_b32 v9, v9
	s_waitcnt lgkmcnt(0)
	v_add_u32_e32 v6, v9, v6
	s_or_b64 exec, exec, s[76:77]
	s_and_saveexec_b64 s[76:77], s[24:25]
	s_cbranch_execnz .LBB176_58
.LBB176_90:                             ;   in Loop: Header=BB176_43 Depth=1
	s_or_b64 exec, exec, s[76:77]
	s_and_saveexec_b64 s[76:77], s[26:27]
	s_cbranch_execz .LBB176_59
.LBB176_91:                             ;   in Loop: Header=BB176_43 Depth=1
	v_mov_b32_e32 v9, s91
	ds_read_b32 v9, v9
	s_waitcnt lgkmcnt(0)
	v_add_u32_e32 v6, v9, v6
	s_or_b64 exec, exec, s[76:77]
	s_and_saveexec_b64 s[76:77], s[28:29]
	s_cbranch_execnz .LBB176_60
.LBB176_92:                             ;   in Loop: Header=BB176_43 Depth=1
	s_or_b64 exec, exec, s[76:77]
	s_and_saveexec_b64 s[76:77], s[30:31]
	s_cbranch_execz .LBB176_61
.LBB176_93:                             ;   in Loop: Header=BB176_43 Depth=1
	v_mov_b32_e32 v9, s93
	ds_read_b32 v9, v9
	s_waitcnt lgkmcnt(0)
	v_add_u32_e32 v6, v9, v6
	s_or_b64 exec, exec, s[76:77]
	s_and_saveexec_b64 s[76:77], s[34:35]
	s_cbranch_execnz .LBB176_62
.LBB176_94:                             ;   in Loop: Header=BB176_43 Depth=1
	s_or_b64 exec, exec, s[76:77]
	s_and_saveexec_b64 s[76:77], s[36:37]
	s_cbranch_execz .LBB176_63
.LBB176_95:                             ;   in Loop: Header=BB176_43 Depth=1
	v_mov_b32_e32 v9, s95
	ds_read_b32 v9, v9
	s_waitcnt lgkmcnt(0)
	v_add_u32_e32 v6, v9, v6
	s_or_b64 exec, exec, s[76:77]
	s_and_saveexec_b64 s[76:77], s[38:39]
	s_cbranch_execnz .LBB176_64
.LBB176_96:                             ;   in Loop: Header=BB176_43 Depth=1
	s_or_b64 exec, exec, s[76:77]
	s_and_saveexec_b64 s[76:77], s[40:41]
	s_cbranch_execz .LBB176_65
.LBB176_97:                             ;   in Loop: Header=BB176_43 Depth=1
	v_mov_b32_e32 v9, s97
	ds_read_b32 v9, v9
	s_waitcnt lgkmcnt(0)
	v_add_u32_e32 v6, v9, v6
	s_or_b64 exec, exec, s[76:77]
	s_and_saveexec_b64 s[76:77], s[42:43]
	s_cbranch_execnz .LBB176_66
.LBB176_98:                             ;   in Loop: Header=BB176_43 Depth=1
	s_or_b64 exec, exec, s[76:77]
	s_and_saveexec_b64 s[76:77], s[44:45]
	s_cbranch_execz .LBB176_67
.LBB176_99:                             ;   in Loop: Header=BB176_43 Depth=1
	v_mov_b32_e32 v9, s99
	ds_read_b32 v9, v9
	s_waitcnt lgkmcnt(0)
	v_add_u32_e32 v6, v9, v6
	s_or_b64 exec, exec, s[76:77]
	s_and_saveexec_b64 s[76:77], s[46:47]
	s_cbranch_execnz .LBB176_68
.LBB176_100:                            ;   in Loop: Header=BB176_43 Depth=1
	s_or_b64 exec, exec, s[76:77]
	s_and_saveexec_b64 s[76:77], s[48:49]
	s_cbranch_execz .LBB176_69
.LBB176_101:                            ;   in Loop: Header=BB176_43 Depth=1
	v_mov_b32_e32 v9, s71
	ds_read_b32 v9, v9
	s_waitcnt lgkmcnt(0)
	v_add_u32_e32 v6, v9, v6
	s_or_b64 exec, exec, s[76:77]
	s_and_saveexec_b64 s[76:77], s[50:51]
	s_cbranch_execnz .LBB176_70
.LBB176_102:                            ;   in Loop: Header=BB176_43 Depth=1
	s_or_b64 exec, exec, s[76:77]
	s_and_saveexec_b64 s[76:77], s[52:53]
	s_cbranch_execz .LBB176_71
.LBB176_103:                            ;   in Loop: Header=BB176_43 Depth=1
	v_mov_b32_e32 v9, s68
	ds_read_b32 v9, v9
	s_waitcnt lgkmcnt(0)
	v_add_u32_e32 v6, v9, v6
	s_or_b64 exec, exec, s[76:77]
	s_and_saveexec_b64 s[76:77], s[54:55]
	s_cbranch_execnz .LBB176_72
.LBB176_104:                            ;   in Loop: Header=BB176_43 Depth=1
	s_or_b64 exec, exec, s[76:77]
	s_and_saveexec_b64 s[76:77], s[56:57]
	s_cbranch_execz .LBB176_73
.LBB176_105:                            ;   in Loop: Header=BB176_43 Depth=1
	v_mov_b32_e32 v9, s67
	ds_read_b32 v9, v9
	s_waitcnt lgkmcnt(0)
	v_add_u32_e32 v6, v9, v6
	s_or_b64 exec, exec, s[76:77]
	s_and_saveexec_b64 s[76:77], s[58:59]
	s_cbranch_execnz .LBB176_74
.LBB176_106:                            ;   in Loop: Header=BB176_43 Depth=1
	s_or_b64 exec, exec, s[76:77]
	s_and_saveexec_b64 s[76:77], s[64:65]
	s_cbranch_execz .LBB176_75
.LBB176_107:                            ;   in Loop: Header=BB176_43 Depth=1
	v_add3_u32 v9, v5, -1, v6
	v_lshl_add_u32 v9, v9, 2, 0
	v_add_u32_e32 v11, 0x20000, v9
	ds_write_b32 v9, v7
	ds_write_b32 v11, v8
	s_or_b64 exec, exec, s[76:77]
	s_and_saveexec_b64 s[64:65], vcc
	s_cbranch_execz .LBB176_42
.LBB176_108:                            ;   in Loop: Header=BB176_43 Depth=1
	v_mov_b32_e32 v7, s78
	ds_write_b32 v7, v6
	s_branch .LBB176_42
.LBB176_109:
	s_or_b64 exec, exec, s[74:75]
	v_readlane_b32 s0, v30, 4
	v_readlane_b32 s1, v30, 5
	s_ashr_i32 s1, s0, 31
	s_lshl_b64 s[0:1], s[0:1], 3
	v_readlane_b32 s2, v30, 2
	v_readlane_b32 s3, v30, 3
	s_add_u32 s4, s2, s0
	s_addc_u32 s5, s3, s1
	s_load_dwordx4 s[0:3], s[4:5], 0x0
	s_waitcnt lgkmcnt(0)
	s_sub_i32 s8, s2, s0
	v_cmp_gt_i32_e32 vcc, s8, v0
	s_and_saveexec_b64 s[4:5], vcc
	s_cbranch_execz .LBB176_119
; %bb.110:
	s_sub_u32 s4, s0, s66
	s_subb_u32 s5, s1, 0
	s_and_b32 s10, s8, 7
	s_sub_i32 s0, s0, s2
	s_cmp_lt_u32 s0, -7
	s_cselect_b64 s[0:1], -1, 0
	s_and_b32 s11, s8, -8
	s_cmp_lg_u32 s10, 0
	v_cndmask_b32_e64 v1, 0, 1, s[0:1]
	s_cselect_b64 s[2:3], -1, 0
	v_cmp_ne_u32_e64 s[0:1], 1, v1
	v_cndmask_b32_e64 v1, 0, 1, s[2:3]
	s_mov_b32 s9, 0
	s_mov_b64 s[6:7], 0
	v_cmp_ne_u32_e64 s[2:3], 1, v1
	s_branch .LBB176_112
.LBB176_111:                            ;   in Loop: Header=BB176_112 Depth=1
	v_readlane_b32 s12, v30, 0
	v_add_u32_e32 v0, 0x400, v0
	v_readlane_b32 s13, v30, 1
	v_cmp_le_i32_e32 vcc, s8, v0
	s_or_b64 s[6:7], vcc, s[6:7]
	v_lshl_add_u64 v[2:3], v[2:3], 2, s[12:13]
	s_waitcnt lgkmcnt(0)
	global_store_dword v[2:3], v1, off
	s_andn2_b64 exec, exec, s[6:7]
	s_cbranch_execz .LBB176_119
.LBB176_112:                            ; =>This Loop Header: Depth=1
                                        ;     Child Loop BB176_114 Depth 2
                                        ;     Child Loop BB176_118 Depth 2
	v_lshl_add_u32 v1, v0, 2, 0
	v_add_u32_e32 v2, 0x20000, v1
	ds_read_b32 v4, v1
	ds_read_b32 v1, v2
	s_and_b64 vcc, exec, s[0:1]
	v_mov_b64_e32 v[2:3], s[4:5]
	s_mov_b32 s12, 0
	s_cbranch_vccnz .LBB176_116
; %bb.113:                              ;   in Loop: Header=BB176_112 Depth=1
	s_mov_b32 s13, 0
	v_mov_b64_e32 v[2:3], s[4:5]
.LBB176_114:                            ;   Parent Loop BB176_112 Depth=1
                                        ; =>  This Inner Loop Header: Depth=2
	v_mov_b32_e32 v5, s13
	ds_read2_b32 v[22:23], v5 offset1:1
	ds_read2_b32 v[24:25], v5 offset0:2 offset1:3
	ds_read2_b32 v[26:27], v5 offset0:4 offset1:5
	;; [unrolled: 1-line block ×3, first 2 shown]
	v_mov_b32_e32 v7, s9
	s_waitcnt lgkmcnt(3)
	v_cmp_gt_i32_e32 vcc, v4, v22
	v_mov_b32_e32 v9, s9
	v_mov_b32_e32 v11, s9
	v_cndmask_b32_e64 v6, 0, 1, vcc
	v_cmp_gt_i32_e32 vcc, v4, v23
	v_lshl_add_u64 v[2:3], v[2:3], 0, v[6:7]
	v_mov_b32_e32 v13, s9
	v_cndmask_b32_e64 v8, 0, 1, vcc
	s_waitcnt lgkmcnt(2)
	v_cmp_gt_i32_e32 vcc, v4, v24
	v_lshl_add_u64 v[2:3], v[2:3], 0, v[8:9]
	v_mov_b32_e32 v15, s9
	v_cndmask_b32_e64 v10, 0, 1, vcc
	v_cmp_gt_i32_e32 vcc, v4, v25
	v_lshl_add_u64 v[2:3], v[2:3], 0, v[10:11]
	v_mov_b32_e32 v17, s9
	v_cndmask_b32_e64 v12, 0, 1, vcc
	s_waitcnt lgkmcnt(1)
	v_cmp_gt_i32_e32 vcc, v4, v26
	v_lshl_add_u64 v[2:3], v[2:3], 0, v[12:13]
	;; [unrolled: 9-line block ×3, first 2 shown]
	s_add_i32 s12, s12, 8
	v_cndmask_b32_e64 v18, 0, 1, vcc
	v_cmp_gt_i32_e32 vcc, v4, v29
	s_add_i32 s13, s13, 32
	v_lshl_add_u64 v[2:3], v[2:3], 0, v[18:19]
	v_cndmask_b32_e64 v20, 0, 1, vcc
	s_cmp_eq_u32 s11, s12
	v_lshl_add_u64 v[2:3], v[2:3], 0, v[20:21]
	s_cbranch_scc0 .LBB176_114
; %bb.115:                              ;   in Loop: Header=BB176_112 Depth=1
	s_mov_b32 s12, s11
.LBB176_116:                            ;   in Loop: Header=BB176_112 Depth=1
	s_and_b64 vcc, exec, s[2:3]
	s_cbranch_vccnz .LBB176_111
; %bb.117:                              ;   in Loop: Header=BB176_112 Depth=1
	s_lshl_b32 s12, s12, 2
	s_add_i32 s12, s12, 0
	s_mov_b32 s13, s10
.LBB176_118:                            ;   Parent Loop BB176_112 Depth=1
                                        ; =>  This Inner Loop Header: Depth=2
	v_mov_b32_e32 v5, s12
	ds_read_b32 v5, v5
	v_mov_b32_e32 v7, s9
	s_add_i32 s12, s12, 4
	s_add_i32 s13, s13, -1
	s_cmp_lg_u32 s13, 0
	s_waitcnt lgkmcnt(0)
	v_cmp_gt_i32_e32 vcc, v4, v5
	s_nop 1
	v_cndmask_b32_e64 v6, 0, 1, vcc
	v_lshl_add_u64 v[2:3], v[2:3], 0, v[6:7]
	s_cbranch_scc1 .LBB176_118
	s_branch .LBB176_111
.LBB176_119:
	s_endpgm
	.section	.rodata,"a",@progbits
	.p2align	6, 0x0
	.amdhsa_kernel _ZN9rocsparseL41csrgemm_numeric_fill_block_per_row_kernelILj1024ELj64ELj32768ELj137ELj32ElifEEvT5_PKS1_S3_NS_24const_host_device_scalarIT6_EEPKT4_S3_PKS5_S9_S3_SB_S6_S9_S3_SB_S9_S3_PS5_21rocsparse_index_base_SD_SD_SD_bbb
		.amdhsa_group_segment_fixed_size 0
		.amdhsa_private_segment_fixed_size 0
		.amdhsa_kernarg_size 156
		.amdhsa_user_sgpr_count 2
		.amdhsa_user_sgpr_dispatch_ptr 0
		.amdhsa_user_sgpr_queue_ptr 0
		.amdhsa_user_sgpr_kernarg_segment_ptr 1
		.amdhsa_user_sgpr_dispatch_id 0
		.amdhsa_user_sgpr_kernarg_preload_length 0
		.amdhsa_user_sgpr_kernarg_preload_offset 0
		.amdhsa_user_sgpr_private_segment_size 0
		.amdhsa_uses_dynamic_stack 0
		.amdhsa_enable_private_segment 0
		.amdhsa_system_sgpr_workgroup_id_x 1
		.amdhsa_system_sgpr_workgroup_id_y 0
		.amdhsa_system_sgpr_workgroup_id_z 0
		.amdhsa_system_sgpr_workgroup_info 0
		.amdhsa_system_vgpr_workitem_id 0
		.amdhsa_next_free_vgpr 31
		.amdhsa_next_free_sgpr 100
		.amdhsa_accum_offset 32
		.amdhsa_reserve_vcc 1
		.amdhsa_float_round_mode_32 0
		.amdhsa_float_round_mode_16_64 0
		.amdhsa_float_denorm_mode_32 3
		.amdhsa_float_denorm_mode_16_64 3
		.amdhsa_dx10_clamp 1
		.amdhsa_ieee_mode 1
		.amdhsa_fp16_overflow 0
		.amdhsa_tg_split 0
		.amdhsa_exception_fp_ieee_invalid_op 0
		.amdhsa_exception_fp_denorm_src 0
		.amdhsa_exception_fp_ieee_div_zero 0
		.amdhsa_exception_fp_ieee_overflow 0
		.amdhsa_exception_fp_ieee_underflow 0
		.amdhsa_exception_fp_ieee_inexact 0
		.amdhsa_exception_int_div_zero 0
	.end_amdhsa_kernel
	.section	.text._ZN9rocsparseL41csrgemm_numeric_fill_block_per_row_kernelILj1024ELj64ELj32768ELj137ELj32ElifEEvT5_PKS1_S3_NS_24const_host_device_scalarIT6_EEPKT4_S3_PKS5_S9_S3_SB_S6_S9_S3_SB_S9_S3_PS5_21rocsparse_index_base_SD_SD_SD_bbb,"axG",@progbits,_ZN9rocsparseL41csrgemm_numeric_fill_block_per_row_kernelILj1024ELj64ELj32768ELj137ELj32ElifEEvT5_PKS1_S3_NS_24const_host_device_scalarIT6_EEPKT4_S3_PKS5_S9_S3_SB_S6_S9_S3_SB_S9_S3_PS5_21rocsparse_index_base_SD_SD_SD_bbb,comdat
.Lfunc_end176:
	.size	_ZN9rocsparseL41csrgemm_numeric_fill_block_per_row_kernelILj1024ELj64ELj32768ELj137ELj32ElifEEvT5_PKS1_S3_NS_24const_host_device_scalarIT6_EEPKT4_S3_PKS5_S9_S3_SB_S6_S9_S3_SB_S9_S3_PS5_21rocsparse_index_base_SD_SD_SD_bbb, .Lfunc_end176-_ZN9rocsparseL41csrgemm_numeric_fill_block_per_row_kernelILj1024ELj64ELj32768ELj137ELj32ElifEEvT5_PKS1_S3_NS_24const_host_device_scalarIT6_EEPKT4_S3_PKS5_S9_S3_SB_S6_S9_S3_SB_S9_S3_PS5_21rocsparse_index_base_SD_SD_SD_bbb
                                        ; -- End function
	.set _ZN9rocsparseL41csrgemm_numeric_fill_block_per_row_kernelILj1024ELj64ELj32768ELj137ELj32ElifEEvT5_PKS1_S3_NS_24const_host_device_scalarIT6_EEPKT4_S3_PKS5_S9_S3_SB_S6_S9_S3_SB_S9_S3_PS5_21rocsparse_index_base_SD_SD_SD_bbb.num_vgpr, 31
	.set _ZN9rocsparseL41csrgemm_numeric_fill_block_per_row_kernelILj1024ELj64ELj32768ELj137ELj32ElifEEvT5_PKS1_S3_NS_24const_host_device_scalarIT6_EEPKT4_S3_PKS5_S9_S3_SB_S6_S9_S3_SB_S9_S3_PS5_21rocsparse_index_base_SD_SD_SD_bbb.num_agpr, 0
	.set _ZN9rocsparseL41csrgemm_numeric_fill_block_per_row_kernelILj1024ELj64ELj32768ELj137ELj32ElifEEvT5_PKS1_S3_NS_24const_host_device_scalarIT6_EEPKT4_S3_PKS5_S9_S3_SB_S6_S9_S3_SB_S9_S3_PS5_21rocsparse_index_base_SD_SD_SD_bbb.numbered_sgpr, 100
	.set _ZN9rocsparseL41csrgemm_numeric_fill_block_per_row_kernelILj1024ELj64ELj32768ELj137ELj32ElifEEvT5_PKS1_S3_NS_24const_host_device_scalarIT6_EEPKT4_S3_PKS5_S9_S3_SB_S6_S9_S3_SB_S9_S3_PS5_21rocsparse_index_base_SD_SD_SD_bbb.num_named_barrier, 0
	.set _ZN9rocsparseL41csrgemm_numeric_fill_block_per_row_kernelILj1024ELj64ELj32768ELj137ELj32ElifEEvT5_PKS1_S3_NS_24const_host_device_scalarIT6_EEPKT4_S3_PKS5_S9_S3_SB_S6_S9_S3_SB_S9_S3_PS5_21rocsparse_index_base_SD_SD_SD_bbb.private_seg_size, 0
	.set _ZN9rocsparseL41csrgemm_numeric_fill_block_per_row_kernelILj1024ELj64ELj32768ELj137ELj32ElifEEvT5_PKS1_S3_NS_24const_host_device_scalarIT6_EEPKT4_S3_PKS5_S9_S3_SB_S6_S9_S3_SB_S9_S3_PS5_21rocsparse_index_base_SD_SD_SD_bbb.uses_vcc, 1
	.set _ZN9rocsparseL41csrgemm_numeric_fill_block_per_row_kernelILj1024ELj64ELj32768ELj137ELj32ElifEEvT5_PKS1_S3_NS_24const_host_device_scalarIT6_EEPKT4_S3_PKS5_S9_S3_SB_S6_S9_S3_SB_S9_S3_PS5_21rocsparse_index_base_SD_SD_SD_bbb.uses_flat_scratch, 0
	.set _ZN9rocsparseL41csrgemm_numeric_fill_block_per_row_kernelILj1024ELj64ELj32768ELj137ELj32ElifEEvT5_PKS1_S3_NS_24const_host_device_scalarIT6_EEPKT4_S3_PKS5_S9_S3_SB_S6_S9_S3_SB_S9_S3_PS5_21rocsparse_index_base_SD_SD_SD_bbb.has_dyn_sized_stack, 0
	.set _ZN9rocsparseL41csrgemm_numeric_fill_block_per_row_kernelILj1024ELj64ELj32768ELj137ELj32ElifEEvT5_PKS1_S3_NS_24const_host_device_scalarIT6_EEPKT4_S3_PKS5_S9_S3_SB_S6_S9_S3_SB_S9_S3_PS5_21rocsparse_index_base_SD_SD_SD_bbb.has_recursion, 0
	.set _ZN9rocsparseL41csrgemm_numeric_fill_block_per_row_kernelILj1024ELj64ELj32768ELj137ELj32ElifEEvT5_PKS1_S3_NS_24const_host_device_scalarIT6_EEPKT4_S3_PKS5_S9_S3_SB_S6_S9_S3_SB_S9_S3_PS5_21rocsparse_index_base_SD_SD_SD_bbb.has_indirect_call, 0
	.section	.AMDGPU.csdata,"",@progbits
; Kernel info:
; codeLenInByte = 4496
; TotalNumSgprs: 106
; NumVgprs: 31
; NumAgprs: 0
; TotalNumVgprs: 31
; ScratchSize: 0
; MemoryBound: 0
; FloatMode: 240
; IeeeMode: 1
; LDSByteSize: 0 bytes/workgroup (compile time only)
; SGPRBlocks: 13
; VGPRBlocks: 3
; NumSGPRsForWavesPerEU: 106
; NumVGPRsForWavesPerEU: 31
; AccumOffset: 32
; Occupancy: 7
; WaveLimiterHint : 1
; COMPUTE_PGM_RSRC2:SCRATCH_EN: 0
; COMPUTE_PGM_RSRC2:USER_SGPR: 2
; COMPUTE_PGM_RSRC2:TRAP_HANDLER: 0
; COMPUTE_PGM_RSRC2:TGID_X_EN: 1
; COMPUTE_PGM_RSRC2:TGID_Y_EN: 0
; COMPUTE_PGM_RSRC2:TGID_Z_EN: 0
; COMPUTE_PGM_RSRC2:TIDIG_COMP_CNT: 0
; COMPUTE_PGM_RSRC3_GFX90A:ACCUM_OFFSET: 7
; COMPUTE_PGM_RSRC3_GFX90A:TG_SPLIT: 0
	.section	.text._ZN9rocsparseL41csrgemm_numeric_fill_block_per_row_kernelILj1024ELj64ELj32768ELj137ELj64ElifEEvT5_PKS1_S3_NS_24const_host_device_scalarIT6_EEPKT4_S3_PKS5_S9_S3_SB_S6_S9_S3_SB_S9_S3_PS5_21rocsparse_index_base_SD_SD_SD_bbb,"axG",@progbits,_ZN9rocsparseL41csrgemm_numeric_fill_block_per_row_kernelILj1024ELj64ELj32768ELj137ELj64ElifEEvT5_PKS1_S3_NS_24const_host_device_scalarIT6_EEPKT4_S3_PKS5_S9_S3_SB_S6_S9_S3_SB_S9_S3_PS5_21rocsparse_index_base_SD_SD_SD_bbb,comdat
	.globl	_ZN9rocsparseL41csrgemm_numeric_fill_block_per_row_kernelILj1024ELj64ELj32768ELj137ELj64ElifEEvT5_PKS1_S3_NS_24const_host_device_scalarIT6_EEPKT4_S3_PKS5_S9_S3_SB_S6_S9_S3_SB_S9_S3_PS5_21rocsparse_index_base_SD_SD_SD_bbb ; -- Begin function _ZN9rocsparseL41csrgemm_numeric_fill_block_per_row_kernelILj1024ELj64ELj32768ELj137ELj64ElifEEvT5_PKS1_S3_NS_24const_host_device_scalarIT6_EEPKT4_S3_PKS5_S9_S3_SB_S6_S9_S3_SB_S9_S3_PS5_21rocsparse_index_base_SD_SD_SD_bbb
	.p2align	8
	.type	_ZN9rocsparseL41csrgemm_numeric_fill_block_per_row_kernelILj1024ELj64ELj32768ELj137ELj64ElifEEvT5_PKS1_S3_NS_24const_host_device_scalarIT6_EEPKT4_S3_PKS5_S9_S3_SB_S6_S9_S3_SB_S9_S3_PS5_21rocsparse_index_base_SD_SD_SD_bbb,@function
_ZN9rocsparseL41csrgemm_numeric_fill_block_per_row_kernelILj1024ELj64ELj32768ELj137ELj64ElifEEvT5_PKS1_S3_NS_24const_host_device_scalarIT6_EEPKT4_S3_PKS5_S9_S3_SB_S6_S9_S3_SB_S9_S3_PS5_21rocsparse_index_base_SD_SD_SD_bbb: ; @_ZN9rocsparseL41csrgemm_numeric_fill_block_per_row_kernelILj1024ELj64ELj32768ELj137ELj64ElifEEvT5_PKS1_S3_NS_24const_host_device_scalarIT6_EEPKT4_S3_PKS5_S9_S3_SB_S6_S9_S3_SB_S9_S3_PS5_21rocsparse_index_base_SD_SD_SD_bbb
; %bb.0:
	s_load_dword s3, s[0:1], 0x98
	s_load_dwordx4 s[36:39], s[0:1], 0x88
	s_load_dwordx2 s[4:5], s[0:1], 0x18
	s_load_dwordx2 s[16:17], s[0:1], 0x50
	s_waitcnt lgkmcnt(0)
	s_bitcmp1_b32 s3, 0
	s_cselect_b64 s[6:7], -1, 0
	s_bitcmp1_b32 s3, 16
	s_cselect_b64 s[18:19], -1, 0
	s_xor_b64 s[8:9], s[6:7], -1
	s_or_b64 s[8:9], s[18:19], s[8:9]
	s_and_b64 vcc, exec, s[8:9]
	s_cbranch_vccnz .LBB177_2
; %bb.1:
	s_load_dword s4, s[4:5], 0x0
	s_waitcnt lgkmcnt(0)
	v_mov_b32_e32 v13, s4
	s_branch .LBB177_3
.LBB177_2:
	v_mov_b32_e32 v1, s4
	v_cndmask_b32_e64 v13, 0, v1, s[6:7]
.LBB177_3:
	s_load_dwordx2 s[34:35], s[0:1], 0x80
	s_load_dwordx2 s[40:41], s[0:1], 0x70
	;; [unrolled: 1-line block ×3, first 2 shown]
	s_load_dwordx4 s[24:27], s[0:1], 0x8
	s_load_dwordx8 s[8:15], s[0:1], 0x20
	s_bitcmp1_b32 s3, 8
	s_cselect_b64 s[4:5], -1, 0
	s_xor_b64 s[20:21], s[4:5], -1
	s_or_b64 s[18:19], s[18:19], s[20:21]
	s_and_b64 vcc, exec, s[18:19]
	s_cbranch_vccnz .LBB177_5
; %bb.4:
	s_load_dword s3, s[16:17], 0x0
	s_waitcnt lgkmcnt(0)
	v_mov_b32_e32 v11, s3
	s_branch .LBB177_6
.LBB177_5:
	v_mov_b32_e32 v1, s16
	v_cndmask_b32_e64 v11, 0, v1, s[4:5]
.LBB177_6:
	s_load_dwordx4 s[20:23], s[0:1], 0x40
	s_load_dword s33, s[0:1], 0x0
	s_load_dwordx4 s[16:19], s[0:1], 0x60
	v_or_b32_e32 v1, 0xfffffc00, v0
	v_lshl_add_u32 v10, v0, 2, 0
	s_mov_b64 s[0:1], 0
	s_waitcnt lgkmcnt(0)
	v_mov_b32_e32 v5, s33
	v_mov_b32_e32 v2, 0
	s_movk_i32 s3, 0x7bff
	v_mov_b32_e32 v3, v10
	v_mov_b32_e32 v4, v1
.LBB177_7:                              ; =>This Inner Loop Header: Depth=1
	v_add_u32_e32 v4, 0x400, v4
	v_cmp_lt_u32_e32 vcc, s3, v4
	ds_write_b32 v3, v5
	v_add_u32_e32 v6, 0x20000, v3
	v_add_u32_e32 v3, 0x1000, v3
	s_or_b64 s[0:1], vcc, s[0:1]
	ds_write_b32 v6, v2
	s_andn2_b64 exec, exec, s[0:1]
	s_cbranch_execnz .LBB177_7
; %bb.8:
	s_or_b64 exec, exec, s[0:1]
	s_waitcnt lgkmcnt(0)
	s_barrier
	s_load_dword s0, s[24:25], 0x0
	s_mov_b32 s1, 0
	v_lshrrev_b32_e32 v12, 6, v0
	s_waitcnt lgkmcnt(0)
	s_add_i32 s0, s0, s2
	s_lshl_b64 s[0:1], s[0:1], 2
	s_add_u32 s0, s26, s0
	s_addc_u32 s1, s27, s1
	s_load_dword s42, s[0:1], 0x0
	s_and_b64 vcc, exec, s[6:7]
	s_cbranch_vccz .LBB177_26
; %bb.9:
	s_waitcnt lgkmcnt(0)
	s_ashr_i32 s43, s42, 31
	s_lshl_b64 s[0:1], s[42:43], 3
	s_add_u32 s0, s8, s0
	s_addc_u32 s1, s9, s1
	s_load_dwordx4 s[24:27], s[0:1], 0x0
	v_subrev_co_u32_e32 v2, vcc, s36, v12
	s_nop 1
	v_subb_co_u32_e64 v3, s[0:1], 0, 0, vcc
	s_waitcnt lgkmcnt(0)
	s_sub_u32 s0, s26, s36
	s_subb_u32 s1, s27, 0
	v_lshl_add_u64 v[2:3], s[24:25], 0, v[2:3]
	v_cmp_gt_i64_e32 vcc, s[0:1], v[2:3]
	s_and_saveexec_b64 s[2:3], vcc
	s_cbranch_execz .LBB177_25
; %bb.10:
	v_and_b32_e32 v4, 63, v0
	v_subrev_co_u32_e32 v4, vcc, s37, v4
	s_mov_b32 s43, s37
	s_nop 0
	v_subb_co_u32_e64 v5, s[6:7], 0, 0, vcc
	s_mov_b64 s[6:7], 0
	s_movk_i32 s50, 0x89
	s_branch .LBB177_12
.LBB177_11:                             ;   in Loop: Header=BB177_12 Depth=1
	s_or_b64 exec, exec, s[8:9]
	v_lshl_add_u64 v[2:3], v[2:3], 0, 16
	v_cmp_le_i64_e32 vcc, s[0:1], v[2:3]
	s_or_b64 s[6:7], vcc, s[6:7]
	s_andn2_b64 exec, exec, s[6:7]
	s_cbranch_execz .LBB177_25
.LBB177_12:                             ; =>This Loop Header: Depth=1
                                        ;     Child Loop BB177_16 Depth 2
                                        ;       Child Loop BB177_19 Depth 3
	v_lshl_add_u64 v[6:7], v[2:3], 2, s[10:11]
	global_load_dword v6, v[6:7], off
	s_waitcnt vmcnt(0)
	v_subrev_u32_e32 v6, s36, v6
	v_ashrrev_i32_e32 v7, 31, v6
	v_lshl_add_u64 v[6:7], v[6:7], 3, s[14:15]
	global_load_dwordx4 v[14:17], v[6:7], off
	s_waitcnt vmcnt(0)
	v_subrev_co_u32_e32 v6, vcc, s43, v16
	s_nop 1
	v_subbrev_co_u32_e32 v7, vcc, 0, v17, vcc
	v_lshl_add_u64 v[8:9], v[14:15], 0, v[4:5]
	v_cmp_lt_i64_e32 vcc, v[8:9], v[6:7]
	s_and_saveexec_b64 s[8:9], vcc
	s_cbranch_execz .LBB177_11
; %bb.13:                               ;   in Loop: Header=BB177_12 Depth=1
	v_lshl_add_u64 v[14:15], v[2:3], 2, s[12:13]
	global_load_dword v14, v[14:15], off
	s_mov_b64 s[24:25], 0
	s_waitcnt vmcnt(0)
	v_mul_f32_e32 v14, v13, v14
	s_branch .LBB177_16
.LBB177_14:                             ;   in Loop: Header=BB177_16 Depth=2
	s_or_b64 exec, exec, s[30:31]
.LBB177_15:                             ;   in Loop: Header=BB177_16 Depth=2
	s_or_b64 exec, exec, s[26:27]
	v_lshl_add_u32 v16, v16, 2, 0
	s_waitcnt vmcnt(0)
	v_mul_f32_e32 v15, v14, v15
	v_add_u32_e32 v16, 0x20000, v16
	ds_add_f32 v16, v15
	v_lshl_add_u64 v[8:9], v[8:9], 0, 64
	v_cmp_ge_i64_e32 vcc, v[8:9], v[6:7]
	s_or_b64 s[24:25], vcc, s[24:25]
	s_andn2_b64 exec, exec, s[24:25]
	s_cbranch_execz .LBB177_11
.LBB177_16:                             ;   Parent Loop BB177_12 Depth=1
                                        ; =>  This Loop Header: Depth=2
                                        ;       Child Loop BB177_19 Depth 3
	v_lshlrev_b64 v[16:17], 2, v[8:9]
	v_lshl_add_u64 v[18:19], s[20:21], 0, v[16:17]
	global_load_dword v18, v[18:19], off
	v_lshl_add_u64 v[16:17], s[22:23], 0, v[16:17]
	global_load_dword v15, v[16:17], off
	s_waitcnt vmcnt(1)
	v_subrev_u32_e32 v17, s37, v18
	v_mul_lo_u32 v16, v17, s50
	v_and_b32_e32 v16, 0x7fff, v16
	v_lshl_add_u32 v18, v16, 2, 0
	ds_read_b32 v19, v18
	s_waitcnt lgkmcnt(0)
	v_cmp_ne_u32_e32 vcc, v19, v17
	s_and_saveexec_b64 s[26:27], vcc
	s_cbranch_execz .LBB177_15
; %bb.17:                               ;   in Loop: Header=BB177_16 Depth=2
	s_mov_b64 s[30:31], 0
	s_branch .LBB177_19
.LBB177_18:                             ;   in Loop: Header=BB177_19 Depth=3
	s_or_b64 exec, exec, s[48:49]
	s_and_b64 s[44:45], exec, s[46:47]
	s_or_b64 s[30:31], s[44:45], s[30:31]
	s_andn2_b64 exec, exec, s[30:31]
	s_cbranch_execz .LBB177_14
.LBB177_19:                             ;   Parent Loop BB177_12 Depth=1
                                        ;     Parent Loop BB177_16 Depth=2
                                        ; =>    This Inner Loop Header: Depth=3
	v_cmp_ne_u32_e32 vcc, s33, v19
	s_mov_b64 s[44:45], 0
	s_and_saveexec_b64 s[46:47], vcc
	s_xor_b64 s[46:47], exec, s[46:47]
	s_cbranch_execz .LBB177_21
; %bb.20:                               ;   in Loop: Header=BB177_19 Depth=3
	v_add_u32_e32 v16, 1, v16
	s_mov_b64 s[44:45], exec
	v_and_b32_e32 v16, 0x7fff, v16
                                        ; implicit-def: $vgpr18
	s_andn2_saveexec_b64 s[46:47], s[46:47]
	s_cbranch_execz .LBB177_23
	s_branch .LBB177_22
.LBB177_21:                             ;   in Loop: Header=BB177_19 Depth=3
	s_andn2_saveexec_b64 s[46:47], s[46:47]
	s_cbranch_execz .LBB177_23
.LBB177_22:                             ;   in Loop: Header=BB177_19 Depth=3
	v_mov_b32_e32 v19, s33
	ds_cmpst_rtn_b32 v18, v18, v19, v17
	s_andn2_b64 s[44:45], s[44:45], exec
	s_waitcnt lgkmcnt(0)
	v_cmp_ne_u32_e32 vcc, s33, v18
	s_and_b64 s[48:49], vcc, exec
	s_or_b64 s[44:45], s[44:45], s[48:49]
.LBB177_23:                             ;   in Loop: Header=BB177_19 Depth=3
	s_or_b64 exec, exec, s[46:47]
	s_mov_b64 s[46:47], -1
                                        ; implicit-def: $vgpr18
                                        ; implicit-def: $vgpr19
	s_and_saveexec_b64 s[48:49], s[44:45]
	s_cbranch_execz .LBB177_18
; %bb.24:                               ;   in Loop: Header=BB177_19 Depth=3
	v_lshl_add_u32 v18, v16, 2, 0
	ds_read_b32 v19, v18
	s_waitcnt lgkmcnt(0)
	v_cmp_eq_u32_e32 vcc, v19, v17
	s_orn2_b64 s[46:47], vcc, exec
	s_branch .LBB177_18
.LBB177_25:
	s_or_b64 exec, exec, s[2:3]
.LBB177_26:
	s_andn2_b64 vcc, exec, s[4:5]
	s_cbranch_vccnz .LBB177_41
; %bb.27:
	s_waitcnt lgkmcnt(0)
	s_ashr_i32 s43, s42, 31
	s_lshl_b64 s[0:1], s[42:43], 3
	s_add_u32 s0, s28, s0
	s_addc_u32 s1, s29, s1
	s_load_dwordx4 s[4:7], s[0:1], 0x0
	v_subrev_co_u32_e32 v2, vcc, s39, v0
	s_nop 1
	v_subb_co_u32_e64 v3, s[0:1], 0, 0, vcc
	s_waitcnt lgkmcnt(0)
	s_sub_u32 s0, s6, s39
	s_subb_u32 s1, s7, 0
	v_lshl_add_u64 v[2:3], s[4:5], 0, v[2:3]
	v_cmp_gt_i64_e32 vcc, s[0:1], v[2:3]
	s_and_saveexec_b64 s[2:3], vcc
	s_cbranch_execz .LBB177_40
; %bb.28:
	s_mov_b64 s[4:5], 0
	s_movk_i32 s22, 0x89
	s_mov_b64 s[6:7], 0x400
	s_branch .LBB177_31
.LBB177_29:                             ;   in Loop: Header=BB177_31 Depth=1
	s_or_b64 exec, exec, s[10:11]
.LBB177_30:                             ;   in Loop: Header=BB177_31 Depth=1
	s_or_b64 exec, exec, s[8:9]
	v_lshl_add_u32 v5, v5, 2, 0
	s_waitcnt vmcnt(0)
	v_mul_f32_e32 v4, v11, v4
	v_add_u32_e32 v5, 0x20000, v5
	ds_add_f32 v5, v4
	v_lshl_add_u64 v[2:3], v[2:3], 0, s[6:7]
	v_cmp_le_i64_e32 vcc, s[0:1], v[2:3]
	s_or_b64 s[4:5], vcc, s[4:5]
	s_andn2_b64 exec, exec, s[4:5]
	s_cbranch_execz .LBB177_40
.LBB177_31:                             ; =>This Loop Header: Depth=1
                                        ;     Child Loop BB177_34 Depth 2
	v_lshlrev_b64 v[4:5], 2, v[2:3]
	v_lshl_add_u64 v[6:7], s[16:17], 0, v[4:5]
	global_load_dword v6, v[6:7], off
	v_lshl_add_u64 v[4:5], s[18:19], 0, v[4:5]
	global_load_dword v4, v[4:5], off
	s_waitcnt vmcnt(1)
	v_subrev_u32_e32 v6, s39, v6
	v_mul_lo_u32 v5, v6, s22
	v_and_b32_e32 v5, 0x7fff, v5
	v_lshl_add_u32 v7, v5, 2, 0
	ds_read_b32 v8, v7
	s_waitcnt lgkmcnt(0)
	v_cmp_ne_u32_e32 vcc, v8, v6
	s_and_saveexec_b64 s[8:9], vcc
	s_cbranch_execz .LBB177_30
; %bb.32:                               ;   in Loop: Header=BB177_31 Depth=1
	s_mov_b64 s[10:11], 0
	s_branch .LBB177_34
.LBB177_33:                             ;   in Loop: Header=BB177_34 Depth=2
	s_or_b64 exec, exec, s[20:21]
	s_and_b64 s[12:13], exec, s[14:15]
	s_or_b64 s[10:11], s[12:13], s[10:11]
	s_andn2_b64 exec, exec, s[10:11]
	s_cbranch_execz .LBB177_29
.LBB177_34:                             ;   Parent Loop BB177_31 Depth=1
                                        ; =>  This Inner Loop Header: Depth=2
	v_cmp_ne_u32_e32 vcc, s33, v8
	s_mov_b64 s[12:13], 0
	s_and_saveexec_b64 s[14:15], vcc
	s_xor_b64 s[14:15], exec, s[14:15]
	s_cbranch_execz .LBB177_36
; %bb.35:                               ;   in Loop: Header=BB177_34 Depth=2
	v_add_u32_e32 v5, 1, v5
	s_mov_b64 s[12:13], exec
	v_and_b32_e32 v5, 0x7fff, v5
                                        ; implicit-def: $vgpr7
	s_andn2_saveexec_b64 s[14:15], s[14:15]
	s_cbranch_execz .LBB177_38
	s_branch .LBB177_37
.LBB177_36:                             ;   in Loop: Header=BB177_34 Depth=2
	s_andn2_saveexec_b64 s[14:15], s[14:15]
	s_cbranch_execz .LBB177_38
.LBB177_37:                             ;   in Loop: Header=BB177_34 Depth=2
	v_mov_b32_e32 v8, s33
	ds_cmpst_rtn_b32 v7, v7, v8, v6
	s_andn2_b64 s[12:13], s[12:13], exec
	s_waitcnt lgkmcnt(0)
	v_cmp_ne_u32_e32 vcc, s33, v7
	s_and_b64 s[20:21], vcc, exec
	s_or_b64 s[12:13], s[12:13], s[20:21]
.LBB177_38:                             ;   in Loop: Header=BB177_34 Depth=2
	s_or_b64 exec, exec, s[14:15]
	s_mov_b64 s[14:15], -1
                                        ; implicit-def: $vgpr7
                                        ; implicit-def: $vgpr8
	s_and_saveexec_b64 s[20:21], s[12:13]
	s_cbranch_execz .LBB177_33
; %bb.39:                               ;   in Loop: Header=BB177_34 Depth=2
	v_lshl_add_u32 v7, v5, 2, 0
	ds_read_b32 v8, v7
	s_waitcnt lgkmcnt(0)
	v_cmp_eq_u32_e32 vcc, v8, v6
	s_orn2_b64 s[14:15], vcc, exec
	s_branch .LBB177_33
.LBB177_40:
	s_or_b64 exec, exec, s[2:3]
.LBB177_41:
	v_mbcnt_lo_u32_b32 v2, -1, 0
	v_mbcnt_hi_u32_b32 v2, -1, v2
	v_sub_u32_e32 v2, 63, v2
	s_add_i32 s39, 0, 0x40000
	s_movk_i32 s0, 0x3ff
	s_movk_i32 s2, 0x7f
	;; [unrolled: 1-line block ×15, first 2 shown]
	s_add_i32 s59, 0, 0x4003c
	v_lshrrev_b64 v[2:3], v2, -1
	v_lshl_add_u32 v4, v12, 2, s39
	v_cmp_eq_u32_e32 vcc, s0, v0
	v_cmp_lt_u32_e64 s[0:1], 63, v0
	v_cmp_lt_u32_e64 s[2:3], s2, v0
	;; [unrolled: 1-line block ×15, first 2 shown]
	s_mov_b64 s[36:37], 0
	v_mov_b32_e32 v5, 0
	s_add_i32 s43, 0, 0x40004
	s_add_i32 s46, 0, 0x40008
	;; [unrolled: 1-line block ×14, first 2 shown]
	v_mov_b32_e32 v6, s59
	s_movk_i32 s60, 0x7bff
	s_waitcnt lgkmcnt(0)
	s_barrier
	s_branch .LBB177_43
.LBB177_42:                             ;   in Loop: Header=BB177_43 Depth=1
	s_or_b64 exec, exec, s[30:31]
	s_waitcnt lgkmcnt(0)
	s_barrier
	ds_read_b32 v7, v6
	v_add_u32_e32 v1, 0x400, v1
	v_cmp_lt_u32_e64 s[30:31], s60, v1
	s_or_b64 s[36:37], s[30:31], s[36:37]
	v_add_u32_e32 v10, 0x1000, v10
	s_waitcnt lgkmcnt(0)
	v_add_u32_e32 v5, v7, v5
	s_andn2_b64 exec, exec, s[36:37]
	s_cbranch_execz .LBB177_77
.LBB177_43:                             ; =>This Inner Loop Header: Depth=1
	ds_read_b32 v8, v10
	v_add_u32_e32 v7, 0x20000, v10
	ds_read_b32 v9, v7
	s_waitcnt lgkmcnt(0)
	s_barrier
	v_cmp_gt_i32_e64 s[30:31], s33, v8
	s_bcnt1_i32_b64 s44, s[30:31]
	s_nop 0
	v_and_b32_e32 v11, s30, v2
	v_and_b32_e32 v7, s31, v3
	v_bcnt_u32_b32 v11, v11, 0
	v_bcnt_u32_b32 v7, v7, v11
	v_mov_b32_e32 v11, s44
	ds_write_b32 v4, v11
	s_waitcnt lgkmcnt(0)
	s_barrier
	s_and_saveexec_b64 s[44:45], s[0:1]
	s_cbranch_execz .LBB177_60
; %bb.44:                               ;   in Loop: Header=BB177_43 Depth=1
	v_mov_b32_e32 v11, s39
	ds_read_b32 v11, v11
	s_waitcnt lgkmcnt(0)
	v_add_u32_e32 v7, v11, v7
	s_or_b64 exec, exec, s[44:45]
	s_and_saveexec_b64 s[44:45], s[2:3]
	s_cbranch_execnz .LBB177_61
.LBB177_45:                             ;   in Loop: Header=BB177_43 Depth=1
	s_or_b64 exec, exec, s[44:45]
	s_and_saveexec_b64 s[44:45], s[4:5]
	s_cbranch_execz .LBB177_62
.LBB177_46:                             ;   in Loop: Header=BB177_43 Depth=1
	v_mov_b32_e32 v11, s46
	ds_read_b32 v11, v11
	s_waitcnt lgkmcnt(0)
	v_add_u32_e32 v7, v11, v7
	s_or_b64 exec, exec, s[44:45]
	s_and_saveexec_b64 s[44:45], s[6:7]
	s_cbranch_execnz .LBB177_63
.LBB177_47:                             ;   in Loop: Header=BB177_43 Depth=1
	s_or_b64 exec, exec, s[44:45]
	s_and_saveexec_b64 s[44:45], s[8:9]
	s_cbranch_execz .LBB177_64
.LBB177_48:                             ;   in Loop: Header=BB177_43 Depth=1
	v_mov_b32_e32 v11, s48
	ds_read_b32 v11, v11
	s_waitcnt lgkmcnt(0)
	v_add_u32_e32 v7, v11, v7
	s_or_b64 exec, exec, s[44:45]
	s_and_saveexec_b64 s[44:45], s[10:11]
	s_cbranch_execnz .LBB177_65
.LBB177_49:                             ;   in Loop: Header=BB177_43 Depth=1
	s_or_b64 exec, exec, s[44:45]
	s_and_saveexec_b64 s[44:45], s[12:13]
	s_cbranch_execz .LBB177_66
.LBB177_50:                             ;   in Loop: Header=BB177_43 Depth=1
	v_mov_b32_e32 v11, s50
	ds_read_b32 v11, v11
	s_waitcnt lgkmcnt(0)
	v_add_u32_e32 v7, v11, v7
	s_or_b64 exec, exec, s[44:45]
	s_and_saveexec_b64 s[44:45], s[14:15]
	s_cbranch_execnz .LBB177_67
.LBB177_51:                             ;   in Loop: Header=BB177_43 Depth=1
	s_or_b64 exec, exec, s[44:45]
	s_and_saveexec_b64 s[44:45], s[16:17]
	s_cbranch_execz .LBB177_68
.LBB177_52:                             ;   in Loop: Header=BB177_43 Depth=1
	v_mov_b32_e32 v11, s52
	ds_read_b32 v11, v11
	s_waitcnt lgkmcnt(0)
	v_add_u32_e32 v7, v11, v7
	s_or_b64 exec, exec, s[44:45]
	s_and_saveexec_b64 s[44:45], s[18:19]
	s_cbranch_execnz .LBB177_69
.LBB177_53:                             ;   in Loop: Header=BB177_43 Depth=1
	s_or_b64 exec, exec, s[44:45]
	s_and_saveexec_b64 s[44:45], s[20:21]
	s_cbranch_execz .LBB177_70
.LBB177_54:                             ;   in Loop: Header=BB177_43 Depth=1
	v_mov_b32_e32 v11, s54
	ds_read_b32 v11, v11
	s_waitcnt lgkmcnt(0)
	v_add_u32_e32 v7, v11, v7
	s_or_b64 exec, exec, s[44:45]
	s_and_saveexec_b64 s[44:45], s[22:23]
	s_cbranch_execnz .LBB177_71
.LBB177_55:                             ;   in Loop: Header=BB177_43 Depth=1
	s_or_b64 exec, exec, s[44:45]
	s_and_saveexec_b64 s[44:45], s[24:25]
	s_cbranch_execz .LBB177_72
.LBB177_56:                             ;   in Loop: Header=BB177_43 Depth=1
	v_mov_b32_e32 v11, s56
	ds_read_b32 v11, v11
	s_waitcnt lgkmcnt(0)
	v_add_u32_e32 v7, v11, v7
	s_or_b64 exec, exec, s[44:45]
	s_and_saveexec_b64 s[44:45], s[26:27]
	s_cbranch_execnz .LBB177_73
.LBB177_57:                             ;   in Loop: Header=BB177_43 Depth=1
	s_or_b64 exec, exec, s[44:45]
	s_and_saveexec_b64 s[44:45], s[28:29]
	s_cbranch_execz .LBB177_74
.LBB177_58:                             ;   in Loop: Header=BB177_43 Depth=1
	v_mov_b32_e32 v11, s58
	ds_read_b32 v11, v11
	s_waitcnt lgkmcnt(0)
	v_add_u32_e32 v7, v11, v7
	s_or_b64 exec, exec, s[44:45]
	s_and_saveexec_b64 s[44:45], s[30:31]
	s_cbranch_execnz .LBB177_75
.LBB177_59:                             ;   in Loop: Header=BB177_43 Depth=1
	s_or_b64 exec, exec, s[44:45]
	s_and_saveexec_b64 s[30:31], vcc
	s_cbranch_execz .LBB177_42
	s_branch .LBB177_76
.LBB177_60:                             ;   in Loop: Header=BB177_43 Depth=1
	s_or_b64 exec, exec, s[44:45]
	s_and_saveexec_b64 s[44:45], s[2:3]
	s_cbranch_execz .LBB177_45
.LBB177_61:                             ;   in Loop: Header=BB177_43 Depth=1
	v_mov_b32_e32 v11, s43
	ds_read_b32 v11, v11
	s_waitcnt lgkmcnt(0)
	v_add_u32_e32 v7, v11, v7
	s_or_b64 exec, exec, s[44:45]
	s_and_saveexec_b64 s[44:45], s[4:5]
	s_cbranch_execnz .LBB177_46
.LBB177_62:                             ;   in Loop: Header=BB177_43 Depth=1
	s_or_b64 exec, exec, s[44:45]
	s_and_saveexec_b64 s[44:45], s[6:7]
	s_cbranch_execz .LBB177_47
.LBB177_63:                             ;   in Loop: Header=BB177_43 Depth=1
	v_mov_b32_e32 v11, s47
	ds_read_b32 v11, v11
	s_waitcnt lgkmcnt(0)
	v_add_u32_e32 v7, v11, v7
	s_or_b64 exec, exec, s[44:45]
	s_and_saveexec_b64 s[44:45], s[8:9]
	s_cbranch_execnz .LBB177_48
.LBB177_64:                             ;   in Loop: Header=BB177_43 Depth=1
	s_or_b64 exec, exec, s[44:45]
	s_and_saveexec_b64 s[44:45], s[10:11]
	s_cbranch_execz .LBB177_49
.LBB177_65:                             ;   in Loop: Header=BB177_43 Depth=1
	v_mov_b32_e32 v11, s49
	ds_read_b32 v11, v11
	s_waitcnt lgkmcnt(0)
	v_add_u32_e32 v7, v11, v7
	s_or_b64 exec, exec, s[44:45]
	s_and_saveexec_b64 s[44:45], s[12:13]
	s_cbranch_execnz .LBB177_50
.LBB177_66:                             ;   in Loop: Header=BB177_43 Depth=1
	s_or_b64 exec, exec, s[44:45]
	s_and_saveexec_b64 s[44:45], s[14:15]
	s_cbranch_execz .LBB177_51
.LBB177_67:                             ;   in Loop: Header=BB177_43 Depth=1
	v_mov_b32_e32 v11, s51
	ds_read_b32 v11, v11
	s_waitcnt lgkmcnt(0)
	v_add_u32_e32 v7, v11, v7
	s_or_b64 exec, exec, s[44:45]
	s_and_saveexec_b64 s[44:45], s[16:17]
	s_cbranch_execnz .LBB177_52
.LBB177_68:                             ;   in Loop: Header=BB177_43 Depth=1
	s_or_b64 exec, exec, s[44:45]
	s_and_saveexec_b64 s[44:45], s[18:19]
	s_cbranch_execz .LBB177_53
.LBB177_69:                             ;   in Loop: Header=BB177_43 Depth=1
	v_mov_b32_e32 v11, s53
	ds_read_b32 v11, v11
	s_waitcnt lgkmcnt(0)
	v_add_u32_e32 v7, v11, v7
	s_or_b64 exec, exec, s[44:45]
	s_and_saveexec_b64 s[44:45], s[20:21]
	s_cbranch_execnz .LBB177_54
.LBB177_70:                             ;   in Loop: Header=BB177_43 Depth=1
	s_or_b64 exec, exec, s[44:45]
	s_and_saveexec_b64 s[44:45], s[22:23]
	s_cbranch_execz .LBB177_55
.LBB177_71:                             ;   in Loop: Header=BB177_43 Depth=1
	v_mov_b32_e32 v11, s55
	ds_read_b32 v11, v11
	s_waitcnt lgkmcnt(0)
	v_add_u32_e32 v7, v11, v7
	s_or_b64 exec, exec, s[44:45]
	s_and_saveexec_b64 s[44:45], s[24:25]
	s_cbranch_execnz .LBB177_56
.LBB177_72:                             ;   in Loop: Header=BB177_43 Depth=1
	s_or_b64 exec, exec, s[44:45]
	s_and_saveexec_b64 s[44:45], s[26:27]
	s_cbranch_execz .LBB177_57
.LBB177_73:                             ;   in Loop: Header=BB177_43 Depth=1
	v_mov_b32_e32 v11, s57
	ds_read_b32 v11, v11
	s_waitcnt lgkmcnt(0)
	v_add_u32_e32 v7, v11, v7
	s_or_b64 exec, exec, s[44:45]
	s_and_saveexec_b64 s[44:45], s[28:29]
	s_cbranch_execnz .LBB177_58
.LBB177_74:                             ;   in Loop: Header=BB177_43 Depth=1
	s_or_b64 exec, exec, s[44:45]
	s_and_saveexec_b64 s[44:45], s[30:31]
	s_cbranch_execz .LBB177_59
.LBB177_75:                             ;   in Loop: Header=BB177_43 Depth=1
	v_add3_u32 v11, v5, -1, v7
	v_lshl_add_u32 v11, v11, 2, 0
	v_add_u32_e32 v12, 0x20000, v11
	ds_write_b32 v11, v8
	ds_write_b32 v12, v9
	s_or_b64 exec, exec, s[44:45]
	s_and_saveexec_b64 s[30:31], vcc
	s_cbranch_execz .LBB177_42
.LBB177_76:                             ;   in Loop: Header=BB177_43 Depth=1
	v_mov_b32_e32 v8, s59
	ds_write_b32 v8, v7
	s_branch .LBB177_42
.LBB177_77:
	s_or_b64 exec, exec, s[36:37]
	s_ashr_i32 s43, s42, 31
	s_lshl_b64 s[0:1], s[42:43], 3
	s_add_u32 s4, s40, s0
	s_addc_u32 s5, s41, s1
	s_load_dwordx4 s[0:3], s[4:5], 0x0
	s_waitcnt lgkmcnt(0)
	s_sub_i32 s8, s2, s0
	v_cmp_gt_i32_e32 vcc, s8, v0
	s_and_saveexec_b64 s[4:5], vcc
	s_cbranch_execz .LBB177_87
; %bb.78:
	s_sub_u32 s4, s0, s38
	s_subb_u32 s5, s1, 0
	s_and_b32 s10, s8, 7
	s_sub_i32 s0, s0, s2
	s_cmp_lt_u32 s0, -7
	s_cselect_b64 s[0:1], -1, 0
	s_and_b32 s11, s8, -8
	s_cmp_lg_u32 s10, 0
	v_cndmask_b32_e64 v1, 0, 1, s[0:1]
	s_cselect_b64 s[2:3], -1, 0
	v_cmp_ne_u32_e64 s[0:1], 1, v1
	v_cndmask_b32_e64 v1, 0, 1, s[2:3]
	s_mov_b32 s9, 0
	s_mov_b64 s[6:7], 0
	v_cmp_ne_u32_e64 s[2:3], 1, v1
	s_branch .LBB177_80
.LBB177_79:                             ;   in Loop: Header=BB177_80 Depth=1
	v_add_u32_e32 v0, 0x400, v0
	v_cmp_le_i32_e32 vcc, s8, v0
	v_lshl_add_u64 v[2:3], v[2:3], 2, s[34:35]
	s_or_b64 s[6:7], vcc, s[6:7]
	s_waitcnt lgkmcnt(0)
	global_store_dword v[2:3], v1, off
	s_andn2_b64 exec, exec, s[6:7]
	s_cbranch_execz .LBB177_87
.LBB177_80:                             ; =>This Loop Header: Depth=1
                                        ;     Child Loop BB177_82 Depth 2
                                        ;     Child Loop BB177_86 Depth 2
	v_lshl_add_u32 v1, v0, 2, 0
	v_add_u32_e32 v2, 0x20000, v1
	ds_read_b32 v4, v1
	ds_read_b32 v1, v2
	s_and_b64 vcc, exec, s[0:1]
	v_mov_b64_e32 v[2:3], s[4:5]
	s_mov_b32 s12, 0
	s_cbranch_vccnz .LBB177_84
; %bb.81:                               ;   in Loop: Header=BB177_80 Depth=1
	s_mov_b32 s13, 0
	v_mov_b64_e32 v[2:3], s[4:5]
.LBB177_82:                             ;   Parent Loop BB177_80 Depth=1
                                        ; =>  This Inner Loop Header: Depth=2
	v_mov_b32_e32 v5, s13
	ds_read2_b32 v[22:23], v5 offset1:1
	ds_read2_b32 v[24:25], v5 offset0:2 offset1:3
	ds_read2_b32 v[26:27], v5 offset0:4 offset1:5
	;; [unrolled: 1-line block ×3, first 2 shown]
	v_mov_b32_e32 v7, s9
	s_waitcnt lgkmcnt(3)
	v_cmp_gt_i32_e32 vcc, v4, v22
	v_mov_b32_e32 v9, s9
	v_mov_b32_e32 v11, s9
	v_cndmask_b32_e64 v6, 0, 1, vcc
	v_cmp_gt_i32_e32 vcc, v4, v23
	v_lshl_add_u64 v[2:3], v[2:3], 0, v[6:7]
	v_mov_b32_e32 v13, s9
	v_cndmask_b32_e64 v8, 0, 1, vcc
	s_waitcnt lgkmcnt(2)
	v_cmp_gt_i32_e32 vcc, v4, v24
	v_lshl_add_u64 v[2:3], v[2:3], 0, v[8:9]
	v_mov_b32_e32 v15, s9
	v_cndmask_b32_e64 v10, 0, 1, vcc
	v_cmp_gt_i32_e32 vcc, v4, v25
	v_lshl_add_u64 v[2:3], v[2:3], 0, v[10:11]
	v_mov_b32_e32 v17, s9
	v_cndmask_b32_e64 v12, 0, 1, vcc
	s_waitcnt lgkmcnt(1)
	v_cmp_gt_i32_e32 vcc, v4, v26
	v_lshl_add_u64 v[2:3], v[2:3], 0, v[12:13]
	;; [unrolled: 9-line block ×3, first 2 shown]
	s_add_i32 s12, s12, 8
	v_cndmask_b32_e64 v18, 0, 1, vcc
	v_cmp_gt_i32_e32 vcc, v4, v29
	s_add_i32 s13, s13, 32
	v_lshl_add_u64 v[2:3], v[2:3], 0, v[18:19]
	v_cndmask_b32_e64 v20, 0, 1, vcc
	s_cmp_eq_u32 s11, s12
	v_lshl_add_u64 v[2:3], v[2:3], 0, v[20:21]
	s_cbranch_scc0 .LBB177_82
; %bb.83:                               ;   in Loop: Header=BB177_80 Depth=1
	s_mov_b32 s12, s11
.LBB177_84:                             ;   in Loop: Header=BB177_80 Depth=1
	s_and_b64 vcc, exec, s[2:3]
	s_cbranch_vccnz .LBB177_79
; %bb.85:                               ;   in Loop: Header=BB177_80 Depth=1
	s_lshl_b32 s12, s12, 2
	s_add_i32 s12, s12, 0
	s_mov_b32 s13, s10
.LBB177_86:                             ;   Parent Loop BB177_80 Depth=1
                                        ; =>  This Inner Loop Header: Depth=2
	v_mov_b32_e32 v5, s12
	ds_read_b32 v5, v5
	v_mov_b32_e32 v7, s9
	s_add_i32 s12, s12, 4
	s_add_i32 s13, s13, -1
	s_cmp_lg_u32 s13, 0
	s_waitcnt lgkmcnt(0)
	v_cmp_gt_i32_e32 vcc, v4, v5
	s_nop 1
	v_cndmask_b32_e64 v6, 0, 1, vcc
	v_lshl_add_u64 v[2:3], v[2:3], 0, v[6:7]
	s_cbranch_scc1 .LBB177_86
	s_branch .LBB177_79
.LBB177_87:
	s_endpgm
	.section	.rodata,"a",@progbits
	.p2align	6, 0x0
	.amdhsa_kernel _ZN9rocsparseL41csrgemm_numeric_fill_block_per_row_kernelILj1024ELj64ELj32768ELj137ELj64ElifEEvT5_PKS1_S3_NS_24const_host_device_scalarIT6_EEPKT4_S3_PKS5_S9_S3_SB_S6_S9_S3_SB_S9_S3_PS5_21rocsparse_index_base_SD_SD_SD_bbb
		.amdhsa_group_segment_fixed_size 0
		.amdhsa_private_segment_fixed_size 0
		.amdhsa_kernarg_size 156
		.amdhsa_user_sgpr_count 2
		.amdhsa_user_sgpr_dispatch_ptr 0
		.amdhsa_user_sgpr_queue_ptr 0
		.amdhsa_user_sgpr_kernarg_segment_ptr 1
		.amdhsa_user_sgpr_dispatch_id 0
		.amdhsa_user_sgpr_kernarg_preload_length 0
		.amdhsa_user_sgpr_kernarg_preload_offset 0
		.amdhsa_user_sgpr_private_segment_size 0
		.amdhsa_uses_dynamic_stack 0
		.amdhsa_enable_private_segment 0
		.amdhsa_system_sgpr_workgroup_id_x 1
		.amdhsa_system_sgpr_workgroup_id_y 0
		.amdhsa_system_sgpr_workgroup_id_z 0
		.amdhsa_system_sgpr_workgroup_info 0
		.amdhsa_system_vgpr_workitem_id 0
		.amdhsa_next_free_vgpr 30
		.amdhsa_next_free_sgpr 61
		.amdhsa_accum_offset 32
		.amdhsa_reserve_vcc 1
		.amdhsa_float_round_mode_32 0
		.amdhsa_float_round_mode_16_64 0
		.amdhsa_float_denorm_mode_32 3
		.amdhsa_float_denorm_mode_16_64 3
		.amdhsa_dx10_clamp 1
		.amdhsa_ieee_mode 1
		.amdhsa_fp16_overflow 0
		.amdhsa_tg_split 0
		.amdhsa_exception_fp_ieee_invalid_op 0
		.amdhsa_exception_fp_denorm_src 0
		.amdhsa_exception_fp_ieee_div_zero 0
		.amdhsa_exception_fp_ieee_overflow 0
		.amdhsa_exception_fp_ieee_underflow 0
		.amdhsa_exception_fp_ieee_inexact 0
		.amdhsa_exception_int_div_zero 0
	.end_amdhsa_kernel
	.section	.text._ZN9rocsparseL41csrgemm_numeric_fill_block_per_row_kernelILj1024ELj64ELj32768ELj137ELj64ElifEEvT5_PKS1_S3_NS_24const_host_device_scalarIT6_EEPKT4_S3_PKS5_S9_S3_SB_S6_S9_S3_SB_S9_S3_PS5_21rocsparse_index_base_SD_SD_SD_bbb,"axG",@progbits,_ZN9rocsparseL41csrgemm_numeric_fill_block_per_row_kernelILj1024ELj64ELj32768ELj137ELj64ElifEEvT5_PKS1_S3_NS_24const_host_device_scalarIT6_EEPKT4_S3_PKS5_S9_S3_SB_S6_S9_S3_SB_S9_S3_PS5_21rocsparse_index_base_SD_SD_SD_bbb,comdat
.Lfunc_end177:
	.size	_ZN9rocsparseL41csrgemm_numeric_fill_block_per_row_kernelILj1024ELj64ELj32768ELj137ELj64ElifEEvT5_PKS1_S3_NS_24const_host_device_scalarIT6_EEPKT4_S3_PKS5_S9_S3_SB_S6_S9_S3_SB_S9_S3_PS5_21rocsparse_index_base_SD_SD_SD_bbb, .Lfunc_end177-_ZN9rocsparseL41csrgemm_numeric_fill_block_per_row_kernelILj1024ELj64ELj32768ELj137ELj64ElifEEvT5_PKS1_S3_NS_24const_host_device_scalarIT6_EEPKT4_S3_PKS5_S9_S3_SB_S6_S9_S3_SB_S9_S3_PS5_21rocsparse_index_base_SD_SD_SD_bbb
                                        ; -- End function
	.set _ZN9rocsparseL41csrgemm_numeric_fill_block_per_row_kernelILj1024ELj64ELj32768ELj137ELj64ElifEEvT5_PKS1_S3_NS_24const_host_device_scalarIT6_EEPKT4_S3_PKS5_S9_S3_SB_S6_S9_S3_SB_S9_S3_PS5_21rocsparse_index_base_SD_SD_SD_bbb.num_vgpr, 30
	.set _ZN9rocsparseL41csrgemm_numeric_fill_block_per_row_kernelILj1024ELj64ELj32768ELj137ELj64ElifEEvT5_PKS1_S3_NS_24const_host_device_scalarIT6_EEPKT4_S3_PKS5_S9_S3_SB_S6_S9_S3_SB_S9_S3_PS5_21rocsparse_index_base_SD_SD_SD_bbb.num_agpr, 0
	.set _ZN9rocsparseL41csrgemm_numeric_fill_block_per_row_kernelILj1024ELj64ELj32768ELj137ELj64ElifEEvT5_PKS1_S3_NS_24const_host_device_scalarIT6_EEPKT4_S3_PKS5_S9_S3_SB_S6_S9_S3_SB_S9_S3_PS5_21rocsparse_index_base_SD_SD_SD_bbb.numbered_sgpr, 61
	.set _ZN9rocsparseL41csrgemm_numeric_fill_block_per_row_kernelILj1024ELj64ELj32768ELj137ELj64ElifEEvT5_PKS1_S3_NS_24const_host_device_scalarIT6_EEPKT4_S3_PKS5_S9_S3_SB_S6_S9_S3_SB_S9_S3_PS5_21rocsparse_index_base_SD_SD_SD_bbb.num_named_barrier, 0
	.set _ZN9rocsparseL41csrgemm_numeric_fill_block_per_row_kernelILj1024ELj64ELj32768ELj137ELj64ElifEEvT5_PKS1_S3_NS_24const_host_device_scalarIT6_EEPKT4_S3_PKS5_S9_S3_SB_S6_S9_S3_SB_S9_S3_PS5_21rocsparse_index_base_SD_SD_SD_bbb.private_seg_size, 0
	.set _ZN9rocsparseL41csrgemm_numeric_fill_block_per_row_kernelILj1024ELj64ELj32768ELj137ELj64ElifEEvT5_PKS1_S3_NS_24const_host_device_scalarIT6_EEPKT4_S3_PKS5_S9_S3_SB_S6_S9_S3_SB_S9_S3_PS5_21rocsparse_index_base_SD_SD_SD_bbb.uses_vcc, 1
	.set _ZN9rocsparseL41csrgemm_numeric_fill_block_per_row_kernelILj1024ELj64ELj32768ELj137ELj64ElifEEvT5_PKS1_S3_NS_24const_host_device_scalarIT6_EEPKT4_S3_PKS5_S9_S3_SB_S6_S9_S3_SB_S9_S3_PS5_21rocsparse_index_base_SD_SD_SD_bbb.uses_flat_scratch, 0
	.set _ZN9rocsparseL41csrgemm_numeric_fill_block_per_row_kernelILj1024ELj64ELj32768ELj137ELj64ElifEEvT5_PKS1_S3_NS_24const_host_device_scalarIT6_EEPKT4_S3_PKS5_S9_S3_SB_S6_S9_S3_SB_S9_S3_PS5_21rocsparse_index_base_SD_SD_SD_bbb.has_dyn_sized_stack, 0
	.set _ZN9rocsparseL41csrgemm_numeric_fill_block_per_row_kernelILj1024ELj64ELj32768ELj137ELj64ElifEEvT5_PKS1_S3_NS_24const_host_device_scalarIT6_EEPKT4_S3_PKS5_S9_S3_SB_S6_S9_S3_SB_S9_S3_PS5_21rocsparse_index_base_SD_SD_SD_bbb.has_recursion, 0
	.set _ZN9rocsparseL41csrgemm_numeric_fill_block_per_row_kernelILj1024ELj64ELj32768ELj137ELj64ElifEEvT5_PKS1_S3_NS_24const_host_device_scalarIT6_EEPKT4_S3_PKS5_S9_S3_SB_S6_S9_S3_SB_S9_S3_PS5_21rocsparse_index_base_SD_SD_SD_bbb.has_indirect_call, 0
	.section	.AMDGPU.csdata,"",@progbits
; Kernel info:
; codeLenInByte = 3260
; TotalNumSgprs: 67
; NumVgprs: 30
; NumAgprs: 0
; TotalNumVgprs: 30
; ScratchSize: 0
; MemoryBound: 0
; FloatMode: 240
; IeeeMode: 1
; LDSByteSize: 0 bytes/workgroup (compile time only)
; SGPRBlocks: 8
; VGPRBlocks: 3
; NumSGPRsForWavesPerEU: 67
; NumVGPRsForWavesPerEU: 30
; AccumOffset: 32
; Occupancy: 8
; WaveLimiterHint : 1
; COMPUTE_PGM_RSRC2:SCRATCH_EN: 0
; COMPUTE_PGM_RSRC2:USER_SGPR: 2
; COMPUTE_PGM_RSRC2:TRAP_HANDLER: 0
; COMPUTE_PGM_RSRC2:TGID_X_EN: 1
; COMPUTE_PGM_RSRC2:TGID_Y_EN: 0
; COMPUTE_PGM_RSRC2:TGID_Z_EN: 0
; COMPUTE_PGM_RSRC2:TIDIG_COMP_CNT: 0
; COMPUTE_PGM_RSRC3_GFX90A:ACCUM_OFFSET: 7
; COMPUTE_PGM_RSRC3_GFX90A:TG_SPLIT: 0
	.section	.text._ZN9rocsparseL51csrgemm_numeric_fill_block_per_row_multipass_kernelILj512ELj16ELj2048ELj32ElifEEvT4_PKS1_S3_NS_24const_host_device_scalarIT5_EEPKT3_S3_PKS5_S9_S3_SB_S6_S9_S3_SB_S9_S3_PS5_PS7_21rocsparse_index_base_SE_SE_SE_bbb,"axG",@progbits,_ZN9rocsparseL51csrgemm_numeric_fill_block_per_row_multipass_kernelILj512ELj16ELj2048ELj32ElifEEvT4_PKS1_S3_NS_24const_host_device_scalarIT5_EEPKT3_S3_PKS5_S9_S3_SB_S6_S9_S3_SB_S9_S3_PS5_PS7_21rocsparse_index_base_SE_SE_SE_bbb,comdat
	.globl	_ZN9rocsparseL51csrgemm_numeric_fill_block_per_row_multipass_kernelILj512ELj16ELj2048ELj32ElifEEvT4_PKS1_S3_NS_24const_host_device_scalarIT5_EEPKT3_S3_PKS5_S9_S3_SB_S6_S9_S3_SB_S9_S3_PS5_PS7_21rocsparse_index_base_SE_SE_SE_bbb ; -- Begin function _ZN9rocsparseL51csrgemm_numeric_fill_block_per_row_multipass_kernelILj512ELj16ELj2048ELj32ElifEEvT4_PKS1_S3_NS_24const_host_device_scalarIT5_EEPKT3_S3_PKS5_S9_S3_SB_S6_S9_S3_SB_S9_S3_PS5_PS7_21rocsparse_index_base_SE_SE_SE_bbb
	.p2align	8
	.type	_ZN9rocsparseL51csrgemm_numeric_fill_block_per_row_multipass_kernelILj512ELj16ELj2048ELj32ElifEEvT4_PKS1_S3_NS_24const_host_device_scalarIT5_EEPKT3_S3_PKS5_S9_S3_SB_S6_S9_S3_SB_S9_S3_PS5_PS7_21rocsparse_index_base_SE_SE_SE_bbb,@function
_ZN9rocsparseL51csrgemm_numeric_fill_block_per_row_multipass_kernelILj512ELj16ELj2048ELj32ElifEEvT4_PKS1_S3_NS_24const_host_device_scalarIT5_EEPKT3_S3_PKS5_S9_S3_SB_S6_S9_S3_SB_S9_S3_PS5_PS7_21rocsparse_index_base_SE_SE_SE_bbb: ; @_ZN9rocsparseL51csrgemm_numeric_fill_block_per_row_multipass_kernelILj512ELj16ELj2048ELj32ElifEEvT4_PKS1_S3_NS_24const_host_device_scalarIT5_EEPKT3_S3_PKS5_S9_S3_SB_S6_S9_S3_SB_S9_S3_PS5_PS7_21rocsparse_index_base_SE_SE_SE_bbb
; %bb.0:
	s_load_dword s3, s[0:1], 0xa0
	s_load_dwordx4 s[4:7], s[0:1], 0x8
	s_load_dwordx2 s[10:11], s[0:1], 0x18
	s_load_dwordx4 s[60:63], s[0:1], 0x90
	s_load_dwordx2 s[12:13], s[0:1], 0x50
	s_waitcnt lgkmcnt(0)
	s_bitcmp1_b32 s3, 0
	s_cselect_b64 s[8:9], -1, 0
	s_bitcmp1_b32 s3, 16
	s_cselect_b64 s[14:15], -1, 0
	s_xor_b64 s[16:17], s[8:9], -1
	s_or_b64 s[16:17], s[14:15], s[16:17]
	s_and_b64 vcc, exec, s[16:17]
	s_cbranch_vccnz .LBB178_2
; %bb.1:
	s_load_dword s10, s[10:11], 0x0
	s_waitcnt lgkmcnt(0)
	v_mov_b32_e32 v26, s10
	s_branch .LBB178_3
.LBB178_2:
	v_mov_b32_e32 v1, s10
	v_cndmask_b32_e64 v26, 0, v1, s[8:9]
.LBB178_3:
	s_load_dwordx2 s[10:11], s[0:1], 0x20
	s_bitcmp1_b32 s3, 8
	s_cselect_b64 s[42:43], -1, 0
	s_xor_b64 s[16:17], s[42:43], -1
	s_or_b64 s[14:15], s[14:15], s[16:17]
	s_mov_b32 s3, 0
	s_and_b64 vcc, exec, s[14:15]
	s_cbranch_vccnz .LBB178_5
; %bb.4:
	s_load_dword s12, s[12:13], 0x0
	s_waitcnt lgkmcnt(0)
	v_mov_b32_e32 v27, s12
	s_branch .LBB178_6
.LBB178_5:
	v_mov_b32_e32 v1, s12
	v_cndmask_b32_e64 v27, 0, v1, s[42:43]
.LBB178_6:
	s_load_dword s4, s[4:5], 0x0
	v_cndmask_b32_e64 v1, 0, 1, s[8:9]
	s_mov_b64 s[68:69], 0
	s_waitcnt lgkmcnt(0)
	s_add_i32 s2, s4, s2
	s_lshl_b64 s[2:3], s[2:3], 2
	s_add_u32 s2, s6, s2
	s_addc_u32 s3, s7, s3
	s_load_dword s6, s[2:3], 0x0
	v_cmp_ne_u32_e64 s[2:3], 1, v1
	s_andn2_b64 vcc, exec, s[8:9]
	s_mov_b64 s[4:5], 0
	s_cbranch_vccz .LBB178_9
; %bb.7:
	s_and_b64 vcc, exec, s[2:3]
	s_cbranch_vccz .LBB178_10
.LBB178_8:
	s_load_dword s33, s[0:1], 0x0
	s_waitcnt lgkmcnt(0)
	s_cmp_lt_i32 s33, 1
	s_cbranch_scc0 .LBB178_11
	s_branch .LBB178_64
.LBB178_9:
	s_waitcnt lgkmcnt(0)
	s_ashr_i32 s7, s6, 31
	s_lshl_b64 s[4:5], s[6:7], 3
	s_add_u32 s4, s10, s4
	s_addc_u32 s5, s11, s5
	s_load_dwordx2 s[4:5], s[4:5], 0x0
	s_waitcnt lgkmcnt(0)
	s_sub_u32 s4, s4, s60
	s_subb_u32 s5, s5, 0
	s_and_b64 vcc, exec, s[2:3]
	s_cbranch_vccnz .LBB178_8
.LBB178_10:
	s_waitcnt lgkmcnt(0)
	s_ashr_i32 s7, s6, 31
	s_lshl_b64 s[2:3], s[6:7], 3
	s_add_u32 s2, s10, s2
	s_addc_u32 s3, s11, s3
	s_load_dwordx2 s[2:3], s[2:3], 0x8
	s_waitcnt lgkmcnt(0)
	s_sub_u32 s68, s2, s60
	s_subb_u32 s69, s3, 0
	s_load_dword s33, s[0:1], 0x0
	s_waitcnt lgkmcnt(0)
	s_cmp_lt_i32 s33, 1
	s_cbranch_scc1 .LBB178_64
.LBB178_11:
	s_load_dwordx8 s[44:51], s[0:1], 0x58
	s_load_dwordx4 s[64:67], s[0:1], 0x80
	s_load_dwordx8 s[52:59], s[0:1], 0x28
	s_ashr_i32 s7, s6, 31
	s_lshl_b64 s[6:7], s[6:7], 3
	s_waitcnt lgkmcnt(0)
	s_add_u32 s2, s50, s6
	s_addc_u32 s3, s51, s7
	s_load_dwordx2 s[10:11], s[2:3], 0x0
	s_load_dwordx2 s[50:51], s[0:1], 0x48
	v_subrev_co_u32_e64 v6, s[0:1], s63, v0
	v_and_b32_e32 v1, 15, v0
	s_waitcnt lgkmcnt(0)
	s_sub_u32 s40, s10, s62
	s_subb_u32 s41, s11, 0
	v_subb_co_u32_e64 v7, s[0:1], 0, 0, s[0:1]
	s_add_u32 s44, s44, s6
	s_movk_i32 s0, 0x1ff
	s_addc_u32 s45, s45, s7
	v_cmp_eq_u32_e64 s[6:7], s0, v0
	s_movk_i32 s0, 0x60
	v_cmp_gt_u32_e64 s[12:13], s0, v0
	s_movk_i32 s0, 0x80
	v_cmp_gt_u32_e64 s[14:15], s0, v0
	;; [unrolled: 2-line block ×7, first 2 shown]
	s_movk_i32 s0, 0x140
	v_lshrrev_b32_e32 v2, 4, v0
	v_mov_b32_e32 v3, 0
	v_cmp_gt_u32_e64 s[26:27], s0, v0
	s_movk_i32 s0, 0x160
	v_lshl_add_u64 v[4:5], s[4:5], 0, v[2:3]
	v_mov_b32_e32 v2, v1
	v_cmp_eq_u32_e64 s[4:5], 15, v1
	v_mbcnt_lo_u32_b32 v1, -1, 0
	v_cmp_gt_u32_e64 s[28:29], s0, v0
	s_movk_i32 s0, 0x180
	v_mbcnt_hi_u32_b32 v1, -1, v1
	v_cmp_gt_u32_e64 s[30:31], s0, v0
	s_movk_i32 s0, 0x1a0
	v_sub_u32_e32 v1, 63, v1
	v_cmp_gt_u32_e64 s[34:35], s0, v0
	s_movk_i32 s0, 0x1c0
	v_cmp_gt_i64_e32 vcc, s[68:69], v[4:5]
	v_lshrrev_b64 v[8:9], v1, -1
	v_lshrrev_b32_e32 v1, 3, v0
	v_cmp_gt_u32_e64 s[36:37], s0, v0
	s_movk_i32 s0, 0x1e0
	v_cmp_eq_u32_e64 s[2:3], 0, v0
	s_mov_b32 s62, s61
	s_mov_b32 s92, s63
	v_and_b32_e32 v28, 60, v1
	s_and_b64 s[70:71], s[8:9], vcc
	v_cmp_gt_u32_e64 s[8:9], 32, v0
	v_cmp_gt_u32_e64 s[10:11], 64, v0
	;; [unrolled: 1-line block ×3, first 2 shown]
	v_or_b32_e32 v29, 0xfffffe00, v0
	v_lshlrev_b32_e32 v30, 2, v0
	v_mov_b32_e32 v32, 0x800
	v_mov_b64_e32 v[0:1], s[40:41]
	s_movk_i32 s93, 0x5ff
	v_mov_b32_e32 v37, s33
	v_mov_b32_e32 v31, 1
	s_mov_b64 s[72:73], 0x200
	s_mov_b64 s[74:75], 0x800
	v_mov_b32_e32 v33, v3
	s_branch .LBB178_13
.LBB178_12:                             ;   in Loop: Header=BB178_13 Depth=1
	s_or_b64 exec, exec, s[0:1]
	ds_read_b32 v33, v3 offset:10240
	s_waitcnt lgkmcnt(0)
	s_barrier
	v_cmp_le_i32_e32 vcc, s33, v33
	v_add_u32_e32 v32, 0x800, v33
	s_cbranch_vccnz .LBB178_64
.LBB178_13:                             ; =>This Loop Header: Depth=1
                                        ;     Child Loop BB178_14 Depth 2
                                        ;     Child Loop BB178_20 Depth 2
                                        ;       Child Loop BB178_26 Depth 3
                                        ;     Child Loop BB178_43 Depth 2
                                        ;     Child Loop BB178_55 Depth 2
	;; [unrolled: 1-line block ×3, first 2 shown]
	s_mov_b64 s[0:1], 0
	v_mov_b32_e32 v10, v30
	v_mov_b32_e32 v11, v29
.LBB178_14:                             ;   Parent Loop BB178_13 Depth=1
                                        ; =>  This Inner Loop Header: Depth=2
	ds_write_b8 v11, v3 offset:8704
	ds_write_b32 v10, v3
	v_add_u32_e32 v11, 0x200, v11
	v_cmp_lt_u32_e32 vcc, s93, v11
	s_or_b64 s[0:1], vcc, s[0:1]
	v_add_u32_e32 v10, 0x800, v10
	s_andn2_b64 exec, exec, s[0:1]
	s_cbranch_execnz .LBB178_14
; %bb.15:                               ;   in Loop: Header=BB178_13 Depth=1
	s_or_b64 exec, exec, s[0:1]
	s_and_saveexec_b64 s[0:1], s[2:3]
; %bb.16:                               ;   in Loop: Header=BB178_13 Depth=1
	ds_write_b32 v3, v37 offset:10240
; %bb.17:                               ;   in Loop: Header=BB178_13 Depth=1
	s_or_b64 exec, exec, s[0:1]
	v_mov_b32_e32 v34, s33
	s_waitcnt lgkmcnt(0)
	s_barrier
	s_and_saveexec_b64 s[76:77], s[70:71]
	s_cbranch_execz .LBB178_39
; %bb.18:                               ;   in Loop: Header=BB178_13 Depth=1
	s_mov_b64 s[78:79], 0
	v_cmp_ne_u32_e64 s[40:41], 0, v33
	v_mov_b32_e32 v34, s33
	v_mov_b64_e32 v[10:11], v[4:5]
	s_branch .LBB178_20
.LBB178_19:                             ;   in Loop: Header=BB178_20 Depth=2
	s_or_b64 exec, exec, s[0:1]
	v_lshl_add_u64 v[10:11], v[10:11], 0, 32
	v_cmp_le_i64_e32 vcc, s[68:69], v[10:11]
	s_or_b64 s[78:79], vcc, s[78:79]
	s_andn2_b64 exec, exec, s[78:79]
	s_cbranch_execz .LBB178_38
.LBB178_20:                             ;   Parent Loop BB178_13 Depth=1
                                        ; =>  This Loop Header: Depth=2
                                        ;       Child Loop BB178_26 Depth 3
	v_lshlrev_b64 v[12:13], 2, v[10:11]
	v_lshl_add_u64 v[14:15], s[52:53], 0, v[12:13]
	global_load_dword v14, v[14:15], off
	v_lshl_add_u64 v[12:13], s[54:55], 0, v[12:13]
	global_load_dword v20, v[12:13], off
	s_and_b64 vcc, exec, s[40:41]
	v_lshl_add_u64 v[12:13], v[10:11], 3, s[66:67]
	s_waitcnt vmcnt(1)
	v_subrev_u32_e32 v14, s60, v14
	v_ashrrev_i32_e32 v15, 31, v14
	s_cbranch_vccz .LBB178_37
; %bb.21:                               ;   in Loop: Header=BB178_20 Depth=2
	global_load_dwordx2 v[18:19], v[12:13], off
	s_cbranch_execnz .LBB178_23
.LBB178_22:                             ;   in Loop: Header=BB178_20 Depth=2
	v_lshl_add_u64 v[16:17], v[14:15], 3, s[56:57]
	global_load_dwordx2 v[16:17], v[16:17], off
	s_waitcnt vmcnt(0)
	v_subrev_co_u32_e32 v18, vcc, s62, v16
	s_nop 1
	v_subbrev_co_u32_e32 v19, vcc, 0, v17, vcc
.LBB178_23:                             ;   in Loop: Header=BB178_20 Depth=2
	v_lshl_add_u64 v[14:15], v[14:15], 3, s[56:57]
	global_load_dwordx2 v[14:15], v[14:15], off offset:8
	s_waitcnt vmcnt(0)
	v_subrev_co_u32_e32 v16, vcc, s62, v14
	s_nop 1
	v_subbrev_co_u32_e32 v17, vcc, 0, v15, vcc
	v_lshl_add_u64 v[14:15], v[18:19], 0, v[2:3]
	v_cmp_lt_i64_e32 vcc, v[14:15], v[16:17]
	s_and_saveexec_b64 s[80:81], vcc
	s_cbranch_execz .LBB178_35
; %bb.24:                               ;   in Loop: Header=BB178_20 Depth=2
	v_mul_f32_e32 v35, v26, v20
	v_lshlrev_b64 v[20:21], 2, v[14:15]
	v_lshl_add_u64 v[18:19], s[58:59], 0, v[20:21]
	v_lshl_add_u64 v[20:21], s[50:51], 0, v[20:21]
	s_mov_b64 s[84:85], 0
	v_mov_b64_e32 v[24:25], v[14:15]
                                        ; implicit-def: $sgpr82_sgpr83
                                        ; implicit-def: $sgpr86_sgpr87
	s_branch .LBB178_26
.LBB178_25:                             ;   in Loop: Header=BB178_26 Depth=3
	s_or_b64 exec, exec, s[90:91]
	s_and_b64 s[0:1], exec, s[88:89]
	s_or_b64 s[84:85], s[0:1], s[84:85]
	s_andn2_b64 s[0:1], s[82:83], exec
	s_and_b64 s[82:83], s[86:87], exec
	s_or_b64 s[82:83], s[0:1], s[82:83]
	s_andn2_b64 exec, exec, s[84:85]
	s_cbranch_execz .LBB178_32
.LBB178_26:                             ;   Parent Loop BB178_13 Depth=1
                                        ;     Parent Loop BB178_20 Depth=2
                                        ; =>    This Inner Loop Header: Depth=3
	global_load_dword v36, v[18:19], off
	v_mov_b64_e32 v[22:23], v[24:25]
	s_waitcnt vmcnt(0)
	v_subrev_u32_e32 v36, s61, v36
	v_cmp_lt_i32_e32 vcc, v36, v33
	v_cmp_ge_i32_e64 s[0:1], v36, v32
	s_or_b64 s[88:89], vcc, s[0:1]
	s_mov_b64 s[0:1], 0
	s_and_saveexec_b64 s[90:91], s[88:89]
	s_xor_b64 s[88:89], exec, s[90:91]
; %bb.27:                               ;   in Loop: Header=BB178_26 Depth=3
	v_cmp_lt_i32_e32 vcc, v36, v32
	s_and_b64 s[0:1], vcc, exec
; %bb.28:                               ;   in Loop: Header=BB178_26 Depth=3
	s_andn2_saveexec_b64 s[88:89], s[88:89]
	s_cbranch_execz .LBB178_30
; %bb.29:                               ;   in Loop: Header=BB178_26 Depth=3
	global_load_dword v24, v[20:21], off
	v_sub_u32_e32 v25, v36, v33
	ds_write_b8 v25, v31 offset:8192
	v_lshlrev_b32_e32 v25, 2, v25
	s_or_b64 s[0:1], s[0:1], exec
	s_waitcnt vmcnt(0)
	v_mul_f32_e32 v24, v35, v24
	ds_add_f32 v25, v24
.LBB178_30:                             ;   in Loop: Header=BB178_26 Depth=3
	s_or_b64 exec, exec, s[88:89]
	s_mov_b64 s[88:89], -1
	s_or_b64 s[86:87], s[86:87], exec
                                        ; implicit-def: $vgpr24_vgpr25
	s_and_saveexec_b64 s[90:91], s[0:1]
	s_cbranch_execz .LBB178_25
; %bb.31:                               ;   in Loop: Header=BB178_26 Depth=3
	v_lshl_add_u64 v[24:25], v[22:23], 0, 16
	v_cmp_ge_i64_e32 vcc, v[24:25], v[16:17]
	v_lshl_add_u64 v[18:19], v[18:19], 0, 64
	v_lshl_add_u64 v[20:21], v[20:21], 0, 64
	s_andn2_b64 s[86:87], s[86:87], exec
	s_orn2_b64 s[88:89], vcc, exec
	s_branch .LBB178_25
.LBB178_32:                             ;   in Loop: Header=BB178_20 Depth=2
	s_or_b64 exec, exec, s[84:85]
	s_and_saveexec_b64 s[0:1], s[82:83]
	s_xor_b64 s[0:1], exec, s[0:1]
; %bb.33:                               ;   in Loop: Header=BB178_20 Depth=2
	v_min_i32_e32 v34, v36, v34
	v_mov_b64_e32 v[14:15], v[22:23]
; %bb.34:                               ;   in Loop: Header=BB178_20 Depth=2
	s_or_b64 exec, exec, s[0:1]
.LBB178_35:                             ;   in Loop: Header=BB178_20 Depth=2
	s_or_b64 exec, exec, s[80:81]
	v_mov_b32_dpp v16, v14 row_shr:1 row_mask:0xf bank_mask:0xf
	v_mov_b32_dpp v17, v15 row_shr:1 row_mask:0xf bank_mask:0xf
	v_cmp_lt_i64_e32 vcc, v[16:17], v[14:15]
	s_nop 1
	v_cndmask_b32_e32 v15, v15, v17, vcc
	v_cndmask_b32_e32 v14, v14, v16, vcc
	s_nop 0
	v_mov_b32_dpp v17, v15 row_shr:2 row_mask:0xf bank_mask:0xf
	v_mov_b32_dpp v16, v14 row_shr:2 row_mask:0xf bank_mask:0xf
	v_cmp_lt_i64_e32 vcc, v[16:17], v[14:15]
	s_nop 1
	v_cndmask_b32_e32 v15, v15, v17, vcc
	v_cndmask_b32_e32 v14, v14, v16, vcc
	s_nop 0
	;; [unrolled: 7-line block ×3, first 2 shown]
	v_mov_b32_dpp v18, v15 row_shr:8 row_mask:0xf bank_mask:0xc
	v_mov_b32_dpp v16, v14 row_shr:8 row_mask:0xf bank_mask:0xc
	s_and_saveexec_b64 s[0:1], s[4:5]
	s_cbranch_execz .LBB178_19
; %bb.36:                               ;   in Loop: Header=BB178_20 Depth=2
	v_mov_b32_e32 v17, v18
	v_cmp_lt_i64_e32 vcc, v[16:17], v[14:15]
	s_nop 1
	v_cndmask_b32_e32 v15, v15, v18, vcc
	v_cndmask_b32_e32 v14, v14, v16, vcc
	global_store_dwordx2 v[12:13], v[14:15], off
	s_branch .LBB178_19
.LBB178_37:                             ;   in Loop: Header=BB178_20 Depth=2
                                        ; implicit-def: $vgpr18_vgpr19
	s_branch .LBB178_22
.LBB178_38:                             ;   in Loop: Header=BB178_13 Depth=1
	s_or_b64 exec, exec, s[78:79]
.LBB178_39:                             ;   in Loop: Header=BB178_13 Depth=1
	s_or_b64 exec, exec, s[76:77]
	s_andn2_b64 vcc, exec, s[42:43]
	s_cbranch_vccnz .LBB178_53
; %bb.40:                               ;   in Loop: Header=BB178_13 Depth=1
	s_load_dwordx4 s[80:83], s[44:45], 0x0
	s_waitcnt lgkmcnt(0)
	s_sub_u32 s76, s82, s92
	s_subb_u32 s77, s83, 0
	v_lshl_add_u64 v[10:11], s[80:81], 0, v[6:7]
	v_cmp_gt_i64_e32 vcc, s[76:77], v[10:11]
	s_and_saveexec_b64 s[40:41], vcc
	s_cbranch_execz .LBB178_52
; %bb.41:                               ;   in Loop: Header=BB178_13 Depth=1
	v_lshlrev_b64 v[14:15], 2, v[10:11]
	v_lshl_add_u64 v[12:13], s[46:47], 0, v[14:15]
	v_lshl_add_u64 v[14:15], s[48:49], 0, v[14:15]
	s_mov_b64 s[78:79], 0
                                        ; implicit-def: $sgpr80_sgpr81
                                        ; implicit-def: $sgpr82_sgpr83
	s_branch .LBB178_43
.LBB178_42:                             ;   in Loop: Header=BB178_43 Depth=2
	s_or_b64 exec, exec, s[86:87]
	s_and_b64 s[0:1], exec, s[84:85]
	s_or_b64 s[78:79], s[0:1], s[78:79]
	s_andn2_b64 s[0:1], s[80:81], exec
	s_and_b64 s[80:81], s[82:83], exec
	s_or_b64 s[80:81], s[0:1], s[80:81]
	s_andn2_b64 exec, exec, s[78:79]
	s_cbranch_execz .LBB178_49
.LBB178_43:                             ;   Parent Loop BB178_13 Depth=1
                                        ; =>  This Inner Loop Header: Depth=2
	global_load_dword v16, v[12:13], off
	s_waitcnt vmcnt(0)
	v_subrev_u32_e32 v16, s63, v16
	v_cmp_lt_i32_e32 vcc, v16, v33
	v_cmp_ge_i32_e64 s[0:1], v16, v32
	s_or_b64 s[84:85], vcc, s[0:1]
	s_mov_b64 s[0:1], 0
	s_and_saveexec_b64 s[86:87], s[84:85]
	s_xor_b64 s[84:85], exec, s[86:87]
; %bb.44:                               ;   in Loop: Header=BB178_43 Depth=2
	v_cmp_lt_i32_e32 vcc, v16, v32
	s_and_b64 s[0:1], vcc, exec
; %bb.45:                               ;   in Loop: Header=BB178_43 Depth=2
	s_andn2_saveexec_b64 s[84:85], s[84:85]
	s_cbranch_execz .LBB178_47
; %bb.46:                               ;   in Loop: Header=BB178_43 Depth=2
	global_load_dword v17, v[14:15], off
	v_sub_u32_e32 v18, v16, v33
	ds_write_b8 v18, v31 offset:8192
	v_lshlrev_b32_e32 v18, 2, v18
	s_or_b64 s[0:1], s[0:1], exec
	s_waitcnt vmcnt(0)
	v_mul_f32_e32 v17, v27, v17
	ds_add_f32 v18, v17
.LBB178_47:                             ;   in Loop: Header=BB178_43 Depth=2
	s_or_b64 exec, exec, s[84:85]
	s_mov_b64 s[84:85], -1
	s_or_b64 s[82:83], s[82:83], exec
	s_and_saveexec_b64 s[86:87], s[0:1]
	s_cbranch_execz .LBB178_42
; %bb.48:                               ;   in Loop: Header=BB178_43 Depth=2
	v_lshl_add_u64 v[10:11], v[10:11], 0, s[72:73]
	v_cmp_le_i64_e32 vcc, s[76:77], v[10:11]
	v_lshl_add_u64 v[12:13], v[12:13], 0, s[74:75]
	v_lshl_add_u64 v[14:15], v[14:15], 0, s[74:75]
	s_andn2_b64 s[82:83], s[82:83], exec
	s_orn2_b64 s[84:85], vcc, exec
	s_branch .LBB178_42
.LBB178_49:                             ;   in Loop: Header=BB178_13 Depth=1
	s_or_b64 exec, exec, s[78:79]
	s_and_saveexec_b64 s[0:1], s[80:81]
	s_xor_b64 s[0:1], exec, s[0:1]
; %bb.50:                               ;   in Loop: Header=BB178_13 Depth=1
	v_min_i32_e32 v34, v16, v34
; %bb.51:                               ;   in Loop: Header=BB178_13 Depth=1
	s_or_b64 exec, exec, s[0:1]
.LBB178_52:                             ;   in Loop: Header=BB178_13 Depth=1
	s_or_b64 exec, exec, s[40:41]
.LBB178_53:                             ;   in Loop: Header=BB178_13 Depth=1
	v_mov_b32_dpp v10, v34 row_shr:1 row_mask:0xf bank_mask:0xf
	v_min_i32_e32 v10, v10, v34
	s_nop 1
	v_mov_b32_dpp v11, v10 row_shr:2 row_mask:0xf bank_mask:0xf
	v_min_i32_e32 v10, v11, v10
	s_nop 1
	v_mov_b32_dpp v11, v10 row_shr:4 row_mask:0xf bank_mask:0xe
	v_min_i32_e32 v10, v11, v10
	s_nop 1
	v_mov_b32_dpp v11, v10 row_shr:8 row_mask:0xf bank_mask:0xc
	s_and_saveexec_b64 s[0:1], s[4:5]
	s_cbranch_execz .LBB178_58
; %bb.54:                               ;   in Loop: Header=BB178_13 Depth=1
	s_mov_b64 s[40:41], exec
	v_min_i32_e32 v10, v11, v10
	s_brev_b32 s76, -2
.LBB178_55:                             ;   Parent Loop BB178_13 Depth=1
                                        ; =>  This Inner Loop Header: Depth=2
	s_ff1_i32_b64 s77, s[40:41]
	v_readlane_b32 s80, v10, s77
	s_lshl_b64 s[78:79], 1, s77
	s_min_i32 s76, s76, s80
	s_andn2_b64 s[40:41], s[40:41], s[78:79]
	s_cmp_lg_u64 s[40:41], 0
	s_cbranch_scc1 .LBB178_55
; %bb.56:                               ;   in Loop: Header=BB178_13 Depth=1
	v_mbcnt_lo_u32_b32 v10, exec_lo, 0
	v_mbcnt_hi_u32_b32 v10, exec_hi, v10
	v_cmp_eq_u32_e32 vcc, 0, v10
	s_and_saveexec_b64 s[40:41], vcc
	s_xor_b64 s[40:41], exec, s[40:41]
; %bb.57:                               ;   in Loop: Header=BB178_13 Depth=1
	v_mov_b32_e32 v10, s76
	ds_min_i32 v3, v10 offset:10240
.LBB178_58:                             ;   in Loop: Header=BB178_13 Depth=1
	s_or_b64 exec, exec, s[0:1]
	s_mov_b64 s[0:1], 0
	v_mov_b32_e32 v12, v30
	v_mov_b32_e32 v13, v29
	s_waitcnt lgkmcnt(0)
	s_barrier
	s_branch .LBB178_60
.LBB178_59:                             ;   in Loop: Header=BB178_60 Depth=2
	s_or_b64 exec, exec, s[40:41]
	s_waitcnt lgkmcnt(0)
	s_barrier
	ds_read_b32 v10, v3 offset:60
	v_add_u32_e32 v13, 0x200, v13
	v_cmp_lt_u32_e32 vcc, s93, v13
	s_or_b64 s[0:1], vcc, s[0:1]
	v_add_u32_e32 v12, 0x800, v12
	s_waitcnt lgkmcnt(0)
	v_ashrrev_i32_e32 v11, 31, v10
	v_lshl_add_u64 v[0:1], v[0:1], 0, v[10:11]
	s_andn2_b64 exec, exec, s[0:1]
	s_cbranch_execz .LBB178_12
.LBB178_60:                             ;   Parent Loop BB178_13 Depth=1
                                        ; =>  This Inner Loop Header: Depth=2
	ds_read_u8 v11, v13 offset:8704
	ds_read_b32 v14, v12
	s_waitcnt lgkmcnt(0)
	s_barrier
	v_cmp_ne_u16_e32 vcc, 0, v11
	s_bcnt1_i32_b64 s40, vcc
	v_mov_b32_e32 v16, s40
	ds_write_b32 v28, v16
	s_waitcnt lgkmcnt(0)
	s_barrier
	ds_read_b128 v[16:19], v3
	v_and_b32_e32 v15, vcc_lo, v8
	v_and_b32_e32 v10, vcc_hi, v9
	v_bcnt_u32_b32 v15, v15, 0
	ds_read_b128 v[20:23], v3 offset:16
	ds_read_b128 v[32:35], v3 offset:32
	ds_read_b96 v[38:40], v3 offset:48
	v_bcnt_u32_b32 v10, v10, v15
	s_waitcnt lgkmcnt(3)
	v_cndmask_b32_e64 v15, v16, 0, s[8:9]
	v_add_u32_e32 v10, v15, v10
	v_cndmask_b32_e64 v15, v17, 0, s[10:11]
	v_cndmask_b32_e64 v16, v18, 0, s[12:13]
	v_add3_u32 v10, v10, v15, v16
	v_cndmask_b32_e64 v15, v19, 0, s[14:15]
	s_waitcnt lgkmcnt(2)
	v_cndmask_b32_e64 v16, v20, 0, s[16:17]
	v_add3_u32 v10, v10, v15, v16
	v_cndmask_b32_e64 v15, v21, 0, s[18:19]
	v_cndmask_b32_e64 v16, v22, 0, s[20:21]
	v_add3_u32 v10, v10, v15, v16
	v_cndmask_b32_e64 v15, v23, 0, s[22:23]
	s_waitcnt lgkmcnt(1)
	v_cndmask_b32_e64 v16, v32, 0, s[24:25]
	v_add3_u32 v10, v10, v15, v16
	;; [unrolled: 7-line block ×3, first 2 shown]
	v_cndmask_b32_e64 v15, v39, 0, s[36:37]
	v_cndmask_b32_e64 v16, v40, 0, s[38:39]
	v_and_b32_e32 v11, 1, v11
	v_add3_u32 v10, v10, v15, v16
	v_cmp_eq_u32_e32 vcc, 1, v11
	s_and_saveexec_b64 s[40:41], vcc
	s_cbranch_execz .LBB178_62
; %bb.61:                               ;   in Loop: Header=BB178_60 Depth=2
	v_lshl_add_u64 v[16:17], v[0:1], 2, s[64:65]
	v_ashrrev_i32_e32 v11, 31, v10
	v_lshl_add_u64 v[16:17], v[10:11], 2, v[16:17]
	global_store_dword v[16:17], v14, off offset:-4
.LBB178_62:                             ;   in Loop: Header=BB178_60 Depth=2
	s_or_b64 exec, exec, s[40:41]
	s_and_saveexec_b64 s[40:41], s[6:7]
	s_cbranch_execz .LBB178_59
; %bb.63:                               ;   in Loop: Header=BB178_60 Depth=2
	ds_write_b32 v3, v10 offset:60
	s_branch .LBB178_59
.LBB178_64:
	s_endpgm
	.section	.rodata,"a",@progbits
	.p2align	6, 0x0
	.amdhsa_kernel _ZN9rocsparseL51csrgemm_numeric_fill_block_per_row_multipass_kernelILj512ELj16ELj2048ELj32ElifEEvT4_PKS1_S3_NS_24const_host_device_scalarIT5_EEPKT3_S3_PKS5_S9_S3_SB_S6_S9_S3_SB_S9_S3_PS5_PS7_21rocsparse_index_base_SE_SE_SE_bbb
		.amdhsa_group_segment_fixed_size 10244
		.amdhsa_private_segment_fixed_size 0
		.amdhsa_kernarg_size 164
		.amdhsa_user_sgpr_count 2
		.amdhsa_user_sgpr_dispatch_ptr 0
		.amdhsa_user_sgpr_queue_ptr 0
		.amdhsa_user_sgpr_kernarg_segment_ptr 1
		.amdhsa_user_sgpr_dispatch_id 0
		.amdhsa_user_sgpr_kernarg_preload_length 0
		.amdhsa_user_sgpr_kernarg_preload_offset 0
		.amdhsa_user_sgpr_private_segment_size 0
		.amdhsa_uses_dynamic_stack 0
		.amdhsa_enable_private_segment 0
		.amdhsa_system_sgpr_workgroup_id_x 1
		.amdhsa_system_sgpr_workgroup_id_y 0
		.amdhsa_system_sgpr_workgroup_id_z 0
		.amdhsa_system_sgpr_workgroup_info 0
		.amdhsa_system_vgpr_workitem_id 0
		.amdhsa_next_free_vgpr 41
		.amdhsa_next_free_sgpr 94
		.amdhsa_accum_offset 44
		.amdhsa_reserve_vcc 1
		.amdhsa_float_round_mode_32 0
		.amdhsa_float_round_mode_16_64 0
		.amdhsa_float_denorm_mode_32 3
		.amdhsa_float_denorm_mode_16_64 3
		.amdhsa_dx10_clamp 1
		.amdhsa_ieee_mode 1
		.amdhsa_fp16_overflow 0
		.amdhsa_tg_split 0
		.amdhsa_exception_fp_ieee_invalid_op 0
		.amdhsa_exception_fp_denorm_src 0
		.amdhsa_exception_fp_ieee_div_zero 0
		.amdhsa_exception_fp_ieee_overflow 0
		.amdhsa_exception_fp_ieee_underflow 0
		.amdhsa_exception_fp_ieee_inexact 0
		.amdhsa_exception_int_div_zero 0
	.end_amdhsa_kernel
	.section	.text._ZN9rocsparseL51csrgemm_numeric_fill_block_per_row_multipass_kernelILj512ELj16ELj2048ELj32ElifEEvT4_PKS1_S3_NS_24const_host_device_scalarIT5_EEPKT3_S3_PKS5_S9_S3_SB_S6_S9_S3_SB_S9_S3_PS5_PS7_21rocsparse_index_base_SE_SE_SE_bbb,"axG",@progbits,_ZN9rocsparseL51csrgemm_numeric_fill_block_per_row_multipass_kernelILj512ELj16ELj2048ELj32ElifEEvT4_PKS1_S3_NS_24const_host_device_scalarIT5_EEPKT3_S3_PKS5_S9_S3_SB_S6_S9_S3_SB_S9_S3_PS5_PS7_21rocsparse_index_base_SE_SE_SE_bbb,comdat
.Lfunc_end178:
	.size	_ZN9rocsparseL51csrgemm_numeric_fill_block_per_row_multipass_kernelILj512ELj16ELj2048ELj32ElifEEvT4_PKS1_S3_NS_24const_host_device_scalarIT5_EEPKT3_S3_PKS5_S9_S3_SB_S6_S9_S3_SB_S9_S3_PS5_PS7_21rocsparse_index_base_SE_SE_SE_bbb, .Lfunc_end178-_ZN9rocsparseL51csrgemm_numeric_fill_block_per_row_multipass_kernelILj512ELj16ELj2048ELj32ElifEEvT4_PKS1_S3_NS_24const_host_device_scalarIT5_EEPKT3_S3_PKS5_S9_S3_SB_S6_S9_S3_SB_S9_S3_PS5_PS7_21rocsparse_index_base_SE_SE_SE_bbb
                                        ; -- End function
	.set _ZN9rocsparseL51csrgemm_numeric_fill_block_per_row_multipass_kernelILj512ELj16ELj2048ELj32ElifEEvT4_PKS1_S3_NS_24const_host_device_scalarIT5_EEPKT3_S3_PKS5_S9_S3_SB_S6_S9_S3_SB_S9_S3_PS5_PS7_21rocsparse_index_base_SE_SE_SE_bbb.num_vgpr, 41
	.set _ZN9rocsparseL51csrgemm_numeric_fill_block_per_row_multipass_kernelILj512ELj16ELj2048ELj32ElifEEvT4_PKS1_S3_NS_24const_host_device_scalarIT5_EEPKT3_S3_PKS5_S9_S3_SB_S6_S9_S3_SB_S9_S3_PS5_PS7_21rocsparse_index_base_SE_SE_SE_bbb.num_agpr, 0
	.set _ZN9rocsparseL51csrgemm_numeric_fill_block_per_row_multipass_kernelILj512ELj16ELj2048ELj32ElifEEvT4_PKS1_S3_NS_24const_host_device_scalarIT5_EEPKT3_S3_PKS5_S9_S3_SB_S6_S9_S3_SB_S9_S3_PS5_PS7_21rocsparse_index_base_SE_SE_SE_bbb.numbered_sgpr, 94
	.set _ZN9rocsparseL51csrgemm_numeric_fill_block_per_row_multipass_kernelILj512ELj16ELj2048ELj32ElifEEvT4_PKS1_S3_NS_24const_host_device_scalarIT5_EEPKT3_S3_PKS5_S9_S3_SB_S6_S9_S3_SB_S9_S3_PS5_PS7_21rocsparse_index_base_SE_SE_SE_bbb.num_named_barrier, 0
	.set _ZN9rocsparseL51csrgemm_numeric_fill_block_per_row_multipass_kernelILj512ELj16ELj2048ELj32ElifEEvT4_PKS1_S3_NS_24const_host_device_scalarIT5_EEPKT3_S3_PKS5_S9_S3_SB_S6_S9_S3_SB_S9_S3_PS5_PS7_21rocsparse_index_base_SE_SE_SE_bbb.private_seg_size, 0
	.set _ZN9rocsparseL51csrgemm_numeric_fill_block_per_row_multipass_kernelILj512ELj16ELj2048ELj32ElifEEvT4_PKS1_S3_NS_24const_host_device_scalarIT5_EEPKT3_S3_PKS5_S9_S3_SB_S6_S9_S3_SB_S9_S3_PS5_PS7_21rocsparse_index_base_SE_SE_SE_bbb.uses_vcc, 1
	.set _ZN9rocsparseL51csrgemm_numeric_fill_block_per_row_multipass_kernelILj512ELj16ELj2048ELj32ElifEEvT4_PKS1_S3_NS_24const_host_device_scalarIT5_EEPKT3_S3_PKS5_S9_S3_SB_S6_S9_S3_SB_S9_S3_PS5_PS7_21rocsparse_index_base_SE_SE_SE_bbb.uses_flat_scratch, 0
	.set _ZN9rocsparseL51csrgemm_numeric_fill_block_per_row_multipass_kernelILj512ELj16ELj2048ELj32ElifEEvT4_PKS1_S3_NS_24const_host_device_scalarIT5_EEPKT3_S3_PKS5_S9_S3_SB_S6_S9_S3_SB_S9_S3_PS5_PS7_21rocsparse_index_base_SE_SE_SE_bbb.has_dyn_sized_stack, 0
	.set _ZN9rocsparseL51csrgemm_numeric_fill_block_per_row_multipass_kernelILj512ELj16ELj2048ELj32ElifEEvT4_PKS1_S3_NS_24const_host_device_scalarIT5_EEPKT3_S3_PKS5_S9_S3_SB_S6_S9_S3_SB_S9_S3_PS5_PS7_21rocsparse_index_base_SE_SE_SE_bbb.has_recursion, 0
	.set _ZN9rocsparseL51csrgemm_numeric_fill_block_per_row_multipass_kernelILj512ELj16ELj2048ELj32ElifEEvT4_PKS1_S3_NS_24const_host_device_scalarIT5_EEPKT3_S3_PKS5_S9_S3_SB_S6_S9_S3_SB_S9_S3_PS5_PS7_21rocsparse_index_base_SE_SE_SE_bbb.has_indirect_call, 0
	.section	.AMDGPU.csdata,"",@progbits
; Kernel info:
; codeLenInByte = 2532
; TotalNumSgprs: 100
; NumVgprs: 41
; NumAgprs: 0
; TotalNumVgprs: 41
; ScratchSize: 0
; MemoryBound: 0
; FloatMode: 240
; IeeeMode: 1
; LDSByteSize: 10244 bytes/workgroup (compile time only)
; SGPRBlocks: 12
; VGPRBlocks: 5
; NumSGPRsForWavesPerEU: 100
; NumVGPRsForWavesPerEU: 41
; AccumOffset: 44
; Occupancy: 8
; WaveLimiterHint : 1
; COMPUTE_PGM_RSRC2:SCRATCH_EN: 0
; COMPUTE_PGM_RSRC2:USER_SGPR: 2
; COMPUTE_PGM_RSRC2:TRAP_HANDLER: 0
; COMPUTE_PGM_RSRC2:TGID_X_EN: 1
; COMPUTE_PGM_RSRC2:TGID_Y_EN: 0
; COMPUTE_PGM_RSRC2:TGID_Z_EN: 0
; COMPUTE_PGM_RSRC2:TIDIG_COMP_CNT: 0
; COMPUTE_PGM_RSRC3_GFX90A:ACCUM_OFFSET: 10
; COMPUTE_PGM_RSRC3_GFX90A:TG_SPLIT: 0
	.section	.text._ZN9rocsparseL51csrgemm_numeric_fill_block_per_row_multipass_kernelILj512ELj16ELj2048ELj64ElifEEvT4_PKS1_S3_NS_24const_host_device_scalarIT5_EEPKT3_S3_PKS5_S9_S3_SB_S6_S9_S3_SB_S9_S3_PS5_PS7_21rocsparse_index_base_SE_SE_SE_bbb,"axG",@progbits,_ZN9rocsparseL51csrgemm_numeric_fill_block_per_row_multipass_kernelILj512ELj16ELj2048ELj64ElifEEvT4_PKS1_S3_NS_24const_host_device_scalarIT5_EEPKT3_S3_PKS5_S9_S3_SB_S6_S9_S3_SB_S9_S3_PS5_PS7_21rocsparse_index_base_SE_SE_SE_bbb,comdat
	.globl	_ZN9rocsparseL51csrgemm_numeric_fill_block_per_row_multipass_kernelILj512ELj16ELj2048ELj64ElifEEvT4_PKS1_S3_NS_24const_host_device_scalarIT5_EEPKT3_S3_PKS5_S9_S3_SB_S6_S9_S3_SB_S9_S3_PS5_PS7_21rocsparse_index_base_SE_SE_SE_bbb ; -- Begin function _ZN9rocsparseL51csrgemm_numeric_fill_block_per_row_multipass_kernelILj512ELj16ELj2048ELj64ElifEEvT4_PKS1_S3_NS_24const_host_device_scalarIT5_EEPKT3_S3_PKS5_S9_S3_SB_S6_S9_S3_SB_S9_S3_PS5_PS7_21rocsparse_index_base_SE_SE_SE_bbb
	.p2align	8
	.type	_ZN9rocsparseL51csrgemm_numeric_fill_block_per_row_multipass_kernelILj512ELj16ELj2048ELj64ElifEEvT4_PKS1_S3_NS_24const_host_device_scalarIT5_EEPKT3_S3_PKS5_S9_S3_SB_S6_S9_S3_SB_S9_S3_PS5_PS7_21rocsparse_index_base_SE_SE_SE_bbb,@function
_ZN9rocsparseL51csrgemm_numeric_fill_block_per_row_multipass_kernelILj512ELj16ELj2048ELj64ElifEEvT4_PKS1_S3_NS_24const_host_device_scalarIT5_EEPKT3_S3_PKS5_S9_S3_SB_S6_S9_S3_SB_S9_S3_PS5_PS7_21rocsparse_index_base_SE_SE_SE_bbb: ; @_ZN9rocsparseL51csrgemm_numeric_fill_block_per_row_multipass_kernelILj512ELj16ELj2048ELj64ElifEEvT4_PKS1_S3_NS_24const_host_device_scalarIT5_EEPKT3_S3_PKS5_S9_S3_SB_S6_S9_S3_SB_S9_S3_PS5_PS7_21rocsparse_index_base_SE_SE_SE_bbb
; %bb.0:
	s_load_dword s3, s[0:1], 0xa0
	s_load_dwordx4 s[4:7], s[0:1], 0x8
	s_load_dwordx2 s[10:11], s[0:1], 0x18
	s_load_dwordx4 s[28:31], s[0:1], 0x90
	s_load_dwordx2 s[12:13], s[0:1], 0x50
	s_waitcnt lgkmcnt(0)
	s_bitcmp1_b32 s3, 0
	s_cselect_b64 s[8:9], -1, 0
	s_bitcmp1_b32 s3, 16
	s_cselect_b64 s[14:15], -1, 0
	s_xor_b64 s[16:17], s[8:9], -1
	s_or_b64 s[16:17], s[14:15], s[16:17]
	s_and_b64 vcc, exec, s[16:17]
	s_cbranch_vccnz .LBB179_2
; %bb.1:
	s_load_dword s10, s[10:11], 0x0
	s_waitcnt lgkmcnt(0)
	v_mov_b32_e32 v26, s10
	s_branch .LBB179_3
.LBB179_2:
	v_mov_b32_e32 v1, s10
	v_cndmask_b32_e64 v26, 0, v1, s[8:9]
.LBB179_3:
	s_load_dwordx2 s[10:11], s[0:1], 0x20
	s_bitcmp1_b32 s3, 8
	s_cselect_b64 s[24:25], -1, 0
	s_xor_b64 s[16:17], s[24:25], -1
	s_or_b64 s[14:15], s[14:15], s[16:17]
	s_mov_b32 s3, 0
	s_and_b64 vcc, exec, s[14:15]
	s_cbranch_vccnz .LBB179_5
; %bb.4:
	s_load_dword s12, s[12:13], 0x0
	s_waitcnt lgkmcnt(0)
	v_mov_b32_e32 v27, s12
	s_branch .LBB179_6
.LBB179_5:
	v_mov_b32_e32 v1, s12
	v_cndmask_b32_e64 v27, 0, v1, s[24:25]
.LBB179_6:
	s_load_dword s4, s[4:5], 0x0
	v_cndmask_b32_e64 v1, 0, 1, s[8:9]
	s_mov_b64 s[26:27], 0
	s_waitcnt lgkmcnt(0)
	s_add_i32 s2, s4, s2
	s_lshl_b64 s[2:3], s[2:3], 2
	s_add_u32 s2, s6, s2
	s_addc_u32 s3, s7, s3
	s_load_dword s6, s[2:3], 0x0
	v_cmp_ne_u32_e64 s[2:3], 1, v1
	s_andn2_b64 vcc, exec, s[8:9]
	s_mov_b64 s[4:5], 0
	s_cbranch_vccz .LBB179_9
; %bb.7:
	s_and_b64 vcc, exec, s[2:3]
	s_cbranch_vccz .LBB179_10
.LBB179_8:
	s_load_dword s33, s[0:1], 0x0
	s_waitcnt lgkmcnt(0)
	s_cmp_lt_i32 s33, 1
	s_cbranch_scc0 .LBB179_11
	s_branch .LBB179_64
.LBB179_9:
	s_waitcnt lgkmcnt(0)
	s_ashr_i32 s7, s6, 31
	s_lshl_b64 s[4:5], s[6:7], 3
	s_add_u32 s4, s10, s4
	s_addc_u32 s5, s11, s5
	s_load_dwordx2 s[4:5], s[4:5], 0x0
	s_waitcnt lgkmcnt(0)
	s_sub_u32 s4, s4, s28
	s_subb_u32 s5, s5, 0
	s_and_b64 vcc, exec, s[2:3]
	s_cbranch_vccnz .LBB179_8
.LBB179_10:
	s_waitcnt lgkmcnt(0)
	s_ashr_i32 s7, s6, 31
	s_lshl_b64 s[2:3], s[6:7], 3
	s_add_u32 s2, s10, s2
	s_addc_u32 s3, s11, s3
	s_load_dwordx2 s[2:3], s[2:3], 0x8
	s_waitcnt lgkmcnt(0)
	s_sub_u32 s26, s2, s28
	s_subb_u32 s27, s3, 0
	s_load_dword s33, s[0:1], 0x0
	s_waitcnt lgkmcnt(0)
	s_cmp_lt_i32 s33, 1
	s_cbranch_scc1 .LBB179_64
.LBB179_11:
	s_load_dwordx8 s[36:43], s[0:1], 0x58
	s_load_dwordx4 s[52:55], s[0:1], 0x80
	s_load_dwordx8 s[44:51], s[0:1], 0x28
	s_ashr_i32 s7, s6, 31
	s_lshl_b64 s[6:7], s[6:7], 3
	s_waitcnt lgkmcnt(0)
	s_add_u32 s2, s42, s6
	s_addc_u32 s3, s43, s7
	s_load_dwordx2 s[10:11], s[2:3], 0x0
	s_load_dwordx2 s[34:35], s[0:1], 0x48
	v_subrev_co_u32_e64 v6, s[0:1], s31, v0
	v_mov_b32_e32 v3, 0
	s_waitcnt lgkmcnt(0)
	s_sub_u32 s22, s10, s30
	s_subb_u32 s23, s11, 0
	v_subb_co_u32_e64 v7, s[0:1], 0, 0, s[0:1]
	s_add_u32 s36, s36, s6
	s_movk_i32 s0, 0x1ff
	s_addc_u32 s37, s37, s7
	v_cmp_eq_u32_e64 s[6:7], s0, v0
	s_movk_i32 s0, 0x80
	v_cmp_gt_u32_e64 s[10:11], s0, v0
	s_movk_i32 s0, 0xc0
	v_cmp_gt_u32_e64 s[12:13], s0, v0
	s_movk_i32 s0, 0x100
	v_lshrrev_b32_e32 v10, 4, v0
	v_mov_b32_e32 v11, v3
	v_mbcnt_lo_u32_b32 v1, -1, 0
	v_cmp_gt_u32_e64 s[14:15], s0, v0
	s_movk_i32 s0, 0x140
	v_lshl_add_u64 v[4:5], s[4:5], 0, v[10:11]
	v_mbcnt_hi_u32_b32 v1, -1, v1
	v_cmp_gt_u32_e64 s[16:17], s0, v0
	s_movk_i32 s0, 0x180
	v_and_b32_e32 v2, 15, v0
	v_cmp_gt_i64_e32 vcc, s[26:27], v[4:5]
	v_sub_u32_e32 v1, 63, v1
	v_cmp_gt_u32_e64 s[18:19], s0, v0
	s_movk_i32 s0, 0x1c0
	v_cmp_eq_u32_e64 s[2:3], 0, v0
	s_mov_b32 s30, s29
	v_cmp_eq_u32_e64 s[4:5], 15, v2
	s_mov_b32 s76, s31
	v_lshrrev_b64 v[8:9], v1, -1
	v_and_b32_e32 v28, 28, v10
	s_and_b64 s[42:43], s[8:9], vcc
	v_cmp_gt_u32_e64 s[8:9], 64, v0
	v_cmp_gt_u32_e64 s[20:21], s0, v0
	v_or_b32_e32 v29, 0xfffffe00, v0
	v_lshlrev_b32_e32 v30, 2, v0
	v_mov_b32_e32 v32, 0x800
	v_mov_b64_e32 v[0:1], s[22:23]
	s_movk_i32 s77, 0x5ff
	v_mov_b32_e32 v37, s33
	v_mov_b32_e32 v31, 1
	s_mov_b64 s[56:57], 0x200
	s_mov_b64 s[58:59], 0x800
	v_mov_b32_e32 v33, v3
	s_branch .LBB179_13
.LBB179_12:                             ;   in Loop: Header=BB179_13 Depth=1
	s_or_b64 exec, exec, s[0:1]
	ds_read_b32 v33, v3 offset:10240
	s_waitcnt lgkmcnt(0)
	s_barrier
	v_cmp_le_i32_e32 vcc, s33, v33
	v_add_u32_e32 v32, 0x800, v33
	s_cbranch_vccnz .LBB179_64
.LBB179_13:                             ; =>This Loop Header: Depth=1
                                        ;     Child Loop BB179_14 Depth 2
                                        ;     Child Loop BB179_20 Depth 2
                                        ;       Child Loop BB179_26 Depth 3
                                        ;     Child Loop BB179_43 Depth 2
                                        ;     Child Loop BB179_55 Depth 2
	;; [unrolled: 1-line block ×3, first 2 shown]
	s_mov_b64 s[0:1], 0
	v_mov_b32_e32 v10, v30
	v_mov_b32_e32 v11, v29
.LBB179_14:                             ;   Parent Loop BB179_13 Depth=1
                                        ; =>  This Inner Loop Header: Depth=2
	ds_write_b8 v11, v3 offset:8704
	ds_write_b32 v10, v3
	v_add_u32_e32 v11, 0x200, v11
	v_cmp_lt_u32_e32 vcc, s77, v11
	s_or_b64 s[0:1], vcc, s[0:1]
	v_add_u32_e32 v10, 0x800, v10
	s_andn2_b64 exec, exec, s[0:1]
	s_cbranch_execnz .LBB179_14
; %bb.15:                               ;   in Loop: Header=BB179_13 Depth=1
	s_or_b64 exec, exec, s[0:1]
	s_and_saveexec_b64 s[0:1], s[2:3]
; %bb.16:                               ;   in Loop: Header=BB179_13 Depth=1
	ds_write_b32 v3, v37 offset:10240
; %bb.17:                               ;   in Loop: Header=BB179_13 Depth=1
	s_or_b64 exec, exec, s[0:1]
	v_mov_b32_e32 v34, s33
	s_waitcnt lgkmcnt(0)
	s_barrier
	s_and_saveexec_b64 s[60:61], s[42:43]
	s_cbranch_execz .LBB179_39
; %bb.18:                               ;   in Loop: Header=BB179_13 Depth=1
	s_mov_b64 s[62:63], 0
	v_cmp_ne_u32_e64 s[22:23], 0, v33
	v_mov_b32_e32 v34, s33
	v_mov_b64_e32 v[10:11], v[4:5]
	s_branch .LBB179_20
.LBB179_19:                             ;   in Loop: Header=BB179_20 Depth=2
	s_or_b64 exec, exec, s[0:1]
	v_lshl_add_u64 v[10:11], v[10:11], 0, 32
	v_cmp_le_i64_e32 vcc, s[26:27], v[10:11]
	s_or_b64 s[62:63], vcc, s[62:63]
	s_andn2_b64 exec, exec, s[62:63]
	s_cbranch_execz .LBB179_38
.LBB179_20:                             ;   Parent Loop BB179_13 Depth=1
                                        ; =>  This Loop Header: Depth=2
                                        ;       Child Loop BB179_26 Depth 3
	v_lshlrev_b64 v[12:13], 2, v[10:11]
	v_lshl_add_u64 v[14:15], s[44:45], 0, v[12:13]
	global_load_dword v14, v[14:15], off
	v_lshl_add_u64 v[12:13], s[46:47], 0, v[12:13]
	global_load_dword v20, v[12:13], off
	s_and_b64 vcc, exec, s[22:23]
	v_lshl_add_u64 v[12:13], v[10:11], 3, s[54:55]
	s_waitcnt vmcnt(1)
	v_subrev_u32_e32 v14, s28, v14
	v_ashrrev_i32_e32 v15, 31, v14
	s_cbranch_vccz .LBB179_37
; %bb.21:                               ;   in Loop: Header=BB179_20 Depth=2
	global_load_dwordx2 v[18:19], v[12:13], off
	s_cbranch_execnz .LBB179_23
.LBB179_22:                             ;   in Loop: Header=BB179_20 Depth=2
	v_lshl_add_u64 v[16:17], v[14:15], 3, s[48:49]
	global_load_dwordx2 v[16:17], v[16:17], off
	s_waitcnt vmcnt(0)
	v_subrev_co_u32_e32 v18, vcc, s30, v16
	s_nop 1
	v_subbrev_co_u32_e32 v19, vcc, 0, v17, vcc
.LBB179_23:                             ;   in Loop: Header=BB179_20 Depth=2
	v_lshl_add_u64 v[14:15], v[14:15], 3, s[48:49]
	global_load_dwordx2 v[14:15], v[14:15], off offset:8
	s_waitcnt vmcnt(0)
	v_subrev_co_u32_e32 v16, vcc, s30, v14
	s_nop 1
	v_subbrev_co_u32_e32 v17, vcc, 0, v15, vcc
	v_lshl_add_u64 v[14:15], v[18:19], 0, v[2:3]
	v_cmp_lt_i64_e32 vcc, v[14:15], v[16:17]
	s_and_saveexec_b64 s[64:65], vcc
	s_cbranch_execz .LBB179_35
; %bb.24:                               ;   in Loop: Header=BB179_20 Depth=2
	v_mul_f32_e32 v35, v26, v20
	v_lshlrev_b64 v[20:21], 2, v[14:15]
	v_lshl_add_u64 v[18:19], s[50:51], 0, v[20:21]
	v_lshl_add_u64 v[20:21], s[34:35], 0, v[20:21]
	s_mov_b64 s[68:69], 0
	v_mov_b64_e32 v[24:25], v[14:15]
                                        ; implicit-def: $sgpr66_sgpr67
                                        ; implicit-def: $sgpr70_sgpr71
	s_branch .LBB179_26
.LBB179_25:                             ;   in Loop: Header=BB179_26 Depth=3
	s_or_b64 exec, exec, s[74:75]
	s_and_b64 s[0:1], exec, s[72:73]
	s_or_b64 s[68:69], s[0:1], s[68:69]
	s_andn2_b64 s[0:1], s[66:67], exec
	s_and_b64 s[66:67], s[70:71], exec
	s_or_b64 s[66:67], s[0:1], s[66:67]
	s_andn2_b64 exec, exec, s[68:69]
	s_cbranch_execz .LBB179_32
.LBB179_26:                             ;   Parent Loop BB179_13 Depth=1
                                        ;     Parent Loop BB179_20 Depth=2
                                        ; =>    This Inner Loop Header: Depth=3
	global_load_dword v36, v[18:19], off
	v_mov_b64_e32 v[22:23], v[24:25]
	s_waitcnt vmcnt(0)
	v_subrev_u32_e32 v36, s29, v36
	v_cmp_lt_i32_e32 vcc, v36, v33
	v_cmp_ge_i32_e64 s[0:1], v36, v32
	s_or_b64 s[72:73], vcc, s[0:1]
	s_mov_b64 s[0:1], 0
	s_and_saveexec_b64 s[74:75], s[72:73]
	s_xor_b64 s[72:73], exec, s[74:75]
; %bb.27:                               ;   in Loop: Header=BB179_26 Depth=3
	v_cmp_lt_i32_e32 vcc, v36, v32
	s_and_b64 s[0:1], vcc, exec
; %bb.28:                               ;   in Loop: Header=BB179_26 Depth=3
	s_andn2_saveexec_b64 s[72:73], s[72:73]
	s_cbranch_execz .LBB179_30
; %bb.29:                               ;   in Loop: Header=BB179_26 Depth=3
	global_load_dword v24, v[20:21], off
	v_sub_u32_e32 v25, v36, v33
	ds_write_b8 v25, v31 offset:8192
	v_lshlrev_b32_e32 v25, 2, v25
	s_or_b64 s[0:1], s[0:1], exec
	s_waitcnt vmcnt(0)
	v_mul_f32_e32 v24, v35, v24
	ds_add_f32 v25, v24
.LBB179_30:                             ;   in Loop: Header=BB179_26 Depth=3
	s_or_b64 exec, exec, s[72:73]
	s_mov_b64 s[72:73], -1
	s_or_b64 s[70:71], s[70:71], exec
                                        ; implicit-def: $vgpr24_vgpr25
	s_and_saveexec_b64 s[74:75], s[0:1]
	s_cbranch_execz .LBB179_25
; %bb.31:                               ;   in Loop: Header=BB179_26 Depth=3
	v_lshl_add_u64 v[24:25], v[22:23], 0, 16
	v_cmp_ge_i64_e32 vcc, v[24:25], v[16:17]
	v_lshl_add_u64 v[18:19], v[18:19], 0, 64
	v_lshl_add_u64 v[20:21], v[20:21], 0, 64
	s_andn2_b64 s[70:71], s[70:71], exec
	s_orn2_b64 s[72:73], vcc, exec
	s_branch .LBB179_25
.LBB179_32:                             ;   in Loop: Header=BB179_20 Depth=2
	s_or_b64 exec, exec, s[68:69]
	s_and_saveexec_b64 s[0:1], s[66:67]
	s_xor_b64 s[0:1], exec, s[0:1]
; %bb.33:                               ;   in Loop: Header=BB179_20 Depth=2
	v_min_i32_e32 v34, v36, v34
	v_mov_b64_e32 v[14:15], v[22:23]
; %bb.34:                               ;   in Loop: Header=BB179_20 Depth=2
	s_or_b64 exec, exec, s[0:1]
.LBB179_35:                             ;   in Loop: Header=BB179_20 Depth=2
	s_or_b64 exec, exec, s[64:65]
	v_mov_b32_dpp v16, v14 row_shr:1 row_mask:0xf bank_mask:0xf
	v_mov_b32_dpp v17, v15 row_shr:1 row_mask:0xf bank_mask:0xf
	v_cmp_lt_i64_e32 vcc, v[16:17], v[14:15]
	s_nop 1
	v_cndmask_b32_e32 v15, v15, v17, vcc
	v_cndmask_b32_e32 v14, v14, v16, vcc
	s_nop 0
	v_mov_b32_dpp v17, v15 row_shr:2 row_mask:0xf bank_mask:0xf
	v_mov_b32_dpp v16, v14 row_shr:2 row_mask:0xf bank_mask:0xf
	v_cmp_lt_i64_e32 vcc, v[16:17], v[14:15]
	s_nop 1
	v_cndmask_b32_e32 v15, v15, v17, vcc
	v_cndmask_b32_e32 v14, v14, v16, vcc
	s_nop 0
	;; [unrolled: 7-line block ×3, first 2 shown]
	v_mov_b32_dpp v18, v15 row_shr:8 row_mask:0xf bank_mask:0xc
	v_mov_b32_dpp v16, v14 row_shr:8 row_mask:0xf bank_mask:0xc
	s_and_saveexec_b64 s[0:1], s[4:5]
	s_cbranch_execz .LBB179_19
; %bb.36:                               ;   in Loop: Header=BB179_20 Depth=2
	v_mov_b32_e32 v17, v18
	v_cmp_lt_i64_e32 vcc, v[16:17], v[14:15]
	s_nop 1
	v_cndmask_b32_e32 v15, v15, v18, vcc
	v_cndmask_b32_e32 v14, v14, v16, vcc
	global_store_dwordx2 v[12:13], v[14:15], off
	s_branch .LBB179_19
.LBB179_37:                             ;   in Loop: Header=BB179_20 Depth=2
                                        ; implicit-def: $vgpr18_vgpr19
	s_branch .LBB179_22
.LBB179_38:                             ;   in Loop: Header=BB179_13 Depth=1
	s_or_b64 exec, exec, s[62:63]
.LBB179_39:                             ;   in Loop: Header=BB179_13 Depth=1
	s_or_b64 exec, exec, s[60:61]
	s_andn2_b64 vcc, exec, s[24:25]
	s_cbranch_vccnz .LBB179_53
; %bb.40:                               ;   in Loop: Header=BB179_13 Depth=1
	s_load_dwordx4 s[64:67], s[36:37], 0x0
	s_waitcnt lgkmcnt(0)
	s_sub_u32 s60, s66, s76
	s_subb_u32 s61, s67, 0
	v_lshl_add_u64 v[10:11], s[64:65], 0, v[6:7]
	v_cmp_gt_i64_e32 vcc, s[60:61], v[10:11]
	s_and_saveexec_b64 s[22:23], vcc
	s_cbranch_execz .LBB179_52
; %bb.41:                               ;   in Loop: Header=BB179_13 Depth=1
	v_lshlrev_b64 v[14:15], 2, v[10:11]
	v_lshl_add_u64 v[12:13], s[38:39], 0, v[14:15]
	v_lshl_add_u64 v[14:15], s[40:41], 0, v[14:15]
	s_mov_b64 s[62:63], 0
                                        ; implicit-def: $sgpr64_sgpr65
                                        ; implicit-def: $sgpr66_sgpr67
	s_branch .LBB179_43
.LBB179_42:                             ;   in Loop: Header=BB179_43 Depth=2
	s_or_b64 exec, exec, s[70:71]
	s_and_b64 s[0:1], exec, s[68:69]
	s_or_b64 s[62:63], s[0:1], s[62:63]
	s_andn2_b64 s[0:1], s[64:65], exec
	s_and_b64 s[64:65], s[66:67], exec
	s_or_b64 s[64:65], s[0:1], s[64:65]
	s_andn2_b64 exec, exec, s[62:63]
	s_cbranch_execz .LBB179_49
.LBB179_43:                             ;   Parent Loop BB179_13 Depth=1
                                        ; =>  This Inner Loop Header: Depth=2
	global_load_dword v16, v[12:13], off
	s_waitcnt vmcnt(0)
	v_subrev_u32_e32 v16, s31, v16
	v_cmp_lt_i32_e32 vcc, v16, v33
	v_cmp_ge_i32_e64 s[0:1], v16, v32
	s_or_b64 s[68:69], vcc, s[0:1]
	s_mov_b64 s[0:1], 0
	s_and_saveexec_b64 s[70:71], s[68:69]
	s_xor_b64 s[68:69], exec, s[70:71]
; %bb.44:                               ;   in Loop: Header=BB179_43 Depth=2
	v_cmp_lt_i32_e32 vcc, v16, v32
	s_and_b64 s[0:1], vcc, exec
; %bb.45:                               ;   in Loop: Header=BB179_43 Depth=2
	s_andn2_saveexec_b64 s[68:69], s[68:69]
	s_cbranch_execz .LBB179_47
; %bb.46:                               ;   in Loop: Header=BB179_43 Depth=2
	global_load_dword v17, v[14:15], off
	v_sub_u32_e32 v18, v16, v33
	ds_write_b8 v18, v31 offset:8192
	v_lshlrev_b32_e32 v18, 2, v18
	s_or_b64 s[0:1], s[0:1], exec
	s_waitcnt vmcnt(0)
	v_mul_f32_e32 v17, v27, v17
	ds_add_f32 v18, v17
.LBB179_47:                             ;   in Loop: Header=BB179_43 Depth=2
	s_or_b64 exec, exec, s[68:69]
	s_mov_b64 s[68:69], -1
	s_or_b64 s[66:67], s[66:67], exec
	s_and_saveexec_b64 s[70:71], s[0:1]
	s_cbranch_execz .LBB179_42
; %bb.48:                               ;   in Loop: Header=BB179_43 Depth=2
	v_lshl_add_u64 v[10:11], v[10:11], 0, s[56:57]
	v_cmp_le_i64_e32 vcc, s[60:61], v[10:11]
	v_lshl_add_u64 v[12:13], v[12:13], 0, s[58:59]
	v_lshl_add_u64 v[14:15], v[14:15], 0, s[58:59]
	s_andn2_b64 s[66:67], s[66:67], exec
	s_orn2_b64 s[68:69], vcc, exec
	s_branch .LBB179_42
.LBB179_49:                             ;   in Loop: Header=BB179_13 Depth=1
	s_or_b64 exec, exec, s[62:63]
	s_and_saveexec_b64 s[0:1], s[64:65]
	s_xor_b64 s[0:1], exec, s[0:1]
; %bb.50:                               ;   in Loop: Header=BB179_13 Depth=1
	v_min_i32_e32 v34, v16, v34
; %bb.51:                               ;   in Loop: Header=BB179_13 Depth=1
	s_or_b64 exec, exec, s[0:1]
.LBB179_52:                             ;   in Loop: Header=BB179_13 Depth=1
	s_or_b64 exec, exec, s[22:23]
.LBB179_53:                             ;   in Loop: Header=BB179_13 Depth=1
	v_mov_b32_dpp v10, v34 row_shr:1 row_mask:0xf bank_mask:0xf
	v_min_i32_e32 v10, v10, v34
	s_nop 1
	v_mov_b32_dpp v11, v10 row_shr:2 row_mask:0xf bank_mask:0xf
	v_min_i32_e32 v10, v11, v10
	s_nop 1
	;; [unrolled: 3-line block ×3, first 2 shown]
	v_mov_b32_dpp v11, v10 row_shr:8 row_mask:0xf bank_mask:0xc
	s_and_saveexec_b64 s[0:1], s[4:5]
	s_cbranch_execz .LBB179_58
; %bb.54:                               ;   in Loop: Header=BB179_13 Depth=1
	s_mov_b64 s[22:23], exec
	v_min_i32_e32 v10, v11, v10
	s_brev_b32 s60, -2
.LBB179_55:                             ;   Parent Loop BB179_13 Depth=1
                                        ; =>  This Inner Loop Header: Depth=2
	s_ff1_i32_b64 s61, s[22:23]
	v_readlane_b32 s64, v10, s61
	s_lshl_b64 s[62:63], 1, s61
	s_min_i32 s60, s60, s64
	s_andn2_b64 s[22:23], s[22:23], s[62:63]
	s_cmp_lg_u64 s[22:23], 0
	s_cbranch_scc1 .LBB179_55
; %bb.56:                               ;   in Loop: Header=BB179_13 Depth=1
	v_mbcnt_lo_u32_b32 v10, exec_lo, 0
	v_mbcnt_hi_u32_b32 v10, exec_hi, v10
	v_cmp_eq_u32_e32 vcc, 0, v10
	s_and_saveexec_b64 s[22:23], vcc
	s_xor_b64 s[22:23], exec, s[22:23]
; %bb.57:                               ;   in Loop: Header=BB179_13 Depth=1
	v_mov_b32_e32 v10, s60
	ds_min_i32 v3, v10 offset:10240
.LBB179_58:                             ;   in Loop: Header=BB179_13 Depth=1
	s_or_b64 exec, exec, s[0:1]
	s_mov_b64 s[0:1], 0
	v_mov_b32_e32 v12, v30
	v_mov_b32_e32 v13, v29
	s_waitcnt lgkmcnt(0)
	s_barrier
	s_branch .LBB179_60
.LBB179_59:                             ;   in Loop: Header=BB179_60 Depth=2
	s_or_b64 exec, exec, s[22:23]
	s_waitcnt lgkmcnt(0)
	s_barrier
	ds_read_b32 v10, v3 offset:28
	v_add_u32_e32 v13, 0x200, v13
	v_cmp_lt_u32_e32 vcc, s77, v13
	s_or_b64 s[0:1], vcc, s[0:1]
	v_add_u32_e32 v12, 0x800, v12
	s_waitcnt lgkmcnt(0)
	v_ashrrev_i32_e32 v11, 31, v10
	v_lshl_add_u64 v[0:1], v[0:1], 0, v[10:11]
	s_andn2_b64 exec, exec, s[0:1]
	s_cbranch_execz .LBB179_12
.LBB179_60:                             ;   Parent Loop BB179_13 Depth=1
                                        ; =>  This Inner Loop Header: Depth=2
	ds_read_u8 v11, v13 offset:8704
	ds_read_b32 v14, v12
	s_waitcnt lgkmcnt(0)
	s_barrier
	v_cmp_ne_u16_e32 vcc, 0, v11
	s_bcnt1_i32_b64 s22, vcc
	v_mov_b32_e32 v15, s22
	ds_write_b32 v28, v15
	s_waitcnt lgkmcnt(0)
	s_barrier
	ds_read_b128 v[16:19], v3
	ds_read_b96 v[20:22], v3 offset:16
	v_and_b32_e32 v15, vcc_lo, v8
	v_and_b32_e32 v10, vcc_hi, v9
	v_bcnt_u32_b32 v15, v15, 0
	v_bcnt_u32_b32 v10, v10, v15
	s_waitcnt lgkmcnt(1)
	v_cndmask_b32_e64 v15, v16, 0, s[8:9]
	v_add_u32_e32 v10, v15, v10
	v_cndmask_b32_e64 v15, v17, 0, s[10:11]
	v_cndmask_b32_e64 v16, v18, 0, s[12:13]
	v_add3_u32 v10, v10, v15, v16
	v_cndmask_b32_e64 v15, v19, 0, s[14:15]
	s_waitcnt lgkmcnt(0)
	v_cndmask_b32_e64 v16, v20, 0, s[16:17]
	v_add3_u32 v10, v10, v15, v16
	v_cndmask_b32_e64 v15, v21, 0, s[18:19]
	v_cndmask_b32_e64 v16, v22, 0, s[20:21]
	v_and_b32_e32 v11, 1, v11
	v_add3_u32 v10, v10, v15, v16
	v_cmp_eq_u32_e32 vcc, 1, v11
	s_and_saveexec_b64 s[22:23], vcc
	s_cbranch_execz .LBB179_62
; %bb.61:                               ;   in Loop: Header=BB179_60 Depth=2
	v_lshl_add_u64 v[16:17], v[0:1], 2, s[52:53]
	v_ashrrev_i32_e32 v11, 31, v10
	v_lshl_add_u64 v[16:17], v[10:11], 2, v[16:17]
	global_store_dword v[16:17], v14, off offset:-4
.LBB179_62:                             ;   in Loop: Header=BB179_60 Depth=2
	s_or_b64 exec, exec, s[22:23]
	s_and_saveexec_b64 s[22:23], s[6:7]
	s_cbranch_execz .LBB179_59
; %bb.63:                               ;   in Loop: Header=BB179_60 Depth=2
	ds_write_b32 v3, v10 offset:28
	s_branch .LBB179_59
.LBB179_64:
	s_endpgm
	.section	.rodata,"a",@progbits
	.p2align	6, 0x0
	.amdhsa_kernel _ZN9rocsparseL51csrgemm_numeric_fill_block_per_row_multipass_kernelILj512ELj16ELj2048ELj64ElifEEvT4_PKS1_S3_NS_24const_host_device_scalarIT5_EEPKT3_S3_PKS5_S9_S3_SB_S6_S9_S3_SB_S9_S3_PS5_PS7_21rocsparse_index_base_SE_SE_SE_bbb
		.amdhsa_group_segment_fixed_size 10244
		.amdhsa_private_segment_fixed_size 0
		.amdhsa_kernarg_size 164
		.amdhsa_user_sgpr_count 2
		.amdhsa_user_sgpr_dispatch_ptr 0
		.amdhsa_user_sgpr_queue_ptr 0
		.amdhsa_user_sgpr_kernarg_segment_ptr 1
		.amdhsa_user_sgpr_dispatch_id 0
		.amdhsa_user_sgpr_kernarg_preload_length 0
		.amdhsa_user_sgpr_kernarg_preload_offset 0
		.amdhsa_user_sgpr_private_segment_size 0
		.amdhsa_uses_dynamic_stack 0
		.amdhsa_enable_private_segment 0
		.amdhsa_system_sgpr_workgroup_id_x 1
		.amdhsa_system_sgpr_workgroup_id_y 0
		.amdhsa_system_sgpr_workgroup_id_z 0
		.amdhsa_system_sgpr_workgroup_info 0
		.amdhsa_system_vgpr_workitem_id 0
		.amdhsa_next_free_vgpr 38
		.amdhsa_next_free_sgpr 78
		.amdhsa_accum_offset 40
		.amdhsa_reserve_vcc 1
		.amdhsa_float_round_mode_32 0
		.amdhsa_float_round_mode_16_64 0
		.amdhsa_float_denorm_mode_32 3
		.amdhsa_float_denorm_mode_16_64 3
		.amdhsa_dx10_clamp 1
		.amdhsa_ieee_mode 1
		.amdhsa_fp16_overflow 0
		.amdhsa_tg_split 0
		.amdhsa_exception_fp_ieee_invalid_op 0
		.amdhsa_exception_fp_denorm_src 0
		.amdhsa_exception_fp_ieee_div_zero 0
		.amdhsa_exception_fp_ieee_overflow 0
		.amdhsa_exception_fp_ieee_underflow 0
		.amdhsa_exception_fp_ieee_inexact 0
		.amdhsa_exception_int_div_zero 0
	.end_amdhsa_kernel
	.section	.text._ZN9rocsparseL51csrgemm_numeric_fill_block_per_row_multipass_kernelILj512ELj16ELj2048ELj64ElifEEvT4_PKS1_S3_NS_24const_host_device_scalarIT5_EEPKT3_S3_PKS5_S9_S3_SB_S6_S9_S3_SB_S9_S3_PS5_PS7_21rocsparse_index_base_SE_SE_SE_bbb,"axG",@progbits,_ZN9rocsparseL51csrgemm_numeric_fill_block_per_row_multipass_kernelILj512ELj16ELj2048ELj64ElifEEvT4_PKS1_S3_NS_24const_host_device_scalarIT5_EEPKT3_S3_PKS5_S9_S3_SB_S6_S9_S3_SB_S9_S3_PS5_PS7_21rocsparse_index_base_SE_SE_SE_bbb,comdat
.Lfunc_end179:
	.size	_ZN9rocsparseL51csrgemm_numeric_fill_block_per_row_multipass_kernelILj512ELj16ELj2048ELj64ElifEEvT4_PKS1_S3_NS_24const_host_device_scalarIT5_EEPKT3_S3_PKS5_S9_S3_SB_S6_S9_S3_SB_S9_S3_PS5_PS7_21rocsparse_index_base_SE_SE_SE_bbb, .Lfunc_end179-_ZN9rocsparseL51csrgemm_numeric_fill_block_per_row_multipass_kernelILj512ELj16ELj2048ELj64ElifEEvT4_PKS1_S3_NS_24const_host_device_scalarIT5_EEPKT3_S3_PKS5_S9_S3_SB_S6_S9_S3_SB_S9_S3_PS5_PS7_21rocsparse_index_base_SE_SE_SE_bbb
                                        ; -- End function
	.set _ZN9rocsparseL51csrgemm_numeric_fill_block_per_row_multipass_kernelILj512ELj16ELj2048ELj64ElifEEvT4_PKS1_S3_NS_24const_host_device_scalarIT5_EEPKT3_S3_PKS5_S9_S3_SB_S6_S9_S3_SB_S9_S3_PS5_PS7_21rocsparse_index_base_SE_SE_SE_bbb.num_vgpr, 38
	.set _ZN9rocsparseL51csrgemm_numeric_fill_block_per_row_multipass_kernelILj512ELj16ELj2048ELj64ElifEEvT4_PKS1_S3_NS_24const_host_device_scalarIT5_EEPKT3_S3_PKS5_S9_S3_SB_S6_S9_S3_SB_S9_S3_PS5_PS7_21rocsparse_index_base_SE_SE_SE_bbb.num_agpr, 0
	.set _ZN9rocsparseL51csrgemm_numeric_fill_block_per_row_multipass_kernelILj512ELj16ELj2048ELj64ElifEEvT4_PKS1_S3_NS_24const_host_device_scalarIT5_EEPKT3_S3_PKS5_S9_S3_SB_S6_S9_S3_SB_S9_S3_PS5_PS7_21rocsparse_index_base_SE_SE_SE_bbb.numbered_sgpr, 78
	.set _ZN9rocsparseL51csrgemm_numeric_fill_block_per_row_multipass_kernelILj512ELj16ELj2048ELj64ElifEEvT4_PKS1_S3_NS_24const_host_device_scalarIT5_EEPKT3_S3_PKS5_S9_S3_SB_S6_S9_S3_SB_S9_S3_PS5_PS7_21rocsparse_index_base_SE_SE_SE_bbb.num_named_barrier, 0
	.set _ZN9rocsparseL51csrgemm_numeric_fill_block_per_row_multipass_kernelILj512ELj16ELj2048ELj64ElifEEvT4_PKS1_S3_NS_24const_host_device_scalarIT5_EEPKT3_S3_PKS5_S9_S3_SB_S6_S9_S3_SB_S9_S3_PS5_PS7_21rocsparse_index_base_SE_SE_SE_bbb.private_seg_size, 0
	.set _ZN9rocsparseL51csrgemm_numeric_fill_block_per_row_multipass_kernelILj512ELj16ELj2048ELj64ElifEEvT4_PKS1_S3_NS_24const_host_device_scalarIT5_EEPKT3_S3_PKS5_S9_S3_SB_S6_S9_S3_SB_S9_S3_PS5_PS7_21rocsparse_index_base_SE_SE_SE_bbb.uses_vcc, 1
	.set _ZN9rocsparseL51csrgemm_numeric_fill_block_per_row_multipass_kernelILj512ELj16ELj2048ELj64ElifEEvT4_PKS1_S3_NS_24const_host_device_scalarIT5_EEPKT3_S3_PKS5_S9_S3_SB_S6_S9_S3_SB_S9_S3_PS5_PS7_21rocsparse_index_base_SE_SE_SE_bbb.uses_flat_scratch, 0
	.set _ZN9rocsparseL51csrgemm_numeric_fill_block_per_row_multipass_kernelILj512ELj16ELj2048ELj64ElifEEvT4_PKS1_S3_NS_24const_host_device_scalarIT5_EEPKT3_S3_PKS5_S9_S3_SB_S6_S9_S3_SB_S9_S3_PS5_PS7_21rocsparse_index_base_SE_SE_SE_bbb.has_dyn_sized_stack, 0
	.set _ZN9rocsparseL51csrgemm_numeric_fill_block_per_row_multipass_kernelILj512ELj16ELj2048ELj64ElifEEvT4_PKS1_S3_NS_24const_host_device_scalarIT5_EEPKT3_S3_PKS5_S9_S3_SB_S6_S9_S3_SB_S9_S3_PS5_PS7_21rocsparse_index_base_SE_SE_SE_bbb.has_recursion, 0
	.set _ZN9rocsparseL51csrgemm_numeric_fill_block_per_row_multipass_kernelILj512ELj16ELj2048ELj64ElifEEvT4_PKS1_S3_NS_24const_host_device_scalarIT5_EEPKT3_S3_PKS5_S9_S3_SB_S6_S9_S3_SB_S9_S3_PS5_PS7_21rocsparse_index_base_SE_SE_SE_bbb.has_indirect_call, 0
	.section	.AMDGPU.csdata,"",@progbits
; Kernel info:
; codeLenInByte = 2316
; TotalNumSgprs: 84
; NumVgprs: 38
; NumAgprs: 0
; TotalNumVgprs: 38
; ScratchSize: 0
; MemoryBound: 0
; FloatMode: 240
; IeeeMode: 1
; LDSByteSize: 10244 bytes/workgroup (compile time only)
; SGPRBlocks: 10
; VGPRBlocks: 4
; NumSGPRsForWavesPerEU: 84
; NumVGPRsForWavesPerEU: 38
; AccumOffset: 40
; Occupancy: 8
; WaveLimiterHint : 1
; COMPUTE_PGM_RSRC2:SCRATCH_EN: 0
; COMPUTE_PGM_RSRC2:USER_SGPR: 2
; COMPUTE_PGM_RSRC2:TRAP_HANDLER: 0
; COMPUTE_PGM_RSRC2:TGID_X_EN: 1
; COMPUTE_PGM_RSRC2:TGID_Y_EN: 0
; COMPUTE_PGM_RSRC2:TGID_Z_EN: 0
; COMPUTE_PGM_RSRC2:TIDIG_COMP_CNT: 0
; COMPUTE_PGM_RSRC3_GFX90A:ACCUM_OFFSET: 9
; COMPUTE_PGM_RSRC3_GFX90A:TG_SPLIT: 0
	.section	.text._ZN9rocsparseL38csrgemm_numeric_fill_wf_per_row_kernelILj256ELj8ELj16ELj137ElidEEvT4_S1_PKS1_S3_NS_24const_host_device_scalarIT5_EEPKT3_S3_PKS5_S9_S3_SB_S6_S9_S3_SB_S9_S3_PS5_21rocsparse_index_base_SD_SD_SD_bbb,"axG",@progbits,_ZN9rocsparseL38csrgemm_numeric_fill_wf_per_row_kernelILj256ELj8ELj16ELj137ElidEEvT4_S1_PKS1_S3_NS_24const_host_device_scalarIT5_EEPKT3_S3_PKS5_S9_S3_SB_S6_S9_S3_SB_S9_S3_PS5_21rocsparse_index_base_SD_SD_SD_bbb,comdat
	.globl	_ZN9rocsparseL38csrgemm_numeric_fill_wf_per_row_kernelILj256ELj8ELj16ELj137ElidEEvT4_S1_PKS1_S3_NS_24const_host_device_scalarIT5_EEPKT3_S3_PKS5_S9_S3_SB_S6_S9_S3_SB_S9_S3_PS5_21rocsparse_index_base_SD_SD_SD_bbb ; -- Begin function _ZN9rocsparseL38csrgemm_numeric_fill_wf_per_row_kernelILj256ELj8ELj16ELj137ElidEEvT4_S1_PKS1_S3_NS_24const_host_device_scalarIT5_EEPKT3_S3_PKS5_S9_S3_SB_S6_S9_S3_SB_S9_S3_PS5_21rocsparse_index_base_SD_SD_SD_bbb
	.p2align	8
	.type	_ZN9rocsparseL38csrgemm_numeric_fill_wf_per_row_kernelILj256ELj8ELj16ELj137ElidEEvT4_S1_PKS1_S3_NS_24const_host_device_scalarIT5_EEPKT3_S3_PKS5_S9_S3_SB_S6_S9_S3_SB_S9_S3_PS5_21rocsparse_index_base_SD_SD_SD_bbb,@function
_ZN9rocsparseL38csrgemm_numeric_fill_wf_per_row_kernelILj256ELj8ELj16ELj137ElidEEvT4_S1_PKS1_S3_NS_24const_host_device_scalarIT5_EEPKT3_S3_PKS5_S9_S3_SB_S6_S9_S3_SB_S9_S3_PS5_21rocsparse_index_base_SD_SD_SD_bbb: ; @_ZN9rocsparseL38csrgemm_numeric_fill_wf_per_row_kernelILj256ELj8ELj16ELj137ElidEEvT4_S1_PKS1_S3_NS_24const_host_device_scalarIT5_EEPKT3_S3_PKS5_S9_S3_SB_S6_S9_S3_SB_S9_S3_PS5_21rocsparse_index_base_SD_SD_SD_bbb
; %bb.0:
	s_load_dword s3, s[0:1], 0x98
	s_load_dwordx4 s[20:23], s[0:1], 0x88
	s_load_dwordx2 s[4:5], s[0:1], 0x18
	s_load_dwordx2 s[40:41], s[0:1], 0x50
	s_waitcnt lgkmcnt(0)
	s_bitcmp1_b32 s3, 0
	s_cselect_b64 s[38:39], -1, 0
	s_bitcmp1_b32 s3, 16
	s_cselect_b64 s[42:43], -1, 0
	s_xor_b64 s[6:7], s[38:39], -1
	s_or_b64 s[6:7], s[42:43], s[6:7]
	s_and_b64 s[8:9], s[38:39], exec
	s_cselect_b32 s9, s5, 0
	s_cselect_b32 s8, s4, 0
	s_and_b64 vcc, exec, s[6:7]
	v_mov_b64_e32 v[8:9], s[8:9]
	s_cbranch_vccnz .LBB180_2
; %bb.1:
	v_mov_b64_e32 v[2:3], s[4:5]
	flat_load_dwordx2 v[8:9], v[2:3]
.LBB180_2:
	s_load_dwordx2 s[34:35], s[0:1], 0x80
	s_load_dwordx8 s[4:11], s[0:1], 0x58
	s_load_dwordx4 s[24:27], s[0:1], 0x40
	s_load_dwordx4 s[28:31], s[0:1], 0x8
	s_load_dwordx8 s[12:19], s[0:1], 0x20
	s_bitcmp1_b32 s3, 8
	s_cselect_b64 s[36:37], -1, 0
	s_xor_b64 s[44:45], s[36:37], -1
	s_or_b64 s[42:43], s[42:43], s[44:45]
	s_and_b64 s[44:45], s[36:37], exec
	s_cselect_b32 s45, s41, 0
	s_cselect_b32 s44, s40, 0
	s_and_b64 vcc, exec, s[42:43]
	v_mov_b64_e32 v[4:5], s[44:45]
	s_cbranch_vccnz .LBB180_4
; %bb.3:
	v_mov_b64_e32 v[2:3], s[40:41]
	flat_load_dwordx2 v[4:5], v[2:3]
.LBB180_4:
	s_load_dwordx2 s[0:1], s[0:1], 0x0
	v_and_b32_e32 v23, 7, v0
	v_lshrrev_b32_e32 v0, 3, v0
	v_lshlrev_b32_e32 v1, 3, v23
	v_lshl_or_b32 v19, v0, 7, v1
	v_lshlrev_b32_e32 v1, 6, v0
	v_lshlrev_b32_e32 v2, 2, v23
	s_movk_i32 s3, 0x1000
	v_or_b32_e32 v18, -8, v23
	v_or3_b32 v20, v1, v2, s3
	v_mov_b32_e32 v6, 0
	s_mov_b64 s[40:41], 0
	s_waitcnt lgkmcnt(0)
	v_mov_b32_e32 v10, s1
	v_mov_b32_e32 v7, v6
	;; [unrolled: 1-line block ×5, first 2 shown]
.LBB180_5:                              ; =>This Inner Loop Header: Depth=1
	v_add_co_u32_e32 v3, vcc, 8, v3
	s_xor_b64 s[42:43], vcc, -1
	s_and_b64 s[42:43], exec, s[42:43]
	ds_write_b32 v1, v10
	ds_write_b64 v2, v[6:7]
	v_add_u32_e32 v2, 64, v2
	s_or_b64 s[40:41], s[42:43], s[40:41]
	v_add_u32_e32 v1, 32, v1
	s_andn2_b64 exec, exec, s[40:41]
	s_cbranch_execnz .LBB180_5
; %bb.6:
	s_or_b64 exec, exec, s[40:41]
	s_lshl_b32 s2, s2, 5
	s_and_b32 s2, s2, 0x1fffffe0
	v_or_b32_e32 v6, s2, v0
	v_cmp_gt_i32_e32 vcc, s0, v6
	s_waitcnt lgkmcnt(0)
	s_and_saveexec_b64 s[2:3], vcc
	s_cbranch_execz .LBB180_46
; %bb.7:
	s_cmp_eq_u64 s[30:31], 0
	s_cbranch_scc1 .LBB180_9
; %bb.8:
	s_load_dword s0, s[28:29], 0x0
	s_waitcnt lgkmcnt(0)
	v_add_u32_e32 v2, s0, v6
	v_ashrrev_i32_e32 v3, 31, v2
	v_lshl_add_u64 v[2:3], v[2:3], 2, s[30:31]
	global_load_dword v6, v[2:3], off
.LBB180_9:
	v_mov_b32_e32 v1, 0x1000
	v_lshl_or_b32 v21, v0, 6, v1
	v_lshlrev_b32_e32 v22, 7, v0
	s_andn2_b64 vcc, exec, s[38:39]
	s_waitcnt vmcnt(0)
	v_ashrrev_i32_e32 v7, 31, v6
	s_cbranch_vccnz .LBB180_27
; %bb.10:
	v_lshl_add_u64 v[0:1], v[6:7], 3, s[12:13]
	global_load_dwordx4 v[0:3], v[0:1], off
	v_subrev_co_u32_e32 v12, vcc, s20, v23
	s_nop 1
	v_subb_co_u32_e64 v13, s[2:3], 0, 0, vcc
	s_waitcnt vmcnt(0)
	v_subrev_co_u32_e32 v10, vcc, s20, v2
	s_nop 1
	v_subbrev_co_u32_e32 v11, vcc, 0, v3, vcc
	v_lshl_add_u64 v[12:13], v[0:1], 0, v[12:13]
	v_cmp_lt_i64_e32 vcc, v[12:13], v[10:11]
	s_and_saveexec_b64 s[2:3], vcc
	s_cbranch_execz .LBB180_26
; %bb.11:
	s_mov_b32 s0, s21
	s_mov_b64 s[12:13], 0
	s_branch .LBB180_13
.LBB180_12:                             ;   in Loop: Header=BB180_13 Depth=1
	s_or_b64 exec, exec, s[28:29]
	v_lshl_add_u64 v[12:13], v[12:13], 0, 8
	v_cmp_ge_i64_e32 vcc, v[12:13], v[10:11]
	s_or_b64 s[12:13], vcc, s[12:13]
	s_andn2_b64 exec, exec, s[12:13]
	s_cbranch_execz .LBB180_26
.LBB180_13:                             ; =>This Loop Header: Depth=1
                                        ;     Child Loop BB180_17 Depth 2
                                        ;       Child Loop BB180_20 Depth 3
	v_lshl_add_u64 v[0:1], v[12:13], 2, s[14:15]
	global_load_dword v0, v[0:1], off
	s_waitcnt vmcnt(0)
	v_subrev_u32_e32 v0, s20, v0
	v_ashrrev_i32_e32 v1, 31, v0
	v_lshl_add_u64 v[0:1], v[0:1], 3, s[18:19]
	global_load_dwordx4 v[0:3], v[0:1], off
	s_waitcnt vmcnt(0)
	v_cmp_lt_i64_e32 vcc, v[0:1], v[2:3]
	s_and_saveexec_b64 s[28:29], vcc
	s_cbranch_execz .LBB180_12
; %bb.14:                               ;   in Loop: Header=BB180_13 Depth=1
	v_lshl_add_u64 v[14:15], v[12:13], 3, s[16:17]
	global_load_dwordx2 v[14:15], v[14:15], off
	v_subrev_co_u32_e32 v2, vcc, s0, v2
	s_mov_b64 s[30:31], 0
	s_nop 0
	v_subbrev_co_u32_e32 v3, vcc, 0, v3, vcc
	v_subrev_co_u32_e32 v0, vcc, s0, v0
	s_waitcnt vmcnt(0)
	v_mul_f64 v[14:15], v[8:9], v[14:15]
	v_subbrev_co_u32_e32 v1, vcc, 0, v1, vcc
	s_branch .LBB180_17
.LBB180_15:                             ;   in Loop: Header=BB180_17 Depth=2
	s_or_b64 exec, exec, s[40:41]
.LBB180_16:                             ;   in Loop: Header=BB180_17 Depth=2
	s_or_b64 exec, exec, s[38:39]
	s_waitcnt vmcnt(0)
	v_mul_f64 v[16:17], v[14:15], v[16:17]
	v_lshl_add_u32 v24, v24, 3, v22
	ds_add_f64 v24, v[16:17]
	v_lshl_add_u64 v[0:1], v[0:1], 0, 1
	v_cmp_ge_i64_e32 vcc, v[0:1], v[2:3]
	s_or_b64 s[30:31], vcc, s[30:31]
	s_andn2_b64 exec, exec, s[30:31]
	s_cbranch_execz .LBB180_12
.LBB180_17:                             ;   Parent Loop BB180_13 Depth=1
                                        ; =>  This Loop Header: Depth=2
                                        ;       Child Loop BB180_20 Depth 3
	v_lshl_add_u64 v[16:17], v[0:1], 2, s[24:25]
	global_load_dword v24, v[16:17], off
	v_lshl_add_u64 v[16:17], v[0:1], 3, s[26:27]
	global_load_dwordx2 v[16:17], v[16:17], off
	s_waitcnt vmcnt(1)
	v_subrev_u32_e32 v25, s21, v24
	v_lshl_add_u32 v24, v25, 3, v25
	v_and_b32_e32 v24, 15, v24
	v_lshl_add_u32 v26, v24, 2, v21
	ds_read_b32 v27, v26
	s_waitcnt lgkmcnt(0)
	v_cmp_ne_u32_e32 vcc, v27, v25
	s_and_saveexec_b64 s[38:39], vcc
	s_cbranch_execz .LBB180_16
; %bb.18:                               ;   in Loop: Header=BB180_17 Depth=2
	s_mov_b64 s[40:41], 0
	s_branch .LBB180_20
.LBB180_19:                             ;   in Loop: Header=BB180_20 Depth=3
	s_or_b64 exec, exec, s[46:47]
	s_and_b64 s[42:43], exec, s[44:45]
	s_or_b64 s[40:41], s[42:43], s[40:41]
	s_andn2_b64 exec, exec, s[40:41]
	s_cbranch_execz .LBB180_15
.LBB180_20:                             ;   Parent Loop BB180_13 Depth=1
                                        ;     Parent Loop BB180_17 Depth=2
                                        ; =>    This Inner Loop Header: Depth=3
	v_cmp_ne_u32_e32 vcc, s1, v27
	s_mov_b64 s[42:43], 0
	s_and_saveexec_b64 s[44:45], vcc
	s_xor_b64 s[44:45], exec, s[44:45]
	s_cbranch_execz .LBB180_22
; %bb.21:                               ;   in Loop: Header=BB180_20 Depth=3
	v_add_u32_e32 v24, 1, v24
	s_mov_b64 s[42:43], exec
	v_and_b32_e32 v24, 15, v24
                                        ; implicit-def: $vgpr26
	s_andn2_saveexec_b64 s[44:45], s[44:45]
	s_cbranch_execz .LBB180_24
	s_branch .LBB180_23
.LBB180_22:                             ;   in Loop: Header=BB180_20 Depth=3
	s_andn2_saveexec_b64 s[44:45], s[44:45]
	s_cbranch_execz .LBB180_24
.LBB180_23:                             ;   in Loop: Header=BB180_20 Depth=3
	v_mov_b32_e32 v27, s1
	ds_cmpst_rtn_b32 v26, v26, v27, v25
	s_andn2_b64 s[42:43], s[42:43], exec
	s_waitcnt lgkmcnt(0)
	v_cmp_ne_u32_e32 vcc, s1, v26
	s_and_b64 s[46:47], vcc, exec
	s_or_b64 s[42:43], s[42:43], s[46:47]
.LBB180_24:                             ;   in Loop: Header=BB180_20 Depth=3
	s_or_b64 exec, exec, s[44:45]
	s_mov_b64 s[44:45], -1
                                        ; implicit-def: $vgpr26
                                        ; implicit-def: $vgpr27
	s_and_saveexec_b64 s[46:47], s[42:43]
	s_cbranch_execz .LBB180_19
; %bb.25:                               ;   in Loop: Header=BB180_20 Depth=3
	v_lshl_add_u32 v26, v24, 2, v21
	ds_read_b32 v27, v26
	s_waitcnt lgkmcnt(0)
	v_cmp_eq_u32_e32 vcc, v27, v25
	s_orn2_b64 s[44:45], vcc, exec
	s_branch .LBB180_19
.LBB180_26:
	s_or_b64 exec, exec, s[2:3]
.LBB180_27:
	s_andn2_b64 vcc, exec, s[36:37]
	s_cbranch_vccnz .LBB180_42
; %bb.28:
	v_lshl_add_u64 v[0:1], v[6:7], 3, s[4:5]
	global_load_dwordx4 v[8:11], v[0:1], off
	v_subrev_co_u32_e32 v2, vcc, s23, v23
	s_nop 1
	v_subb_co_u32_e64 v3, s[2:3], 0, 0, vcc
	s_waitcnt vmcnt(0)
	v_subrev_co_u32_e32 v0, vcc, s23, v10
	s_nop 1
	v_subbrev_co_u32_e32 v1, vcc, 0, v11, vcc
	v_lshl_add_u64 v[2:3], v[8:9], 0, v[2:3]
	v_cmp_lt_i64_e32 vcc, v[2:3], v[0:1]
	s_and_saveexec_b64 s[2:3], vcc
	s_cbranch_execz .LBB180_41
; %bb.29:
	s_mov_b64 s[4:5], 0
	s_branch .LBB180_32
.LBB180_30:                             ;   in Loop: Header=BB180_32 Depth=1
	s_or_b64 exec, exec, s[14:15]
.LBB180_31:                             ;   in Loop: Header=BB180_32 Depth=1
	s_or_b64 exec, exec, s[12:13]
	s_waitcnt vmcnt(0)
	v_mul_f64 v[8:9], v[4:5], v[8:9]
	v_lshl_add_u32 v10, v10, 3, v22
	ds_add_f64 v10, v[8:9]
	v_lshl_add_u64 v[2:3], v[2:3], 0, 8
	v_cmp_ge_i64_e32 vcc, v[2:3], v[0:1]
	s_or_b64 s[4:5], vcc, s[4:5]
	s_andn2_b64 exec, exec, s[4:5]
	s_cbranch_execz .LBB180_41
.LBB180_32:                             ; =>This Loop Header: Depth=1
                                        ;     Child Loop BB180_35 Depth 2
	v_lshl_add_u64 v[8:9], v[2:3], 2, s[6:7]
	global_load_dword v10, v[8:9], off
	v_lshl_add_u64 v[8:9], v[2:3], 3, s[8:9]
	global_load_dwordx2 v[8:9], v[8:9], off
	s_waitcnt vmcnt(1)
	v_subrev_u32_e32 v11, s23, v10
	v_lshl_add_u32 v10, v11, 3, v11
	v_and_b32_e32 v10, 15, v10
	v_lshl_add_u32 v12, v10, 2, v21
	ds_read_b32 v13, v12
	s_waitcnt lgkmcnt(0)
	v_cmp_ne_u32_e32 vcc, v13, v11
	s_and_saveexec_b64 s[12:13], vcc
	s_cbranch_execz .LBB180_31
; %bb.33:                               ;   in Loop: Header=BB180_32 Depth=1
	s_mov_b64 s[14:15], 0
	s_branch .LBB180_35
.LBB180_34:                             ;   in Loop: Header=BB180_35 Depth=2
	s_or_b64 exec, exec, s[20:21]
	s_and_b64 s[16:17], exec, s[18:19]
	s_or_b64 s[14:15], s[16:17], s[14:15]
	s_andn2_b64 exec, exec, s[14:15]
	s_cbranch_execz .LBB180_30
.LBB180_35:                             ;   Parent Loop BB180_32 Depth=1
                                        ; =>  This Inner Loop Header: Depth=2
	v_cmp_ne_u32_e32 vcc, s1, v13
	s_mov_b64 s[16:17], 0
	s_and_saveexec_b64 s[18:19], vcc
	s_xor_b64 s[18:19], exec, s[18:19]
	s_cbranch_execz .LBB180_37
; %bb.36:                               ;   in Loop: Header=BB180_35 Depth=2
	v_add_u32_e32 v10, 1, v10
	s_mov_b64 s[16:17], exec
	v_and_b32_e32 v10, 15, v10
                                        ; implicit-def: $vgpr12
	s_andn2_saveexec_b64 s[18:19], s[18:19]
	s_cbranch_execz .LBB180_39
	s_branch .LBB180_38
.LBB180_37:                             ;   in Loop: Header=BB180_35 Depth=2
	s_andn2_saveexec_b64 s[18:19], s[18:19]
	s_cbranch_execz .LBB180_39
.LBB180_38:                             ;   in Loop: Header=BB180_35 Depth=2
	v_mov_b32_e32 v13, s1
	ds_cmpst_rtn_b32 v12, v12, v13, v11
	s_andn2_b64 s[16:17], s[16:17], exec
	s_waitcnt lgkmcnt(0)
	v_cmp_ne_u32_e32 vcc, s1, v12
	s_and_b64 s[20:21], vcc, exec
	s_or_b64 s[16:17], s[16:17], s[20:21]
.LBB180_39:                             ;   in Loop: Header=BB180_35 Depth=2
	s_or_b64 exec, exec, s[18:19]
	s_mov_b64 s[18:19], -1
                                        ; implicit-def: $vgpr12
                                        ; implicit-def: $vgpr13
	s_and_saveexec_b64 s[20:21], s[16:17]
	s_cbranch_execz .LBB180_34
; %bb.40:                               ;   in Loop: Header=BB180_35 Depth=2
	v_lshl_add_u32 v12, v10, 2, v21
	ds_read_b32 v13, v12
	s_waitcnt lgkmcnt(0)
	v_cmp_eq_u32_e32 vcc, v13, v11
	s_orn2_b64 s[18:19], vcc, exec
	s_branch .LBB180_34
.LBB180_41:
	s_or_b64 exec, exec, s[2:3]
.LBB180_42:
	v_lshl_add_u64 v[0:1], v[6:7], 3, s[10:11]
	s_waitcnt lgkmcnt(0)
	global_load_dwordx2 v[0:1], v[0:1], off
	s_mov_b64 s[2:3], 0
	v_mov_b32_e32 v3, 0
	s_waitcnt vmcnt(0)
	v_subrev_co_u32_e32 v0, vcc, s22, v0
	s_nop 1
	v_subbrev_co_u32_e32 v1, vcc, 0, v1, vcc
	v_lshl_add_u64 v[0:1], v[0:1], 3, s[34:35]
	s_branch .LBB180_44
.LBB180_43:                             ;   in Loop: Header=BB180_44 Depth=1
	s_or_b64 exec, exec, s[4:5]
	v_add_co_u32_e32 v18, vcc, 8, v18
	s_xor_b64 s[4:5], vcc, -1
	s_and_b64 s[4:5], exec, s[4:5]
	v_add_u32_e32 v19, 64, v19
	s_or_b64 s[2:3], s[4:5], s[2:3]
	v_add_u32_e32 v20, 32, v20
	s_andn2_b64 exec, exec, s[2:3]
	s_cbranch_execz .LBB180_46
.LBB180_44:                             ; =>This Inner Loop Header: Depth=1
	ds_read_b32 v4, v20
	s_waitcnt lgkmcnt(0)
	v_cmp_gt_i32_e32 vcc, s1, v4
	s_and_saveexec_b64 s[4:5], vcc
	s_cbranch_execz .LBB180_43
; %bb.45:                               ;   in Loop: Header=BB180_44 Depth=1
	ds_read_b128 v[6:9], v21
	ds_read_b128 v[10:13], v21 offset:16
	ds_read_b128 v[14:17], v21 offset:32
	;; [unrolled: 1-line block ×3, first 2 shown]
	ds_read_b64 v[26:27], v19
	s_waitcnt lgkmcnt(4)
	v_cmp_gt_i32_e32 vcc, v4, v6
	s_nop 1
	v_cndmask_b32_e64 v2, 0, 1, vcc
	v_lshlrev_b32_e32 v2, 3, v2
	v_cmp_gt_i32_e32 vcc, v4, v7
	v_lshl_add_u64 v[28:29], v[0:1], 0, v[2:3]
	s_nop 0
	v_cndmask_b32_e64 v2, 0, 1, vcc
	v_lshlrev_b32_e32 v2, 3, v2
	v_cmp_gt_i32_e32 vcc, v4, v8
	v_lshl_add_u64 v[6:7], v[28:29], 0, v[2:3]
	s_nop 0
	v_cndmask_b32_e64 v2, 0, 1, vcc
	v_lshlrev_b32_e32 v2, 3, v2
	v_cmp_gt_i32_e32 vcc, v4, v9
	v_lshl_add_u64 v[6:7], v[6:7], 0, v[2:3]
	s_nop 0
	v_cndmask_b32_e64 v2, 0, 1, vcc
	v_lshlrev_b32_e32 v2, 3, v2
	s_waitcnt lgkmcnt(3)
	v_cmp_gt_i32_e32 vcc, v4, v10
	v_lshl_add_u64 v[6:7], v[6:7], 0, v[2:3]
	s_nop 0
	v_cndmask_b32_e64 v2, 0, 1, vcc
	v_lshlrev_b32_e32 v2, 3, v2
	v_cmp_gt_i32_e32 vcc, v4, v11
	v_lshl_add_u64 v[6:7], v[6:7], 0, v[2:3]
	s_nop 0
	v_cndmask_b32_e64 v2, 0, 1, vcc
	v_lshlrev_b32_e32 v2, 3, v2
	v_cmp_gt_i32_e32 vcc, v4, v12
	v_lshl_add_u64 v[6:7], v[6:7], 0, v[2:3]
	s_nop 0
	v_cndmask_b32_e64 v2, 0, 1, vcc
	v_lshlrev_b32_e32 v2, 3, v2
	v_cmp_gt_i32_e32 vcc, v4, v13
	v_lshl_add_u64 v[6:7], v[6:7], 0, v[2:3]
	s_nop 0
	v_cndmask_b32_e64 v2, 0, 1, vcc
	v_lshlrev_b32_e32 v2, 3, v2
	s_waitcnt lgkmcnt(2)
	v_cmp_gt_i32_e32 vcc, v4, v14
	v_lshl_add_u64 v[6:7], v[6:7], 0, v[2:3]
	;; [unrolled: 21-line block ×3, first 2 shown]
	s_nop 0
	v_cndmask_b32_e64 v2, 0, 1, vcc
	v_lshlrev_b32_e32 v2, 3, v2
	v_cmp_gt_i32_e32 vcc, v4, v23
	v_lshl_add_u64 v[6:7], v[6:7], 0, v[2:3]
	s_nop 0
	v_cndmask_b32_e64 v2, 0, 1, vcc
	v_lshlrev_b32_e32 v2, 3, v2
	v_cmp_gt_i32_e32 vcc, v4, v24
	v_lshl_add_u64 v[6:7], v[6:7], 0, v[2:3]
	;; [unrolled: 5-line block ×3, first 2 shown]
	s_nop 0
	v_cndmask_b32_e64 v2, 0, 1, vcc
	v_lshlrev_b32_e32 v2, 3, v2
	v_lshl_add_u64 v[4:5], v[6:7], 0, v[2:3]
	s_waitcnt lgkmcnt(0)
	global_store_dwordx2 v[4:5], v[26:27], off
	s_branch .LBB180_43
.LBB180_46:
	s_endpgm
	.section	.rodata,"a",@progbits
	.p2align	6, 0x0
	.amdhsa_kernel _ZN9rocsparseL38csrgemm_numeric_fill_wf_per_row_kernelILj256ELj8ELj16ELj137ElidEEvT4_S1_PKS1_S3_NS_24const_host_device_scalarIT5_EEPKT3_S3_PKS5_S9_S3_SB_S6_S9_S3_SB_S9_S3_PS5_21rocsparse_index_base_SD_SD_SD_bbb
		.amdhsa_group_segment_fixed_size 6144
		.amdhsa_private_segment_fixed_size 0
		.amdhsa_kernarg_size 156
		.amdhsa_user_sgpr_count 2
		.amdhsa_user_sgpr_dispatch_ptr 0
		.amdhsa_user_sgpr_queue_ptr 0
		.amdhsa_user_sgpr_kernarg_segment_ptr 1
		.amdhsa_user_sgpr_dispatch_id 0
		.amdhsa_user_sgpr_kernarg_preload_length 0
		.amdhsa_user_sgpr_kernarg_preload_offset 0
		.amdhsa_user_sgpr_private_segment_size 0
		.amdhsa_uses_dynamic_stack 0
		.amdhsa_enable_private_segment 0
		.amdhsa_system_sgpr_workgroup_id_x 1
		.amdhsa_system_sgpr_workgroup_id_y 0
		.amdhsa_system_sgpr_workgroup_id_z 0
		.amdhsa_system_sgpr_workgroup_info 0
		.amdhsa_system_vgpr_workitem_id 0
		.amdhsa_next_free_vgpr 30
		.amdhsa_next_free_sgpr 48
		.amdhsa_accum_offset 32
		.amdhsa_reserve_vcc 1
		.amdhsa_float_round_mode_32 0
		.amdhsa_float_round_mode_16_64 0
		.amdhsa_float_denorm_mode_32 3
		.amdhsa_float_denorm_mode_16_64 3
		.amdhsa_dx10_clamp 1
		.amdhsa_ieee_mode 1
		.amdhsa_fp16_overflow 0
		.amdhsa_tg_split 0
		.amdhsa_exception_fp_ieee_invalid_op 0
		.amdhsa_exception_fp_denorm_src 0
		.amdhsa_exception_fp_ieee_div_zero 0
		.amdhsa_exception_fp_ieee_overflow 0
		.amdhsa_exception_fp_ieee_underflow 0
		.amdhsa_exception_fp_ieee_inexact 0
		.amdhsa_exception_int_div_zero 0
	.end_amdhsa_kernel
	.section	.text._ZN9rocsparseL38csrgemm_numeric_fill_wf_per_row_kernelILj256ELj8ELj16ELj137ElidEEvT4_S1_PKS1_S3_NS_24const_host_device_scalarIT5_EEPKT3_S3_PKS5_S9_S3_SB_S6_S9_S3_SB_S9_S3_PS5_21rocsparse_index_base_SD_SD_SD_bbb,"axG",@progbits,_ZN9rocsparseL38csrgemm_numeric_fill_wf_per_row_kernelILj256ELj8ELj16ELj137ElidEEvT4_S1_PKS1_S3_NS_24const_host_device_scalarIT5_EEPKT3_S3_PKS5_S9_S3_SB_S6_S9_S3_SB_S9_S3_PS5_21rocsparse_index_base_SD_SD_SD_bbb,comdat
.Lfunc_end180:
	.size	_ZN9rocsparseL38csrgemm_numeric_fill_wf_per_row_kernelILj256ELj8ELj16ELj137ElidEEvT4_S1_PKS1_S3_NS_24const_host_device_scalarIT5_EEPKT3_S3_PKS5_S9_S3_SB_S6_S9_S3_SB_S9_S3_PS5_21rocsparse_index_base_SD_SD_SD_bbb, .Lfunc_end180-_ZN9rocsparseL38csrgemm_numeric_fill_wf_per_row_kernelILj256ELj8ELj16ELj137ElidEEvT4_S1_PKS1_S3_NS_24const_host_device_scalarIT5_EEPKT3_S3_PKS5_S9_S3_SB_S6_S9_S3_SB_S9_S3_PS5_21rocsparse_index_base_SD_SD_SD_bbb
                                        ; -- End function
	.set _ZN9rocsparseL38csrgemm_numeric_fill_wf_per_row_kernelILj256ELj8ELj16ELj137ElidEEvT4_S1_PKS1_S3_NS_24const_host_device_scalarIT5_EEPKT3_S3_PKS5_S9_S3_SB_S6_S9_S3_SB_S9_S3_PS5_21rocsparse_index_base_SD_SD_SD_bbb.num_vgpr, 30
	.set _ZN9rocsparseL38csrgemm_numeric_fill_wf_per_row_kernelILj256ELj8ELj16ELj137ElidEEvT4_S1_PKS1_S3_NS_24const_host_device_scalarIT5_EEPKT3_S3_PKS5_S9_S3_SB_S6_S9_S3_SB_S9_S3_PS5_21rocsparse_index_base_SD_SD_SD_bbb.num_agpr, 0
	.set _ZN9rocsparseL38csrgemm_numeric_fill_wf_per_row_kernelILj256ELj8ELj16ELj137ElidEEvT4_S1_PKS1_S3_NS_24const_host_device_scalarIT5_EEPKT3_S3_PKS5_S9_S3_SB_S6_S9_S3_SB_S9_S3_PS5_21rocsparse_index_base_SD_SD_SD_bbb.numbered_sgpr, 48
	.set _ZN9rocsparseL38csrgemm_numeric_fill_wf_per_row_kernelILj256ELj8ELj16ELj137ElidEEvT4_S1_PKS1_S3_NS_24const_host_device_scalarIT5_EEPKT3_S3_PKS5_S9_S3_SB_S6_S9_S3_SB_S9_S3_PS5_21rocsparse_index_base_SD_SD_SD_bbb.num_named_barrier, 0
	.set _ZN9rocsparseL38csrgemm_numeric_fill_wf_per_row_kernelILj256ELj8ELj16ELj137ElidEEvT4_S1_PKS1_S3_NS_24const_host_device_scalarIT5_EEPKT3_S3_PKS5_S9_S3_SB_S6_S9_S3_SB_S9_S3_PS5_21rocsparse_index_base_SD_SD_SD_bbb.private_seg_size, 0
	.set _ZN9rocsparseL38csrgemm_numeric_fill_wf_per_row_kernelILj256ELj8ELj16ELj137ElidEEvT4_S1_PKS1_S3_NS_24const_host_device_scalarIT5_EEPKT3_S3_PKS5_S9_S3_SB_S6_S9_S3_SB_S9_S3_PS5_21rocsparse_index_base_SD_SD_SD_bbb.uses_vcc, 1
	.set _ZN9rocsparseL38csrgemm_numeric_fill_wf_per_row_kernelILj256ELj8ELj16ELj137ElidEEvT4_S1_PKS1_S3_NS_24const_host_device_scalarIT5_EEPKT3_S3_PKS5_S9_S3_SB_S6_S9_S3_SB_S9_S3_PS5_21rocsparse_index_base_SD_SD_SD_bbb.uses_flat_scratch, 0
	.set _ZN9rocsparseL38csrgemm_numeric_fill_wf_per_row_kernelILj256ELj8ELj16ELj137ElidEEvT4_S1_PKS1_S3_NS_24const_host_device_scalarIT5_EEPKT3_S3_PKS5_S9_S3_SB_S6_S9_S3_SB_S9_S3_PS5_21rocsparse_index_base_SD_SD_SD_bbb.has_dyn_sized_stack, 0
	.set _ZN9rocsparseL38csrgemm_numeric_fill_wf_per_row_kernelILj256ELj8ELj16ELj137ElidEEvT4_S1_PKS1_S3_NS_24const_host_device_scalarIT5_EEPKT3_S3_PKS5_S9_S3_SB_S6_S9_S3_SB_S9_S3_PS5_21rocsparse_index_base_SD_SD_SD_bbb.has_recursion, 0
	.set _ZN9rocsparseL38csrgemm_numeric_fill_wf_per_row_kernelILj256ELj8ELj16ELj137ElidEEvT4_S1_PKS1_S3_NS_24const_host_device_scalarIT5_EEPKT3_S3_PKS5_S9_S3_SB_S6_S9_S3_SB_S9_S3_PS5_21rocsparse_index_base_SD_SD_SD_bbb.has_indirect_call, 0
	.section	.AMDGPU.csdata,"",@progbits
; Kernel info:
; codeLenInByte = 2000
; TotalNumSgprs: 54
; NumVgprs: 30
; NumAgprs: 0
; TotalNumVgprs: 30
; ScratchSize: 0
; MemoryBound: 0
; FloatMode: 240
; IeeeMode: 1
; LDSByteSize: 6144 bytes/workgroup (compile time only)
; SGPRBlocks: 6
; VGPRBlocks: 3
; NumSGPRsForWavesPerEU: 54
; NumVGPRsForWavesPerEU: 30
; AccumOffset: 32
; Occupancy: 8
; WaveLimiterHint : 1
; COMPUTE_PGM_RSRC2:SCRATCH_EN: 0
; COMPUTE_PGM_RSRC2:USER_SGPR: 2
; COMPUTE_PGM_RSRC2:TRAP_HANDLER: 0
; COMPUTE_PGM_RSRC2:TGID_X_EN: 1
; COMPUTE_PGM_RSRC2:TGID_Y_EN: 0
; COMPUTE_PGM_RSRC2:TGID_Z_EN: 0
; COMPUTE_PGM_RSRC2:TIDIG_COMP_CNT: 0
; COMPUTE_PGM_RSRC3_GFX90A:ACCUM_OFFSET: 7
; COMPUTE_PGM_RSRC3_GFX90A:TG_SPLIT: 0
	.section	.text._ZN9rocsparseL38csrgemm_numeric_fill_wf_per_row_kernelILj256ELj16ELj32ELj137ElidEEvT4_S1_PKS1_S3_NS_24const_host_device_scalarIT5_EEPKT3_S3_PKS5_S9_S3_SB_S6_S9_S3_SB_S9_S3_PS5_21rocsparse_index_base_SD_SD_SD_bbb,"axG",@progbits,_ZN9rocsparseL38csrgemm_numeric_fill_wf_per_row_kernelILj256ELj16ELj32ELj137ElidEEvT4_S1_PKS1_S3_NS_24const_host_device_scalarIT5_EEPKT3_S3_PKS5_S9_S3_SB_S6_S9_S3_SB_S9_S3_PS5_21rocsparse_index_base_SD_SD_SD_bbb,comdat
	.globl	_ZN9rocsparseL38csrgemm_numeric_fill_wf_per_row_kernelILj256ELj16ELj32ELj137ElidEEvT4_S1_PKS1_S3_NS_24const_host_device_scalarIT5_EEPKT3_S3_PKS5_S9_S3_SB_S6_S9_S3_SB_S9_S3_PS5_21rocsparse_index_base_SD_SD_SD_bbb ; -- Begin function _ZN9rocsparseL38csrgemm_numeric_fill_wf_per_row_kernelILj256ELj16ELj32ELj137ElidEEvT4_S1_PKS1_S3_NS_24const_host_device_scalarIT5_EEPKT3_S3_PKS5_S9_S3_SB_S6_S9_S3_SB_S9_S3_PS5_21rocsparse_index_base_SD_SD_SD_bbb
	.p2align	8
	.type	_ZN9rocsparseL38csrgemm_numeric_fill_wf_per_row_kernelILj256ELj16ELj32ELj137ElidEEvT4_S1_PKS1_S3_NS_24const_host_device_scalarIT5_EEPKT3_S3_PKS5_S9_S3_SB_S6_S9_S3_SB_S9_S3_PS5_21rocsparse_index_base_SD_SD_SD_bbb,@function
_ZN9rocsparseL38csrgemm_numeric_fill_wf_per_row_kernelILj256ELj16ELj32ELj137ElidEEvT4_S1_PKS1_S3_NS_24const_host_device_scalarIT5_EEPKT3_S3_PKS5_S9_S3_SB_S6_S9_S3_SB_S9_S3_PS5_21rocsparse_index_base_SD_SD_SD_bbb: ; @_ZN9rocsparseL38csrgemm_numeric_fill_wf_per_row_kernelILj256ELj16ELj32ELj137ElidEEvT4_S1_PKS1_S3_NS_24const_host_device_scalarIT5_EEPKT3_S3_PKS5_S9_S3_SB_S6_S9_S3_SB_S9_S3_PS5_21rocsparse_index_base_SD_SD_SD_bbb
; %bb.0:
	s_load_dword s3, s[0:1], 0x98
	s_load_dwordx4 s[20:23], s[0:1], 0x88
	s_load_dwordx2 s[4:5], s[0:1], 0x18
	s_load_dwordx2 s[40:41], s[0:1], 0x50
	s_waitcnt lgkmcnt(0)
	s_bitcmp1_b32 s3, 0
	s_cselect_b64 s[38:39], -1, 0
	s_bitcmp1_b32 s3, 16
	s_cselect_b64 s[42:43], -1, 0
	s_xor_b64 s[6:7], s[38:39], -1
	s_or_b64 s[6:7], s[42:43], s[6:7]
	s_and_b64 s[8:9], s[38:39], exec
	s_cselect_b32 s9, s5, 0
	s_cselect_b32 s8, s4, 0
	s_and_b64 vcc, exec, s[6:7]
	v_mov_b64_e32 v[8:9], s[8:9]
	s_cbranch_vccnz .LBB181_2
; %bb.1:
	v_mov_b64_e32 v[2:3], s[4:5]
	flat_load_dwordx2 v[8:9], v[2:3]
.LBB181_2:
	s_load_dwordx2 s[34:35], s[0:1], 0x80
	s_load_dwordx8 s[4:11], s[0:1], 0x58
	s_load_dwordx4 s[24:27], s[0:1], 0x40
	s_load_dwordx4 s[28:31], s[0:1], 0x8
	s_load_dwordx8 s[12:19], s[0:1], 0x20
	s_bitcmp1_b32 s3, 8
	s_cselect_b64 s[36:37], -1, 0
	s_xor_b64 s[44:45], s[36:37], -1
	s_or_b64 s[42:43], s[42:43], s[44:45]
	s_and_b64 s[44:45], s[36:37], exec
	s_cselect_b32 s45, s41, 0
	s_cselect_b32 s44, s40, 0
	s_and_b64 vcc, exec, s[42:43]
	v_mov_b64_e32 v[4:5], s[44:45]
	s_cbranch_vccnz .LBB181_4
; %bb.3:
	v_mov_b64_e32 v[2:3], s[40:41]
	flat_load_dwordx2 v[4:5], v[2:3]
.LBB181_4:
	s_load_dwordx2 s[0:1], s[0:1], 0x0
	v_and_b32_e32 v23, 15, v0
	v_lshrrev_b32_e32 v0, 4, v0
	v_lshlrev_b32_e32 v1, 3, v23
	v_lshl_or_b32 v19, v0, 8, v1
	v_lshlrev_b32_e32 v1, 7, v0
	v_lshlrev_b32_e32 v2, 2, v23
	s_movk_i32 s3, 0x1000
	v_or_b32_e32 v18, -16, v23
	v_or3_b32 v20, v1, v2, s3
	v_mov_b32_e32 v6, 0
	s_mov_b64 s[40:41], 0
	s_waitcnt lgkmcnt(0)
	v_mov_b32_e32 v10, s1
	v_mov_b32_e32 v7, v6
	;; [unrolled: 1-line block ×5, first 2 shown]
.LBB181_5:                              ; =>This Inner Loop Header: Depth=1
	v_add_co_u32_e32 v3, vcc, 16, v3
	s_xor_b64 s[42:43], vcc, -1
	s_and_b64 s[42:43], exec, s[42:43]
	ds_write_b32 v1, v10
	ds_write_b64 v2, v[6:7]
	v_add_u32_e32 v2, 0x80, v2
	s_or_b64 s[40:41], s[42:43], s[40:41]
	v_add_u32_e32 v1, 64, v1
	s_andn2_b64 exec, exec, s[40:41]
	s_cbranch_execnz .LBB181_5
; %bb.6:
	s_or_b64 exec, exec, s[40:41]
	s_lshl_b32 s2, s2, 4
	s_and_b32 s2, s2, 0xffffff0
	v_or_b32_e32 v6, s2, v0
	v_cmp_gt_i32_e32 vcc, s0, v6
	s_waitcnt lgkmcnt(0)
	s_and_saveexec_b64 s[2:3], vcc
	s_cbranch_execz .LBB181_46
; %bb.7:
	s_cmp_eq_u64 s[30:31], 0
	s_cbranch_scc1 .LBB181_9
; %bb.8:
	s_load_dword s0, s[28:29], 0x0
	s_waitcnt lgkmcnt(0)
	v_add_u32_e32 v2, s0, v6
	v_ashrrev_i32_e32 v3, 31, v2
	v_lshl_add_u64 v[2:3], v[2:3], 2, s[30:31]
	global_load_dword v6, v[2:3], off
.LBB181_9:
	v_mov_b32_e32 v1, 0x1000
	v_lshl_or_b32 v21, v0, 7, v1
	v_lshlrev_b32_e32 v22, 8, v0
	s_andn2_b64 vcc, exec, s[38:39]
	s_waitcnt vmcnt(0)
	v_ashrrev_i32_e32 v7, 31, v6
	s_cbranch_vccnz .LBB181_27
; %bb.10:
	v_lshl_add_u64 v[0:1], v[6:7], 3, s[12:13]
	global_load_dwordx4 v[0:3], v[0:1], off
	v_subrev_co_u32_e32 v12, vcc, s20, v23
	s_nop 1
	v_subb_co_u32_e64 v13, s[2:3], 0, 0, vcc
	s_waitcnt vmcnt(0)
	v_subrev_co_u32_e32 v10, vcc, s20, v2
	s_nop 1
	v_subbrev_co_u32_e32 v11, vcc, 0, v3, vcc
	v_lshl_add_u64 v[12:13], v[0:1], 0, v[12:13]
	v_cmp_lt_i64_e32 vcc, v[12:13], v[10:11]
	s_and_saveexec_b64 s[2:3], vcc
	s_cbranch_execz .LBB181_26
; %bb.11:
	s_mov_b32 s0, s21
	s_mov_b64 s[12:13], 0
	s_branch .LBB181_13
.LBB181_12:                             ;   in Loop: Header=BB181_13 Depth=1
	s_or_b64 exec, exec, s[28:29]
	v_lshl_add_u64 v[12:13], v[12:13], 0, 16
	v_cmp_ge_i64_e32 vcc, v[12:13], v[10:11]
	s_or_b64 s[12:13], vcc, s[12:13]
	s_andn2_b64 exec, exec, s[12:13]
	s_cbranch_execz .LBB181_26
.LBB181_13:                             ; =>This Loop Header: Depth=1
                                        ;     Child Loop BB181_17 Depth 2
                                        ;       Child Loop BB181_20 Depth 3
	v_lshl_add_u64 v[0:1], v[12:13], 2, s[14:15]
	global_load_dword v0, v[0:1], off
	s_waitcnt vmcnt(0)
	v_subrev_u32_e32 v0, s20, v0
	v_ashrrev_i32_e32 v1, 31, v0
	v_lshl_add_u64 v[0:1], v[0:1], 3, s[18:19]
	global_load_dwordx4 v[0:3], v[0:1], off
	s_waitcnt vmcnt(0)
	v_cmp_lt_i64_e32 vcc, v[0:1], v[2:3]
	s_and_saveexec_b64 s[28:29], vcc
	s_cbranch_execz .LBB181_12
; %bb.14:                               ;   in Loop: Header=BB181_13 Depth=1
	v_lshl_add_u64 v[14:15], v[12:13], 3, s[16:17]
	global_load_dwordx2 v[14:15], v[14:15], off
	v_subrev_co_u32_e32 v2, vcc, s0, v2
	s_mov_b64 s[30:31], 0
	s_nop 0
	v_subbrev_co_u32_e32 v3, vcc, 0, v3, vcc
	v_subrev_co_u32_e32 v0, vcc, s0, v0
	s_waitcnt vmcnt(0)
	v_mul_f64 v[14:15], v[8:9], v[14:15]
	v_subbrev_co_u32_e32 v1, vcc, 0, v1, vcc
	s_branch .LBB181_17
.LBB181_15:                             ;   in Loop: Header=BB181_17 Depth=2
	s_or_b64 exec, exec, s[40:41]
.LBB181_16:                             ;   in Loop: Header=BB181_17 Depth=2
	s_or_b64 exec, exec, s[38:39]
	s_waitcnt vmcnt(0)
	v_mul_f64 v[16:17], v[14:15], v[16:17]
	v_lshl_add_u32 v24, v24, 3, v22
	ds_add_f64 v24, v[16:17]
	v_lshl_add_u64 v[0:1], v[0:1], 0, 1
	v_cmp_ge_i64_e32 vcc, v[0:1], v[2:3]
	s_or_b64 s[30:31], vcc, s[30:31]
	s_andn2_b64 exec, exec, s[30:31]
	s_cbranch_execz .LBB181_12
.LBB181_17:                             ;   Parent Loop BB181_13 Depth=1
                                        ; =>  This Loop Header: Depth=2
                                        ;       Child Loop BB181_20 Depth 3
	v_lshl_add_u64 v[16:17], v[0:1], 2, s[24:25]
	global_load_dword v24, v[16:17], off
	v_lshl_add_u64 v[16:17], v[0:1], 3, s[26:27]
	global_load_dwordx2 v[16:17], v[16:17], off
	s_waitcnt vmcnt(1)
	v_subrev_u32_e32 v25, s21, v24
	v_lshl_add_u32 v24, v25, 3, v25
	v_and_b32_e32 v24, 31, v24
	v_lshl_add_u32 v26, v24, 2, v21
	ds_read_b32 v27, v26
	s_waitcnt lgkmcnt(0)
	v_cmp_ne_u32_e32 vcc, v27, v25
	s_and_saveexec_b64 s[38:39], vcc
	s_cbranch_execz .LBB181_16
; %bb.18:                               ;   in Loop: Header=BB181_17 Depth=2
	s_mov_b64 s[40:41], 0
	s_branch .LBB181_20
.LBB181_19:                             ;   in Loop: Header=BB181_20 Depth=3
	s_or_b64 exec, exec, s[46:47]
	s_and_b64 s[42:43], exec, s[44:45]
	s_or_b64 s[40:41], s[42:43], s[40:41]
	s_andn2_b64 exec, exec, s[40:41]
	s_cbranch_execz .LBB181_15
.LBB181_20:                             ;   Parent Loop BB181_13 Depth=1
                                        ;     Parent Loop BB181_17 Depth=2
                                        ; =>    This Inner Loop Header: Depth=3
	v_cmp_ne_u32_e32 vcc, s1, v27
	s_mov_b64 s[42:43], 0
	s_and_saveexec_b64 s[44:45], vcc
	s_xor_b64 s[44:45], exec, s[44:45]
	s_cbranch_execz .LBB181_22
; %bb.21:                               ;   in Loop: Header=BB181_20 Depth=3
	v_add_u32_e32 v24, 1, v24
	s_mov_b64 s[42:43], exec
	v_and_b32_e32 v24, 31, v24
                                        ; implicit-def: $vgpr26
	s_andn2_saveexec_b64 s[44:45], s[44:45]
	s_cbranch_execz .LBB181_24
	s_branch .LBB181_23
.LBB181_22:                             ;   in Loop: Header=BB181_20 Depth=3
	s_andn2_saveexec_b64 s[44:45], s[44:45]
	s_cbranch_execz .LBB181_24
.LBB181_23:                             ;   in Loop: Header=BB181_20 Depth=3
	v_mov_b32_e32 v27, s1
	ds_cmpst_rtn_b32 v26, v26, v27, v25
	s_andn2_b64 s[42:43], s[42:43], exec
	s_waitcnt lgkmcnt(0)
	v_cmp_ne_u32_e32 vcc, s1, v26
	s_and_b64 s[46:47], vcc, exec
	s_or_b64 s[42:43], s[42:43], s[46:47]
.LBB181_24:                             ;   in Loop: Header=BB181_20 Depth=3
	s_or_b64 exec, exec, s[44:45]
	s_mov_b64 s[44:45], -1
                                        ; implicit-def: $vgpr26
                                        ; implicit-def: $vgpr27
	s_and_saveexec_b64 s[46:47], s[42:43]
	s_cbranch_execz .LBB181_19
; %bb.25:                               ;   in Loop: Header=BB181_20 Depth=3
	v_lshl_add_u32 v26, v24, 2, v21
	ds_read_b32 v27, v26
	s_waitcnt lgkmcnt(0)
	v_cmp_eq_u32_e32 vcc, v27, v25
	s_orn2_b64 s[44:45], vcc, exec
	s_branch .LBB181_19
.LBB181_26:
	s_or_b64 exec, exec, s[2:3]
.LBB181_27:
	s_andn2_b64 vcc, exec, s[36:37]
	s_cbranch_vccnz .LBB181_42
; %bb.28:
	v_lshl_add_u64 v[0:1], v[6:7], 3, s[4:5]
	global_load_dwordx4 v[8:11], v[0:1], off
	v_subrev_co_u32_e32 v2, vcc, s23, v23
	s_nop 1
	v_subb_co_u32_e64 v3, s[2:3], 0, 0, vcc
	s_waitcnt vmcnt(0)
	v_subrev_co_u32_e32 v0, vcc, s23, v10
	s_nop 1
	v_subbrev_co_u32_e32 v1, vcc, 0, v11, vcc
	v_lshl_add_u64 v[2:3], v[8:9], 0, v[2:3]
	v_cmp_lt_i64_e32 vcc, v[2:3], v[0:1]
	s_and_saveexec_b64 s[2:3], vcc
	s_cbranch_execz .LBB181_41
; %bb.29:
	s_mov_b64 s[4:5], 0
	s_branch .LBB181_32
.LBB181_30:                             ;   in Loop: Header=BB181_32 Depth=1
	s_or_b64 exec, exec, s[14:15]
.LBB181_31:                             ;   in Loop: Header=BB181_32 Depth=1
	s_or_b64 exec, exec, s[12:13]
	s_waitcnt vmcnt(0)
	v_mul_f64 v[8:9], v[4:5], v[8:9]
	v_lshl_add_u32 v10, v10, 3, v22
	ds_add_f64 v10, v[8:9]
	v_lshl_add_u64 v[2:3], v[2:3], 0, 16
	v_cmp_ge_i64_e32 vcc, v[2:3], v[0:1]
	s_or_b64 s[4:5], vcc, s[4:5]
	s_andn2_b64 exec, exec, s[4:5]
	s_cbranch_execz .LBB181_41
.LBB181_32:                             ; =>This Loop Header: Depth=1
                                        ;     Child Loop BB181_35 Depth 2
	v_lshl_add_u64 v[8:9], v[2:3], 2, s[6:7]
	global_load_dword v10, v[8:9], off
	v_lshl_add_u64 v[8:9], v[2:3], 3, s[8:9]
	global_load_dwordx2 v[8:9], v[8:9], off
	s_waitcnt vmcnt(1)
	v_subrev_u32_e32 v11, s23, v10
	v_lshl_add_u32 v10, v11, 3, v11
	v_and_b32_e32 v10, 31, v10
	v_lshl_add_u32 v12, v10, 2, v21
	ds_read_b32 v13, v12
	s_waitcnt lgkmcnt(0)
	v_cmp_ne_u32_e32 vcc, v13, v11
	s_and_saveexec_b64 s[12:13], vcc
	s_cbranch_execz .LBB181_31
; %bb.33:                               ;   in Loop: Header=BB181_32 Depth=1
	s_mov_b64 s[14:15], 0
	s_branch .LBB181_35
.LBB181_34:                             ;   in Loop: Header=BB181_35 Depth=2
	s_or_b64 exec, exec, s[20:21]
	s_and_b64 s[16:17], exec, s[18:19]
	s_or_b64 s[14:15], s[16:17], s[14:15]
	s_andn2_b64 exec, exec, s[14:15]
	s_cbranch_execz .LBB181_30
.LBB181_35:                             ;   Parent Loop BB181_32 Depth=1
                                        ; =>  This Inner Loop Header: Depth=2
	v_cmp_ne_u32_e32 vcc, s1, v13
	s_mov_b64 s[16:17], 0
	s_and_saveexec_b64 s[18:19], vcc
	s_xor_b64 s[18:19], exec, s[18:19]
	s_cbranch_execz .LBB181_37
; %bb.36:                               ;   in Loop: Header=BB181_35 Depth=2
	v_add_u32_e32 v10, 1, v10
	s_mov_b64 s[16:17], exec
	v_and_b32_e32 v10, 31, v10
                                        ; implicit-def: $vgpr12
	s_andn2_saveexec_b64 s[18:19], s[18:19]
	s_cbranch_execz .LBB181_39
	s_branch .LBB181_38
.LBB181_37:                             ;   in Loop: Header=BB181_35 Depth=2
	s_andn2_saveexec_b64 s[18:19], s[18:19]
	s_cbranch_execz .LBB181_39
.LBB181_38:                             ;   in Loop: Header=BB181_35 Depth=2
	v_mov_b32_e32 v13, s1
	ds_cmpst_rtn_b32 v12, v12, v13, v11
	s_andn2_b64 s[16:17], s[16:17], exec
	s_waitcnt lgkmcnt(0)
	v_cmp_ne_u32_e32 vcc, s1, v12
	s_and_b64 s[20:21], vcc, exec
	s_or_b64 s[16:17], s[16:17], s[20:21]
.LBB181_39:                             ;   in Loop: Header=BB181_35 Depth=2
	s_or_b64 exec, exec, s[18:19]
	s_mov_b64 s[18:19], -1
                                        ; implicit-def: $vgpr12
                                        ; implicit-def: $vgpr13
	s_and_saveexec_b64 s[20:21], s[16:17]
	s_cbranch_execz .LBB181_34
; %bb.40:                               ;   in Loop: Header=BB181_35 Depth=2
	v_lshl_add_u32 v12, v10, 2, v21
	ds_read_b32 v13, v12
	s_waitcnt lgkmcnt(0)
	v_cmp_eq_u32_e32 vcc, v13, v11
	s_orn2_b64 s[18:19], vcc, exec
	s_branch .LBB181_34
.LBB181_41:
	s_or_b64 exec, exec, s[2:3]
.LBB181_42:
	v_lshl_add_u64 v[0:1], v[6:7], 3, s[10:11]
	s_waitcnt lgkmcnt(0)
	global_load_dwordx2 v[0:1], v[0:1], off
	s_mov_b64 s[2:3], 0
	v_mov_b32_e32 v3, 0
	s_waitcnt vmcnt(0)
	v_subrev_co_u32_e32 v0, vcc, s22, v0
	s_nop 1
	v_subbrev_co_u32_e32 v1, vcc, 0, v1, vcc
	v_lshl_add_u64 v[0:1], v[0:1], 3, s[34:35]
	s_branch .LBB181_44
.LBB181_43:                             ;   in Loop: Header=BB181_44 Depth=1
	s_or_b64 exec, exec, s[4:5]
	v_add_co_u32_e32 v18, vcc, 16, v18
	s_xor_b64 s[4:5], vcc, -1
	s_and_b64 s[4:5], exec, s[4:5]
	v_add_u32_e32 v19, 0x80, v19
	s_or_b64 s[2:3], s[4:5], s[2:3]
	v_add_u32_e32 v20, 64, v20
	s_andn2_b64 exec, exec, s[2:3]
	s_cbranch_execz .LBB181_46
.LBB181_44:                             ; =>This Inner Loop Header: Depth=1
	ds_read_b32 v4, v20
	s_waitcnt lgkmcnt(0)
	v_cmp_gt_i32_e32 vcc, s1, v4
	s_and_saveexec_b64 s[4:5], vcc
	s_cbranch_execz .LBB181_43
; %bb.45:                               ;   in Loop: Header=BB181_44 Depth=1
	ds_read_b128 v[6:9], v21
	ds_read_b128 v[10:13], v21 offset:16
	ds_read_b128 v[14:17], v21 offset:32
	;; [unrolled: 1-line block ×7, first 2 shown]
	ds_read_b64 v[42:43], v19
	s_waitcnt lgkmcnt(8)
	v_cmp_gt_i32_e32 vcc, v4, v6
	s_nop 1
	v_cndmask_b32_e64 v2, 0, 1, vcc
	v_lshlrev_b32_e32 v2, 3, v2
	v_cmp_gt_i32_e32 vcc, v4, v7
	v_lshl_add_u64 v[44:45], v[0:1], 0, v[2:3]
	s_nop 0
	v_cndmask_b32_e64 v2, 0, 1, vcc
	v_lshlrev_b32_e32 v2, 3, v2
	v_cmp_gt_i32_e32 vcc, v4, v8
	v_lshl_add_u64 v[6:7], v[44:45], 0, v[2:3]
	s_nop 0
	v_cndmask_b32_e64 v2, 0, 1, vcc
	v_lshlrev_b32_e32 v2, 3, v2
	v_cmp_gt_i32_e32 vcc, v4, v9
	v_lshl_add_u64 v[6:7], v[6:7], 0, v[2:3]
	s_nop 0
	v_cndmask_b32_e64 v2, 0, 1, vcc
	v_lshlrev_b32_e32 v2, 3, v2
	s_waitcnt lgkmcnt(7)
	v_cmp_gt_i32_e32 vcc, v4, v10
	v_lshl_add_u64 v[6:7], v[6:7], 0, v[2:3]
	s_nop 0
	v_cndmask_b32_e64 v2, 0, 1, vcc
	v_lshlrev_b32_e32 v2, 3, v2
	v_cmp_gt_i32_e32 vcc, v4, v11
	v_lshl_add_u64 v[6:7], v[6:7], 0, v[2:3]
	s_nop 0
	v_cndmask_b32_e64 v2, 0, 1, vcc
	v_lshlrev_b32_e32 v2, 3, v2
	v_cmp_gt_i32_e32 vcc, v4, v12
	v_lshl_add_u64 v[6:7], v[6:7], 0, v[2:3]
	s_nop 0
	v_cndmask_b32_e64 v2, 0, 1, vcc
	v_lshlrev_b32_e32 v2, 3, v2
	v_cmp_gt_i32_e32 vcc, v4, v13
	v_lshl_add_u64 v[6:7], v[6:7], 0, v[2:3]
	s_nop 0
	v_cndmask_b32_e64 v2, 0, 1, vcc
	v_lshlrev_b32_e32 v2, 3, v2
	s_waitcnt lgkmcnt(6)
	v_cmp_gt_i32_e32 vcc, v4, v14
	v_lshl_add_u64 v[6:7], v[6:7], 0, v[2:3]
	;; [unrolled: 21-line block ×7, first 2 shown]
	s_nop 0
	v_cndmask_b32_e64 v2, 0, 1, vcc
	v_lshlrev_b32_e32 v2, 3, v2
	v_cmp_gt_i32_e32 vcc, v4, v39
	v_lshl_add_u64 v[6:7], v[6:7], 0, v[2:3]
	s_nop 0
	v_cndmask_b32_e64 v2, 0, 1, vcc
	v_lshlrev_b32_e32 v2, 3, v2
	v_cmp_gt_i32_e32 vcc, v4, v40
	v_lshl_add_u64 v[6:7], v[6:7], 0, v[2:3]
	;; [unrolled: 5-line block ×3, first 2 shown]
	s_nop 0
	v_cndmask_b32_e64 v2, 0, 1, vcc
	v_lshlrev_b32_e32 v2, 3, v2
	v_lshl_add_u64 v[4:5], v[6:7], 0, v[2:3]
	s_waitcnt lgkmcnt(0)
	global_store_dwordx2 v[4:5], v[42:43], off
	s_branch .LBB181_43
.LBB181_46:
	s_endpgm
	.section	.rodata,"a",@progbits
	.p2align	6, 0x0
	.amdhsa_kernel _ZN9rocsparseL38csrgemm_numeric_fill_wf_per_row_kernelILj256ELj16ELj32ELj137ElidEEvT4_S1_PKS1_S3_NS_24const_host_device_scalarIT5_EEPKT3_S3_PKS5_S9_S3_SB_S6_S9_S3_SB_S9_S3_PS5_21rocsparse_index_base_SD_SD_SD_bbb
		.amdhsa_group_segment_fixed_size 6144
		.amdhsa_private_segment_fixed_size 0
		.amdhsa_kernarg_size 156
		.amdhsa_user_sgpr_count 2
		.amdhsa_user_sgpr_dispatch_ptr 0
		.amdhsa_user_sgpr_queue_ptr 0
		.amdhsa_user_sgpr_kernarg_segment_ptr 1
		.amdhsa_user_sgpr_dispatch_id 0
		.amdhsa_user_sgpr_kernarg_preload_length 0
		.amdhsa_user_sgpr_kernarg_preload_offset 0
		.amdhsa_user_sgpr_private_segment_size 0
		.amdhsa_uses_dynamic_stack 0
		.amdhsa_enable_private_segment 0
		.amdhsa_system_sgpr_workgroup_id_x 1
		.amdhsa_system_sgpr_workgroup_id_y 0
		.amdhsa_system_sgpr_workgroup_id_z 0
		.amdhsa_system_sgpr_workgroup_info 0
		.amdhsa_system_vgpr_workitem_id 0
		.amdhsa_next_free_vgpr 46
		.amdhsa_next_free_sgpr 48
		.amdhsa_accum_offset 48
		.amdhsa_reserve_vcc 1
		.amdhsa_float_round_mode_32 0
		.amdhsa_float_round_mode_16_64 0
		.amdhsa_float_denorm_mode_32 3
		.amdhsa_float_denorm_mode_16_64 3
		.amdhsa_dx10_clamp 1
		.amdhsa_ieee_mode 1
		.amdhsa_fp16_overflow 0
		.amdhsa_tg_split 0
		.amdhsa_exception_fp_ieee_invalid_op 0
		.amdhsa_exception_fp_denorm_src 0
		.amdhsa_exception_fp_ieee_div_zero 0
		.amdhsa_exception_fp_ieee_overflow 0
		.amdhsa_exception_fp_ieee_underflow 0
		.amdhsa_exception_fp_ieee_inexact 0
		.amdhsa_exception_int_div_zero 0
	.end_amdhsa_kernel
	.section	.text._ZN9rocsparseL38csrgemm_numeric_fill_wf_per_row_kernelILj256ELj16ELj32ELj137ElidEEvT4_S1_PKS1_S3_NS_24const_host_device_scalarIT5_EEPKT3_S3_PKS5_S9_S3_SB_S6_S9_S3_SB_S9_S3_PS5_21rocsparse_index_base_SD_SD_SD_bbb,"axG",@progbits,_ZN9rocsparseL38csrgemm_numeric_fill_wf_per_row_kernelILj256ELj16ELj32ELj137ElidEEvT4_S1_PKS1_S3_NS_24const_host_device_scalarIT5_EEPKT3_S3_PKS5_S9_S3_SB_S6_S9_S3_SB_S9_S3_PS5_21rocsparse_index_base_SD_SD_SD_bbb,comdat
.Lfunc_end181:
	.size	_ZN9rocsparseL38csrgemm_numeric_fill_wf_per_row_kernelILj256ELj16ELj32ELj137ElidEEvT4_S1_PKS1_S3_NS_24const_host_device_scalarIT5_EEPKT3_S3_PKS5_S9_S3_SB_S6_S9_S3_SB_S9_S3_PS5_21rocsparse_index_base_SD_SD_SD_bbb, .Lfunc_end181-_ZN9rocsparseL38csrgemm_numeric_fill_wf_per_row_kernelILj256ELj16ELj32ELj137ElidEEvT4_S1_PKS1_S3_NS_24const_host_device_scalarIT5_EEPKT3_S3_PKS5_S9_S3_SB_S6_S9_S3_SB_S9_S3_PS5_21rocsparse_index_base_SD_SD_SD_bbb
                                        ; -- End function
	.set _ZN9rocsparseL38csrgemm_numeric_fill_wf_per_row_kernelILj256ELj16ELj32ELj137ElidEEvT4_S1_PKS1_S3_NS_24const_host_device_scalarIT5_EEPKT3_S3_PKS5_S9_S3_SB_S6_S9_S3_SB_S9_S3_PS5_21rocsparse_index_base_SD_SD_SD_bbb.num_vgpr, 46
	.set _ZN9rocsparseL38csrgemm_numeric_fill_wf_per_row_kernelILj256ELj16ELj32ELj137ElidEEvT4_S1_PKS1_S3_NS_24const_host_device_scalarIT5_EEPKT3_S3_PKS5_S9_S3_SB_S6_S9_S3_SB_S9_S3_PS5_21rocsparse_index_base_SD_SD_SD_bbb.num_agpr, 0
	.set _ZN9rocsparseL38csrgemm_numeric_fill_wf_per_row_kernelILj256ELj16ELj32ELj137ElidEEvT4_S1_PKS1_S3_NS_24const_host_device_scalarIT5_EEPKT3_S3_PKS5_S9_S3_SB_S6_S9_S3_SB_S9_S3_PS5_21rocsparse_index_base_SD_SD_SD_bbb.numbered_sgpr, 48
	.set _ZN9rocsparseL38csrgemm_numeric_fill_wf_per_row_kernelILj256ELj16ELj32ELj137ElidEEvT4_S1_PKS1_S3_NS_24const_host_device_scalarIT5_EEPKT3_S3_PKS5_S9_S3_SB_S6_S9_S3_SB_S9_S3_PS5_21rocsparse_index_base_SD_SD_SD_bbb.num_named_barrier, 0
	.set _ZN9rocsparseL38csrgemm_numeric_fill_wf_per_row_kernelILj256ELj16ELj32ELj137ElidEEvT4_S1_PKS1_S3_NS_24const_host_device_scalarIT5_EEPKT3_S3_PKS5_S9_S3_SB_S6_S9_S3_SB_S9_S3_PS5_21rocsparse_index_base_SD_SD_SD_bbb.private_seg_size, 0
	.set _ZN9rocsparseL38csrgemm_numeric_fill_wf_per_row_kernelILj256ELj16ELj32ELj137ElidEEvT4_S1_PKS1_S3_NS_24const_host_device_scalarIT5_EEPKT3_S3_PKS5_S9_S3_SB_S6_S9_S3_SB_S9_S3_PS5_21rocsparse_index_base_SD_SD_SD_bbb.uses_vcc, 1
	.set _ZN9rocsparseL38csrgemm_numeric_fill_wf_per_row_kernelILj256ELj16ELj32ELj137ElidEEvT4_S1_PKS1_S3_NS_24const_host_device_scalarIT5_EEPKT3_S3_PKS5_S9_S3_SB_S6_S9_S3_SB_S9_S3_PS5_21rocsparse_index_base_SD_SD_SD_bbb.uses_flat_scratch, 0
	.set _ZN9rocsparseL38csrgemm_numeric_fill_wf_per_row_kernelILj256ELj16ELj32ELj137ElidEEvT4_S1_PKS1_S3_NS_24const_host_device_scalarIT5_EEPKT3_S3_PKS5_S9_S3_SB_S6_S9_S3_SB_S9_S3_PS5_21rocsparse_index_base_SD_SD_SD_bbb.has_dyn_sized_stack, 0
	.set _ZN9rocsparseL38csrgemm_numeric_fill_wf_per_row_kernelILj256ELj16ELj32ELj137ElidEEvT4_S1_PKS1_S3_NS_24const_host_device_scalarIT5_EEPKT3_S3_PKS5_S9_S3_SB_S6_S9_S3_SB_S9_S3_PS5_21rocsparse_index_base_SD_SD_SD_bbb.has_recursion, 0
	.set _ZN9rocsparseL38csrgemm_numeric_fill_wf_per_row_kernelILj256ELj16ELj32ELj137ElidEEvT4_S1_PKS1_S3_NS_24const_host_device_scalarIT5_EEPKT3_S3_PKS5_S9_S3_SB_S6_S9_S3_SB_S9_S3_PS5_21rocsparse_index_base_SD_SD_SD_bbb.has_indirect_call, 0
	.section	.AMDGPU.csdata,"",@progbits
; Kernel info:
; codeLenInByte = 2504
; TotalNumSgprs: 54
; NumVgprs: 46
; NumAgprs: 0
; TotalNumVgprs: 46
; ScratchSize: 0
; MemoryBound: 0
; FloatMode: 240
; IeeeMode: 1
; LDSByteSize: 6144 bytes/workgroup (compile time only)
; SGPRBlocks: 6
; VGPRBlocks: 5
; NumSGPRsForWavesPerEU: 54
; NumVGPRsForWavesPerEU: 46
; AccumOffset: 48
; Occupancy: 8
; WaveLimiterHint : 1
; COMPUTE_PGM_RSRC2:SCRATCH_EN: 0
; COMPUTE_PGM_RSRC2:USER_SGPR: 2
; COMPUTE_PGM_RSRC2:TRAP_HANDLER: 0
; COMPUTE_PGM_RSRC2:TGID_X_EN: 1
; COMPUTE_PGM_RSRC2:TGID_Y_EN: 0
; COMPUTE_PGM_RSRC2:TGID_Z_EN: 0
; COMPUTE_PGM_RSRC2:TIDIG_COMP_CNT: 0
; COMPUTE_PGM_RSRC3_GFX90A:ACCUM_OFFSET: 11
; COMPUTE_PGM_RSRC3_GFX90A:TG_SPLIT: 0
	.section	.text._ZN9rocsparseL41csrgemm_numeric_fill_block_per_row_kernelILj128ELj16ELj256ELj137ELj32ElidEEvT5_PKS1_S3_NS_24const_host_device_scalarIT6_EEPKT4_S3_PKS5_S9_S3_SB_S6_S9_S3_SB_S9_S3_PS5_21rocsparse_index_base_SD_SD_SD_bbb,"axG",@progbits,_ZN9rocsparseL41csrgemm_numeric_fill_block_per_row_kernelILj128ELj16ELj256ELj137ELj32ElidEEvT5_PKS1_S3_NS_24const_host_device_scalarIT6_EEPKT4_S3_PKS5_S9_S3_SB_S6_S9_S3_SB_S9_S3_PS5_21rocsparse_index_base_SD_SD_SD_bbb,comdat
	.globl	_ZN9rocsparseL41csrgemm_numeric_fill_block_per_row_kernelILj128ELj16ELj256ELj137ELj32ElidEEvT5_PKS1_S3_NS_24const_host_device_scalarIT6_EEPKT4_S3_PKS5_S9_S3_SB_S6_S9_S3_SB_S9_S3_PS5_21rocsparse_index_base_SD_SD_SD_bbb ; -- Begin function _ZN9rocsparseL41csrgemm_numeric_fill_block_per_row_kernelILj128ELj16ELj256ELj137ELj32ElidEEvT5_PKS1_S3_NS_24const_host_device_scalarIT6_EEPKT4_S3_PKS5_S9_S3_SB_S6_S9_S3_SB_S9_S3_PS5_21rocsparse_index_base_SD_SD_SD_bbb
	.p2align	8
	.type	_ZN9rocsparseL41csrgemm_numeric_fill_block_per_row_kernelILj128ELj16ELj256ELj137ELj32ElidEEvT5_PKS1_S3_NS_24const_host_device_scalarIT6_EEPKT4_S3_PKS5_S9_S3_SB_S6_S9_S3_SB_S9_S3_PS5_21rocsparse_index_base_SD_SD_SD_bbb,@function
_ZN9rocsparseL41csrgemm_numeric_fill_block_per_row_kernelILj128ELj16ELj256ELj137ELj32ElidEEvT5_PKS1_S3_NS_24const_host_device_scalarIT6_EEPKT4_S3_PKS5_S9_S3_SB_S6_S9_S3_SB_S9_S3_PS5_21rocsparse_index_base_SD_SD_SD_bbb: ; @_ZN9rocsparseL41csrgemm_numeric_fill_block_per_row_kernelILj128ELj16ELj256ELj137ELj32ElidEEvT5_PKS1_S3_NS_24const_host_device_scalarIT6_EEPKT4_S3_PKS5_S9_S3_SB_S6_S9_S3_SB_S9_S3_PS5_21rocsparse_index_base_SD_SD_SD_bbb
; %bb.0:
	s_load_dword s3, s[0:1], 0x98
	s_load_dwordx2 s[6:7], s[0:1], 0x18
	s_load_dwordx2 s[4:5], s[0:1], 0x50
	s_waitcnt lgkmcnt(0)
	s_bitcmp1_b32 s3, 0
	s_cselect_b64 s[38:39], -1, 0
	s_bitcmp1_b32 s3, 16
	s_cselect_b64 s[8:9], -1, 0
	s_xor_b64 s[10:11], s[38:39], -1
	s_or_b64 s[10:11], s[8:9], s[10:11]
	s_and_b64 s[12:13], s[38:39], exec
	s_cselect_b32 s13, s7, 0
	s_cselect_b32 s12, s6, 0
	s_and_b64 vcc, exec, s[10:11]
	v_mov_b64_e32 v[4:5], s[12:13]
	s_cbranch_vccnz .LBB182_2
; %bb.1:
	v_mov_b64_e32 v[2:3], s[6:7]
	flat_load_dwordx2 v[4:5], v[2:3]
.LBB182_2:
	s_bitcmp1_b32 s3, 8
	s_cselect_b64 s[36:37], -1, 0
	s_load_dwordx4 s[20:23], s[0:1], 0x88
	s_xor_b64 s[6:7], s[36:37], -1
	s_or_b64 s[6:7], s[8:9], s[6:7]
	s_and_b64 s[8:9], s[36:37], exec
	s_cselect_b32 s9, s5, 0
	s_cselect_b32 s8, s4, 0
	s_and_b64 vcc, exec, s[6:7]
	v_mov_b64_e32 v[2:3], s[8:9]
	s_cbranch_vccnz .LBB182_4
; %bb.3:
	v_mov_b64_e32 v[2:3], s[4:5]
	flat_load_dwordx2 v[2:3], v[2:3]
.LBB182_4:
	s_load_dwordx2 s[34:35], s[0:1], 0x80
	s_load_dwordx8 s[4:11], s[0:1], 0x58
	s_load_dwordx4 s[24:27], s[0:1], 0x40
	s_load_dwordx8 s[12:19], s[0:1], 0x20
	s_load_dwordx4 s[28:31], s[0:1], 0x8
	s_load_dword s33, s[0:1], 0x0
	s_movk_i32 s0, 0x100
	v_cmp_gt_u32_e64 s[0:1], s0, v0
	v_lshl_add_u32 v18, v0, 3, 0
	v_lshl_add_u32 v1, v0, 2, 0
	s_and_saveexec_b64 s[40:41], s[0:1]
	s_cbranch_execz .LBB182_7
; %bb.5:
	v_mov_b32_e32 v10, 0
	v_add_u32_e32 v6, 0x400, v18
	v_or_b32_e32 v7, 0xffffff80, v0
	v_lshl_add_u32 v8, v0, 2, 0
	s_mov_b64 s[42:43], 0
	s_waitcnt lgkmcnt(0)
	v_mov_b32_e32 v9, s33
	v_mov_b32_e32 v11, v10
.LBB182_6:                              ; =>This Inner Loop Header: Depth=1
	v_add_co_u32_e32 v7, vcc, 0x80, v7
	s_xor_b64 s[44:45], vcc, -1
	s_and_b64 s[44:45], exec, s[44:45]
	ds_write_b32 v8, v9
	ds_write_b64 v6, v[10:11]
	v_add_u32_e32 v6, 0x400, v6
	s_or_b64 s[42:43], s[44:45], s[42:43]
	v_add_u32_e32 v8, 0x200, v8
	s_andn2_b64 exec, exec, s[42:43]
	s_cbranch_execnz .LBB182_6
.LBB182_7:
	s_or_b64 exec, exec, s[40:41]
	s_waitcnt lgkmcnt(0)
	s_barrier
	s_load_dword s3, s[28:29], 0x0
	s_waitcnt lgkmcnt(0)
	s_add_i32 s2, s3, s2
	s_mov_b32 s3, 0
	s_lshl_b64 s[2:3], s[2:3], 2
	s_add_u32 s2, s30, s2
	s_addc_u32 s3, s31, s3
	s_load_dword s28, s[2:3], 0x0
	s_and_b64 vcc, exec, s[38:39]
	s_cbranch_vccz .LBB182_25
; %bb.8:
	s_waitcnt lgkmcnt(0)
	s_ashr_i32 s29, s28, 31
	s_lshl_b64 s[2:3], s[28:29], 3
	s_add_u32 s2, s12, s2
	s_addc_u32 s3, s13, s3
	s_load_dwordx4 s[40:43], s[2:3], 0x0
	v_lshrrev_b32_e32 v6, 4, v0
	v_subrev_co_u32_e32 v6, vcc, s20, v6
	s_waitcnt lgkmcnt(0)
	s_sub_u32 s2, s42, s20
	v_subb_co_u32_e64 v7, s[12:13], 0, 0, vcc
	s_subb_u32 s3, s43, 0
	v_lshl_add_u64 v[6:7], s[40:41], 0, v[6:7]
	v_cmp_gt_i64_e32 vcc, s[2:3], v[6:7]
	s_and_saveexec_b64 s[12:13], vcc
	s_cbranch_execz .LBB182_24
; %bb.9:
	v_and_b32_e32 v8, 15, v0
	v_subrev_co_u32_e32 v8, vcc, s21, v8
	s_mov_b32 s29, s21
	s_nop 0
	v_subb_co_u32_e64 v9, s[30:31], 0, 0, vcc
	s_mov_b64 s[30:31], 0
	s_movk_i32 s52, 0x89
	s_branch .LBB182_11
.LBB182_10:                             ;   in Loop: Header=BB182_11 Depth=1
	s_or_b64 exec, exec, s[38:39]
	v_lshl_add_u64 v[6:7], v[6:7], 0, 8
	v_cmp_le_i64_e32 vcc, s[2:3], v[6:7]
	s_or_b64 s[30:31], vcc, s[30:31]
	s_andn2_b64 exec, exec, s[30:31]
	s_cbranch_execz .LBB182_24
.LBB182_11:                             ; =>This Loop Header: Depth=1
                                        ;     Child Loop BB182_15 Depth 2
                                        ;       Child Loop BB182_18 Depth 3
	v_lshl_add_u64 v[10:11], v[6:7], 2, s[14:15]
	global_load_dword v10, v[10:11], off
	s_waitcnt vmcnt(0)
	v_subrev_u32_e32 v10, s20, v10
	v_ashrrev_i32_e32 v11, 31, v10
	v_lshl_add_u64 v[10:11], v[10:11], 3, s[18:19]
	global_load_dwordx4 v[12:15], v[10:11], off
	s_waitcnt vmcnt(0)
	v_subrev_co_u32_e32 v10, vcc, s29, v14
	s_nop 1
	v_subbrev_co_u32_e32 v11, vcc, 0, v15, vcc
	v_lshl_add_u64 v[12:13], v[12:13], 0, v[8:9]
	v_cmp_lt_i64_e32 vcc, v[12:13], v[10:11]
	s_and_saveexec_b64 s[38:39], vcc
	s_cbranch_execz .LBB182_10
; %bb.12:                               ;   in Loop: Header=BB182_11 Depth=1
	v_lshl_add_u64 v[14:15], v[6:7], 3, s[16:17]
	global_load_dwordx2 v[14:15], v[14:15], off
	s_mov_b64 s[40:41], 0
	s_waitcnt vmcnt(0)
	v_mul_f64 v[14:15], v[4:5], v[14:15]
	s_branch .LBB182_15
.LBB182_13:                             ;   in Loop: Header=BB182_15 Depth=2
	s_or_b64 exec, exec, s[44:45]
.LBB182_14:                             ;   in Loop: Header=BB182_15 Depth=2
	s_or_b64 exec, exec, s[42:43]
	s_waitcnt vmcnt(0)
	v_mul_f64 v[16:17], v[14:15], v[16:17]
	v_lshl_add_u32 v19, v19, 3, 0
	ds_add_f64 v19, v[16:17] offset:1024
	v_lshl_add_u64 v[12:13], v[12:13], 0, 16
	v_cmp_ge_i64_e32 vcc, v[12:13], v[10:11]
	s_or_b64 s[40:41], vcc, s[40:41]
	s_andn2_b64 exec, exec, s[40:41]
	s_cbranch_execz .LBB182_10
.LBB182_15:                             ;   Parent Loop BB182_11 Depth=1
                                        ; =>  This Loop Header: Depth=2
                                        ;       Child Loop BB182_18 Depth 3
	v_lshl_add_u64 v[16:17], v[12:13], 2, s[24:25]
	global_load_dword v19, v[16:17], off
	v_lshl_add_u64 v[16:17], v[12:13], 3, s[26:27]
	global_load_dwordx2 v[16:17], v[16:17], off
	s_waitcnt vmcnt(1)
	v_subrev_u32_e32 v20, s21, v19
	v_mul_lo_u32 v19, v20, s52
	v_and_b32_e32 v19, 0xff, v19
	v_lshl_add_u32 v21, v19, 2, 0
	ds_read_b32 v22, v21
	s_waitcnt lgkmcnt(0)
	v_cmp_ne_u32_e32 vcc, v22, v20
	s_and_saveexec_b64 s[42:43], vcc
	s_cbranch_execz .LBB182_14
; %bb.16:                               ;   in Loop: Header=BB182_15 Depth=2
	s_mov_b64 s[44:45], 0
	s_branch .LBB182_18
.LBB182_17:                             ;   in Loop: Header=BB182_18 Depth=3
	s_or_b64 exec, exec, s[50:51]
	s_and_b64 s[46:47], exec, s[48:49]
	s_or_b64 s[44:45], s[46:47], s[44:45]
	s_andn2_b64 exec, exec, s[44:45]
	s_cbranch_execz .LBB182_13
.LBB182_18:                             ;   Parent Loop BB182_11 Depth=1
                                        ;     Parent Loop BB182_15 Depth=2
                                        ; =>    This Inner Loop Header: Depth=3
	v_cmp_ne_u32_e32 vcc, s33, v22
	s_mov_b64 s[46:47], 0
	s_and_saveexec_b64 s[48:49], vcc
	s_xor_b64 s[48:49], exec, s[48:49]
	s_cbranch_execz .LBB182_20
; %bb.19:                               ;   in Loop: Header=BB182_18 Depth=3
	v_add_u32_e32 v19, 1, v19
	s_mov_b64 s[46:47], exec
	v_and_b32_e32 v19, 0xff, v19
                                        ; implicit-def: $vgpr21
	s_andn2_saveexec_b64 s[48:49], s[48:49]
	s_cbranch_execz .LBB182_22
	s_branch .LBB182_21
.LBB182_20:                             ;   in Loop: Header=BB182_18 Depth=3
	s_andn2_saveexec_b64 s[48:49], s[48:49]
	s_cbranch_execz .LBB182_22
.LBB182_21:                             ;   in Loop: Header=BB182_18 Depth=3
	v_mov_b32_e32 v22, s33
	ds_cmpst_rtn_b32 v21, v21, v22, v20
	s_andn2_b64 s[46:47], s[46:47], exec
	s_waitcnt lgkmcnt(0)
	v_cmp_ne_u32_e32 vcc, s33, v21
	s_and_b64 s[50:51], vcc, exec
	s_or_b64 s[46:47], s[46:47], s[50:51]
.LBB182_22:                             ;   in Loop: Header=BB182_18 Depth=3
	s_or_b64 exec, exec, s[48:49]
	s_mov_b64 s[48:49], -1
                                        ; implicit-def: $vgpr21
                                        ; implicit-def: $vgpr22
	s_and_saveexec_b64 s[50:51], s[46:47]
	s_cbranch_execz .LBB182_17
; %bb.23:                               ;   in Loop: Header=BB182_18 Depth=3
	v_lshl_add_u32 v21, v19, 2, 0
	ds_read_b32 v22, v21
	s_waitcnt lgkmcnt(0)
	v_cmp_eq_u32_e32 vcc, v22, v20
	s_orn2_b64 s[48:49], vcc, exec
	s_branch .LBB182_17
.LBB182_24:
	s_or_b64 exec, exec, s[12:13]
.LBB182_25:
	s_andn2_b64 vcc, exec, s[36:37]
	s_cbranch_vccnz .LBB182_40
; %bb.26:
	s_waitcnt lgkmcnt(0)
	s_ashr_i32 s29, s28, 31
	s_lshl_b64 s[2:3], s[28:29], 3
	s_add_u32 s2, s4, s2
	s_addc_u32 s3, s5, s3
	s_load_dwordx4 s[12:15], s[2:3], 0x0
	s_waitcnt vmcnt(0)
	v_subrev_co_u32_e32 v4, vcc, s23, v0
	s_nop 1
	v_subb_co_u32_e64 v5, s[2:3], 0, 0, vcc
	s_waitcnt lgkmcnt(0)
	s_sub_u32 s2, s14, s23
	s_subb_u32 s3, s15, 0
	v_lshl_add_u64 v[4:5], s[12:13], 0, v[4:5]
	v_cmp_gt_i64_e32 vcc, s[2:3], v[4:5]
	s_and_saveexec_b64 s[4:5], vcc
	s_cbranch_execz .LBB182_39
; %bb.27:
	s_mov_b64 s[12:13], 0
	s_movk_i32 s29, 0x89
	s_mov_b64 s[14:15], 0x80
	s_branch .LBB182_30
.LBB182_28:                             ;   in Loop: Header=BB182_30 Depth=1
	s_or_b64 exec, exec, s[18:19]
.LBB182_29:                             ;   in Loop: Header=BB182_30 Depth=1
	s_or_b64 exec, exec, s[16:17]
	s_waitcnt vmcnt(0)
	v_mul_f64 v[6:7], v[2:3], v[6:7]
	v_lshl_add_u32 v8, v8, 3, 0
	ds_add_f64 v8, v[6:7] offset:1024
	v_lshl_add_u64 v[4:5], v[4:5], 0, s[14:15]
	v_cmp_le_i64_e32 vcc, s[2:3], v[4:5]
	s_or_b64 s[12:13], vcc, s[12:13]
	s_andn2_b64 exec, exec, s[12:13]
	s_cbranch_execz .LBB182_39
.LBB182_30:                             ; =>This Loop Header: Depth=1
                                        ;     Child Loop BB182_33 Depth 2
	v_lshl_add_u64 v[6:7], v[4:5], 2, s[6:7]
	global_load_dword v8, v[6:7], off
	v_lshl_add_u64 v[6:7], v[4:5], 3, s[8:9]
	global_load_dwordx2 v[6:7], v[6:7], off
	s_waitcnt vmcnt(1)
	v_subrev_u32_e32 v9, s23, v8
	v_mul_lo_u32 v8, v9, s29
	v_and_b32_e32 v8, 0xff, v8
	v_lshl_add_u32 v10, v8, 2, 0
	ds_read_b32 v11, v10
	s_waitcnt lgkmcnt(0)
	v_cmp_ne_u32_e32 vcc, v11, v9
	s_and_saveexec_b64 s[16:17], vcc
	s_cbranch_execz .LBB182_29
; %bb.31:                               ;   in Loop: Header=BB182_30 Depth=1
	s_mov_b64 s[18:19], 0
	s_branch .LBB182_33
.LBB182_32:                             ;   in Loop: Header=BB182_33 Depth=2
	s_or_b64 exec, exec, s[26:27]
	s_and_b64 s[20:21], exec, s[24:25]
	s_or_b64 s[18:19], s[20:21], s[18:19]
	s_andn2_b64 exec, exec, s[18:19]
	s_cbranch_execz .LBB182_28
.LBB182_33:                             ;   Parent Loop BB182_30 Depth=1
                                        ; =>  This Inner Loop Header: Depth=2
	v_cmp_ne_u32_e32 vcc, s33, v11
	s_mov_b64 s[20:21], 0
	s_and_saveexec_b64 s[24:25], vcc
	s_xor_b64 s[24:25], exec, s[24:25]
	s_cbranch_execz .LBB182_35
; %bb.34:                               ;   in Loop: Header=BB182_33 Depth=2
	v_add_u32_e32 v8, 1, v8
	s_mov_b64 s[20:21], exec
	v_and_b32_e32 v8, 0xff, v8
                                        ; implicit-def: $vgpr10
	s_andn2_saveexec_b64 s[24:25], s[24:25]
	s_cbranch_execz .LBB182_37
	s_branch .LBB182_36
.LBB182_35:                             ;   in Loop: Header=BB182_33 Depth=2
	s_andn2_saveexec_b64 s[24:25], s[24:25]
	s_cbranch_execz .LBB182_37
.LBB182_36:                             ;   in Loop: Header=BB182_33 Depth=2
	v_mov_b32_e32 v11, s33
	ds_cmpst_rtn_b32 v10, v10, v11, v9
	s_andn2_b64 s[20:21], s[20:21], exec
	s_waitcnt lgkmcnt(0)
	v_cmp_ne_u32_e32 vcc, s33, v10
	s_and_b64 s[26:27], vcc, exec
	s_or_b64 s[20:21], s[20:21], s[26:27]
.LBB182_37:                             ;   in Loop: Header=BB182_33 Depth=2
	s_or_b64 exec, exec, s[24:25]
	s_mov_b64 s[24:25], -1
                                        ; implicit-def: $vgpr10
                                        ; implicit-def: $vgpr11
	s_and_saveexec_b64 s[26:27], s[20:21]
	s_cbranch_execz .LBB182_32
; %bb.38:                               ;   in Loop: Header=BB182_33 Depth=2
	v_lshl_add_u32 v10, v8, 2, 0
	ds_read_b32 v11, v10
	s_waitcnt lgkmcnt(0)
	v_cmp_eq_u32_e32 vcc, v11, v9
	s_orn2_b64 s[24:25], vcc, exec
	s_branch .LBB182_32
.LBB182_39:
	s_or_b64 exec, exec, s[4:5]
.LBB182_40:
	s_waitcnt lgkmcnt(0)
	s_barrier
	s_and_saveexec_b64 s[8:9], s[0:1]
	s_cbranch_execz .LBB182_53
; %bb.41:
	s_waitcnt vmcnt(0)
	v_mbcnt_lo_u32_b32 v2, -1, 0
	v_mbcnt_hi_u32_b32 v2, -1, v2
	v_lshrrev_b32_e32 v4, 3, v0
	v_sub_u32_e32 v2, 63, v2
	v_and_b32_e32 v4, 12, v4
	s_movk_i32 s0, 0x7f
	s_movk_i32 s6, 0x5f
	v_mov_b32_e32 v6, 0
	v_lshrrev_b64 v[2:3], v2, -1
	v_add_u32_e32 v7, 0, v4
	v_cmp_eq_u32_e64 s[0:1], s0, v0
	v_cmp_lt_u32_e64 s[2:3], 31, v0
	v_cmp_lt_u32_e64 s[4:5], 63, v0
	;; [unrolled: 1-line block ×3, first 2 shown]
	v_add_u32_e32 v8, 0x400, v18
	v_or_b32_e32 v9, 0xffffff80, v0
	s_mov_b64 s[12:13], 0
	v_mov_b32_e32 v10, 0
	s_branch .LBB182_43
.LBB182_42:                             ;   in Loop: Header=BB182_43 Depth=1
	s_or_b64 exec, exec, s[14:15]
	s_waitcnt lgkmcnt(0)
	s_barrier
	ds_read_b32 v4, v6 offset:3084
	v_add_co_u32_e32 v9, vcc, 0x80, v9
	s_xor_b64 s[14:15], vcc, -1
	s_and_b64 s[14:15], exec, s[14:15]
	v_add_u32_e32 v8, 0x400, v8
	s_waitcnt lgkmcnt(0)
	v_add_u32_e32 v10, v4, v10
	s_or_b64 s[12:13], s[14:15], s[12:13]
	v_add_u32_e32 v1, 0x200, v1
	s_andn2_b64 exec, exec, s[12:13]
	s_cbranch_execz .LBB182_53
.LBB182_43:                             ; =>This Inner Loop Header: Depth=1
	ds_read_b32 v11, v1
	ds_read_b64 v[4:5], v8
	s_waitcnt lgkmcnt(0)
	s_barrier
	v_cmp_gt_i32_e32 vcc, s33, v11
	s_bcnt1_i32_b64 s14, vcc
	s_nop 0
	v_and_b32_e32 v13, vcc_lo, v2
	v_and_b32_e32 v12, vcc_hi, v3
	v_bcnt_u32_b32 v13, v13, 0
	v_bcnt_u32_b32 v12, v12, v13
	v_mov_b32_e32 v13, s14
	ds_write_b32 v7, v13 offset:3072
	s_waitcnt lgkmcnt(0)
	s_barrier
	s_and_saveexec_b64 s[14:15], s[2:3]
	s_cbranch_execz .LBB182_48
; %bb.44:                               ;   in Loop: Header=BB182_43 Depth=1
	ds_read_b32 v13, v6 offset:3072
	s_waitcnt lgkmcnt(0)
	v_add_u32_e32 v12, v13, v12
	s_or_b64 exec, exec, s[14:15]
	s_and_saveexec_b64 s[14:15], s[4:5]
	s_cbranch_execnz .LBB182_49
.LBB182_45:                             ;   in Loop: Header=BB182_43 Depth=1
	s_or_b64 exec, exec, s[14:15]
	s_and_saveexec_b64 s[14:15], s[6:7]
	s_cbranch_execz .LBB182_50
.LBB182_46:                             ;   in Loop: Header=BB182_43 Depth=1
	ds_read_b32 v13, v6 offset:3080
	s_waitcnt lgkmcnt(0)
	v_add_u32_e32 v12, v13, v12
	s_or_b64 exec, exec, s[14:15]
	s_and_saveexec_b64 s[14:15], vcc
	s_cbranch_execnz .LBB182_51
.LBB182_47:                             ;   in Loop: Header=BB182_43 Depth=1
	s_or_b64 exec, exec, s[14:15]
	s_and_saveexec_b64 s[14:15], s[0:1]
	s_cbranch_execz .LBB182_42
	s_branch .LBB182_52
.LBB182_48:                             ;   in Loop: Header=BB182_43 Depth=1
	s_or_b64 exec, exec, s[14:15]
	s_and_saveexec_b64 s[14:15], s[4:5]
	s_cbranch_execz .LBB182_45
.LBB182_49:                             ;   in Loop: Header=BB182_43 Depth=1
	ds_read_b32 v13, v6 offset:3076
	s_waitcnt lgkmcnt(0)
	v_add_u32_e32 v12, v13, v12
	s_or_b64 exec, exec, s[14:15]
	s_and_saveexec_b64 s[14:15], s[6:7]
	s_cbranch_execnz .LBB182_46
.LBB182_50:                             ;   in Loop: Header=BB182_43 Depth=1
	s_or_b64 exec, exec, s[14:15]
	s_and_saveexec_b64 s[14:15], vcc
	s_cbranch_execz .LBB182_47
.LBB182_51:                             ;   in Loop: Header=BB182_43 Depth=1
	v_add3_u32 v13, v10, -1, v12
	v_lshl_add_u32 v13, v13, 2, 0
	v_add_u32_e32 v14, v10, v12
	v_lshl_add_u32 v14, v14, 3, 0
	ds_write_b32 v13, v11
	ds_write_b64 v14, v[4:5] offset:1016
	s_or_b64 exec, exec, s[14:15]
	s_and_saveexec_b64 s[14:15], s[0:1]
	s_cbranch_execz .LBB182_42
.LBB182_52:                             ;   in Loop: Header=BB182_43 Depth=1
	ds_write_b32 v6, v12 offset:3084
	s_branch .LBB182_42
.LBB182_53:
	s_or_b64 exec, exec, s[8:9]
	s_ashr_i32 s29, s28, 31
	s_lshl_b64 s[0:1], s[28:29], 3
	s_add_u32 s4, s10, s0
	s_addc_u32 s5, s11, s1
	s_load_dwordx4 s[0:3], s[4:5], 0x0
	s_waitcnt lgkmcnt(0)
	s_sub_i32 s8, s2, s0
	v_cmp_gt_i32_e32 vcc, s8, v0
	s_and_saveexec_b64 s[4:5], vcc
	s_cbranch_execz .LBB182_63
; %bb.54:
	s_sub_u32 s4, s0, s22
	s_subb_u32 s5, s1, 0
	s_and_b32 s10, s8, 7
	s_sub_i32 s0, s0, s2
	s_cmp_lt_u32 s0, -7
	s_cselect_b64 s[0:1], -1, 0
	s_and_b32 s11, s8, -8
	s_cmp_lg_u32 s10, 0
	v_cndmask_b32_e64 v1, 0, 1, s[0:1]
	s_cselect_b64 s[2:3], -1, 0
	v_cmp_ne_u32_e64 s[0:1], 1, v1
	v_cndmask_b32_e64 v1, 0, 1, s[2:3]
	s_mov_b32 s9, 0
	s_mov_b64 s[6:7], 0
	v_cmp_ne_u32_e64 s[2:3], 1, v1
	s_waitcnt vmcnt(0)
	s_branch .LBB182_56
.LBB182_55:                             ;   in Loop: Header=BB182_56 Depth=1
	v_add_u32_e32 v0, 0x80, v0
	v_cmp_le_i32_e32 vcc, s8, v0
	v_lshl_add_u64 v[4:5], v[4:5], 3, s[34:35]
	s_or_b64 s[6:7], vcc, s[6:7]
	s_waitcnt lgkmcnt(0)
	global_store_dwordx2 v[4:5], v[2:3], off
	s_andn2_b64 exec, exec, s[6:7]
	s_cbranch_execz .LBB182_63
.LBB182_56:                             ; =>This Loop Header: Depth=1
                                        ;     Child Loop BB182_58 Depth 2
                                        ;     Child Loop BB182_62 Depth 2
	v_lshlrev_b32_e32 v1, 2, v0
	v_add_u32_e32 v2, 0, v1
	v_add_u32_e32 v3, v2, v1
	ds_read_b32 v1, v2
	ds_read_b64 v[2:3], v3 offset:1024
	s_and_b64 vcc, exec, s[0:1]
	v_mov_b64_e32 v[4:5], s[4:5]
	s_mov_b32 s12, 0
	s_cbranch_vccnz .LBB182_60
; %bb.57:                               ;   in Loop: Header=BB182_56 Depth=1
	s_mov_b32 s13, 0
	v_mov_b64_e32 v[4:5], s[4:5]
.LBB182_58:                             ;   Parent Loop BB182_56 Depth=1
                                        ; =>  This Inner Loop Header: Depth=2
	v_mov_b32_e32 v6, s13
	ds_read2_b32 v[22:23], v6 offset1:1
	ds_read2_b32 v[24:25], v6 offset0:2 offset1:3
	ds_read2_b32 v[26:27], v6 offset0:4 offset1:5
	;; [unrolled: 1-line block ×3, first 2 shown]
	v_mov_b32_e32 v7, s9
	s_waitcnt lgkmcnt(3)
	v_cmp_gt_i32_e32 vcc, v1, v22
	v_mov_b32_e32 v9, s9
	v_mov_b32_e32 v11, s9
	v_cndmask_b32_e64 v6, 0, 1, vcc
	v_cmp_gt_i32_e32 vcc, v1, v23
	v_lshl_add_u64 v[4:5], v[4:5], 0, v[6:7]
	v_mov_b32_e32 v13, s9
	v_cndmask_b32_e64 v8, 0, 1, vcc
	s_waitcnt lgkmcnt(2)
	v_cmp_gt_i32_e32 vcc, v1, v24
	v_lshl_add_u64 v[4:5], v[4:5], 0, v[8:9]
	v_mov_b32_e32 v15, s9
	v_cndmask_b32_e64 v10, 0, 1, vcc
	v_cmp_gt_i32_e32 vcc, v1, v25
	v_lshl_add_u64 v[4:5], v[4:5], 0, v[10:11]
	v_mov_b32_e32 v17, s9
	v_cndmask_b32_e64 v12, 0, 1, vcc
	s_waitcnt lgkmcnt(1)
	v_cmp_gt_i32_e32 vcc, v1, v26
	v_lshl_add_u64 v[4:5], v[4:5], 0, v[12:13]
	;; [unrolled: 9-line block ×3, first 2 shown]
	s_add_i32 s12, s12, 8
	v_cndmask_b32_e64 v18, 0, 1, vcc
	v_cmp_gt_i32_e32 vcc, v1, v29
	s_add_i32 s13, s13, 32
	v_lshl_add_u64 v[4:5], v[4:5], 0, v[18:19]
	v_cndmask_b32_e64 v20, 0, 1, vcc
	s_cmp_eq_u32 s11, s12
	v_lshl_add_u64 v[4:5], v[4:5], 0, v[20:21]
	s_cbranch_scc0 .LBB182_58
; %bb.59:                               ;   in Loop: Header=BB182_56 Depth=1
	s_mov_b32 s12, s11
.LBB182_60:                             ;   in Loop: Header=BB182_56 Depth=1
	s_and_b64 vcc, exec, s[2:3]
	s_cbranch_vccnz .LBB182_55
; %bb.61:                               ;   in Loop: Header=BB182_56 Depth=1
	s_lshl_b32 s12, s12, 2
	s_add_i32 s12, s12, 0
	s_mov_b32 s13, s10
.LBB182_62:                             ;   Parent Loop BB182_56 Depth=1
                                        ; =>  This Inner Loop Header: Depth=2
	v_mov_b32_e32 v6, s12
	ds_read_b32 v6, v6
	v_mov_b32_e32 v7, s9
	s_add_i32 s12, s12, 4
	s_add_i32 s13, s13, -1
	s_cmp_lg_u32 s13, 0
	s_waitcnt lgkmcnt(0)
	v_cmp_gt_i32_e32 vcc, v1, v6
	s_nop 1
	v_cndmask_b32_e64 v6, 0, 1, vcc
	v_lshl_add_u64 v[4:5], v[4:5], 0, v[6:7]
	s_cbranch_scc1 .LBB182_62
	s_branch .LBB182_55
.LBB182_63:
	s_endpgm
	.section	.rodata,"a",@progbits
	.p2align	6, 0x0
	.amdhsa_kernel _ZN9rocsparseL41csrgemm_numeric_fill_block_per_row_kernelILj128ELj16ELj256ELj137ELj32ElidEEvT5_PKS1_S3_NS_24const_host_device_scalarIT6_EEPKT4_S3_PKS5_S9_S3_SB_S6_S9_S3_SB_S9_S3_PS5_21rocsparse_index_base_SD_SD_SD_bbb
		.amdhsa_group_segment_fixed_size 0
		.amdhsa_private_segment_fixed_size 0
		.amdhsa_kernarg_size 156
		.amdhsa_user_sgpr_count 2
		.amdhsa_user_sgpr_dispatch_ptr 0
		.amdhsa_user_sgpr_queue_ptr 0
		.amdhsa_user_sgpr_kernarg_segment_ptr 1
		.amdhsa_user_sgpr_dispatch_id 0
		.amdhsa_user_sgpr_kernarg_preload_length 0
		.amdhsa_user_sgpr_kernarg_preload_offset 0
		.amdhsa_user_sgpr_private_segment_size 0
		.amdhsa_uses_dynamic_stack 0
		.amdhsa_enable_private_segment 0
		.amdhsa_system_sgpr_workgroup_id_x 1
		.amdhsa_system_sgpr_workgroup_id_y 0
		.amdhsa_system_sgpr_workgroup_id_z 0
		.amdhsa_system_sgpr_workgroup_info 0
		.amdhsa_system_vgpr_workitem_id 0
		.amdhsa_next_free_vgpr 30
		.amdhsa_next_free_sgpr 53
		.amdhsa_accum_offset 32
		.amdhsa_reserve_vcc 1
		.amdhsa_float_round_mode_32 0
		.amdhsa_float_round_mode_16_64 0
		.amdhsa_float_denorm_mode_32 3
		.amdhsa_float_denorm_mode_16_64 3
		.amdhsa_dx10_clamp 1
		.amdhsa_ieee_mode 1
		.amdhsa_fp16_overflow 0
		.amdhsa_tg_split 0
		.amdhsa_exception_fp_ieee_invalid_op 0
		.amdhsa_exception_fp_denorm_src 0
		.amdhsa_exception_fp_ieee_div_zero 0
		.amdhsa_exception_fp_ieee_overflow 0
		.amdhsa_exception_fp_ieee_underflow 0
		.amdhsa_exception_fp_ieee_inexact 0
		.amdhsa_exception_int_div_zero 0
	.end_amdhsa_kernel
	.section	.text._ZN9rocsparseL41csrgemm_numeric_fill_block_per_row_kernelILj128ELj16ELj256ELj137ELj32ElidEEvT5_PKS1_S3_NS_24const_host_device_scalarIT6_EEPKT4_S3_PKS5_S9_S3_SB_S6_S9_S3_SB_S9_S3_PS5_21rocsparse_index_base_SD_SD_SD_bbb,"axG",@progbits,_ZN9rocsparseL41csrgemm_numeric_fill_block_per_row_kernelILj128ELj16ELj256ELj137ELj32ElidEEvT5_PKS1_S3_NS_24const_host_device_scalarIT6_EEPKT4_S3_PKS5_S9_S3_SB_S6_S9_S3_SB_S9_S3_PS5_21rocsparse_index_base_SD_SD_SD_bbb,comdat
.Lfunc_end182:
	.size	_ZN9rocsparseL41csrgemm_numeric_fill_block_per_row_kernelILj128ELj16ELj256ELj137ELj32ElidEEvT5_PKS1_S3_NS_24const_host_device_scalarIT6_EEPKT4_S3_PKS5_S9_S3_SB_S6_S9_S3_SB_S9_S3_PS5_21rocsparse_index_base_SD_SD_SD_bbb, .Lfunc_end182-_ZN9rocsparseL41csrgemm_numeric_fill_block_per_row_kernelILj128ELj16ELj256ELj137ELj32ElidEEvT5_PKS1_S3_NS_24const_host_device_scalarIT6_EEPKT4_S3_PKS5_S9_S3_SB_S6_S9_S3_SB_S9_S3_PS5_21rocsparse_index_base_SD_SD_SD_bbb
                                        ; -- End function
	.set _ZN9rocsparseL41csrgemm_numeric_fill_block_per_row_kernelILj128ELj16ELj256ELj137ELj32ElidEEvT5_PKS1_S3_NS_24const_host_device_scalarIT6_EEPKT4_S3_PKS5_S9_S3_SB_S6_S9_S3_SB_S9_S3_PS5_21rocsparse_index_base_SD_SD_SD_bbb.num_vgpr, 30
	.set _ZN9rocsparseL41csrgemm_numeric_fill_block_per_row_kernelILj128ELj16ELj256ELj137ELj32ElidEEvT5_PKS1_S3_NS_24const_host_device_scalarIT6_EEPKT4_S3_PKS5_S9_S3_SB_S6_S9_S3_SB_S9_S3_PS5_21rocsparse_index_base_SD_SD_SD_bbb.num_agpr, 0
	.set _ZN9rocsparseL41csrgemm_numeric_fill_block_per_row_kernelILj128ELj16ELj256ELj137ELj32ElidEEvT5_PKS1_S3_NS_24const_host_device_scalarIT6_EEPKT4_S3_PKS5_S9_S3_SB_S6_S9_S3_SB_S9_S3_PS5_21rocsparse_index_base_SD_SD_SD_bbb.numbered_sgpr, 53
	.set _ZN9rocsparseL41csrgemm_numeric_fill_block_per_row_kernelILj128ELj16ELj256ELj137ELj32ElidEEvT5_PKS1_S3_NS_24const_host_device_scalarIT6_EEPKT4_S3_PKS5_S9_S3_SB_S6_S9_S3_SB_S9_S3_PS5_21rocsparse_index_base_SD_SD_SD_bbb.num_named_barrier, 0
	.set _ZN9rocsparseL41csrgemm_numeric_fill_block_per_row_kernelILj128ELj16ELj256ELj137ELj32ElidEEvT5_PKS1_S3_NS_24const_host_device_scalarIT6_EEPKT4_S3_PKS5_S9_S3_SB_S6_S9_S3_SB_S9_S3_PS5_21rocsparse_index_base_SD_SD_SD_bbb.private_seg_size, 0
	.set _ZN9rocsparseL41csrgemm_numeric_fill_block_per_row_kernelILj128ELj16ELj256ELj137ELj32ElidEEvT5_PKS1_S3_NS_24const_host_device_scalarIT6_EEPKT4_S3_PKS5_S9_S3_SB_S6_S9_S3_SB_S9_S3_PS5_21rocsparse_index_base_SD_SD_SD_bbb.uses_vcc, 1
	.set _ZN9rocsparseL41csrgemm_numeric_fill_block_per_row_kernelILj128ELj16ELj256ELj137ELj32ElidEEvT5_PKS1_S3_NS_24const_host_device_scalarIT6_EEPKT4_S3_PKS5_S9_S3_SB_S6_S9_S3_SB_S9_S3_PS5_21rocsparse_index_base_SD_SD_SD_bbb.uses_flat_scratch, 0
	.set _ZN9rocsparseL41csrgemm_numeric_fill_block_per_row_kernelILj128ELj16ELj256ELj137ELj32ElidEEvT5_PKS1_S3_NS_24const_host_device_scalarIT6_EEPKT4_S3_PKS5_S9_S3_SB_S6_S9_S3_SB_S9_S3_PS5_21rocsparse_index_base_SD_SD_SD_bbb.has_dyn_sized_stack, 0
	.set _ZN9rocsparseL41csrgemm_numeric_fill_block_per_row_kernelILj128ELj16ELj256ELj137ELj32ElidEEvT5_PKS1_S3_NS_24const_host_device_scalarIT6_EEPKT4_S3_PKS5_S9_S3_SB_S6_S9_S3_SB_S9_S3_PS5_21rocsparse_index_base_SD_SD_SD_bbb.has_recursion, 0
	.set _ZN9rocsparseL41csrgemm_numeric_fill_block_per_row_kernelILj128ELj16ELj256ELj137ELj32ElidEEvT5_PKS1_S3_NS_24const_host_device_scalarIT6_EEPKT4_S3_PKS5_S9_S3_SB_S6_S9_S3_SB_S9_S3_PS5_21rocsparse_index_base_SD_SD_SD_bbb.has_indirect_call, 0
	.section	.AMDGPU.csdata,"",@progbits
; Kernel info:
; codeLenInByte = 2468
; TotalNumSgprs: 59
; NumVgprs: 30
; NumAgprs: 0
; TotalNumVgprs: 30
; ScratchSize: 0
; MemoryBound: 0
; FloatMode: 240
; IeeeMode: 1
; LDSByteSize: 0 bytes/workgroup (compile time only)
; SGPRBlocks: 7
; VGPRBlocks: 3
; NumSGPRsForWavesPerEU: 59
; NumVGPRsForWavesPerEU: 30
; AccumOffset: 32
; Occupancy: 8
; WaveLimiterHint : 1
; COMPUTE_PGM_RSRC2:SCRATCH_EN: 0
; COMPUTE_PGM_RSRC2:USER_SGPR: 2
; COMPUTE_PGM_RSRC2:TRAP_HANDLER: 0
; COMPUTE_PGM_RSRC2:TGID_X_EN: 1
; COMPUTE_PGM_RSRC2:TGID_Y_EN: 0
; COMPUTE_PGM_RSRC2:TGID_Z_EN: 0
; COMPUTE_PGM_RSRC2:TIDIG_COMP_CNT: 0
; COMPUTE_PGM_RSRC3_GFX90A:ACCUM_OFFSET: 7
; COMPUTE_PGM_RSRC3_GFX90A:TG_SPLIT: 0
	.section	.text._ZN9rocsparseL41csrgemm_numeric_fill_block_per_row_kernelILj128ELj16ELj256ELj137ELj64ElidEEvT5_PKS1_S3_NS_24const_host_device_scalarIT6_EEPKT4_S3_PKS5_S9_S3_SB_S6_S9_S3_SB_S9_S3_PS5_21rocsparse_index_base_SD_SD_SD_bbb,"axG",@progbits,_ZN9rocsparseL41csrgemm_numeric_fill_block_per_row_kernelILj128ELj16ELj256ELj137ELj64ElidEEvT5_PKS1_S3_NS_24const_host_device_scalarIT6_EEPKT4_S3_PKS5_S9_S3_SB_S6_S9_S3_SB_S9_S3_PS5_21rocsparse_index_base_SD_SD_SD_bbb,comdat
	.globl	_ZN9rocsparseL41csrgemm_numeric_fill_block_per_row_kernelILj128ELj16ELj256ELj137ELj64ElidEEvT5_PKS1_S3_NS_24const_host_device_scalarIT6_EEPKT4_S3_PKS5_S9_S3_SB_S6_S9_S3_SB_S9_S3_PS5_21rocsparse_index_base_SD_SD_SD_bbb ; -- Begin function _ZN9rocsparseL41csrgemm_numeric_fill_block_per_row_kernelILj128ELj16ELj256ELj137ELj64ElidEEvT5_PKS1_S3_NS_24const_host_device_scalarIT6_EEPKT4_S3_PKS5_S9_S3_SB_S6_S9_S3_SB_S9_S3_PS5_21rocsparse_index_base_SD_SD_SD_bbb
	.p2align	8
	.type	_ZN9rocsparseL41csrgemm_numeric_fill_block_per_row_kernelILj128ELj16ELj256ELj137ELj64ElidEEvT5_PKS1_S3_NS_24const_host_device_scalarIT6_EEPKT4_S3_PKS5_S9_S3_SB_S6_S9_S3_SB_S9_S3_PS5_21rocsparse_index_base_SD_SD_SD_bbb,@function
_ZN9rocsparseL41csrgemm_numeric_fill_block_per_row_kernelILj128ELj16ELj256ELj137ELj64ElidEEvT5_PKS1_S3_NS_24const_host_device_scalarIT6_EEPKT4_S3_PKS5_S9_S3_SB_S6_S9_S3_SB_S9_S3_PS5_21rocsparse_index_base_SD_SD_SD_bbb: ; @_ZN9rocsparseL41csrgemm_numeric_fill_block_per_row_kernelILj128ELj16ELj256ELj137ELj64ElidEEvT5_PKS1_S3_NS_24const_host_device_scalarIT6_EEPKT4_S3_PKS5_S9_S3_SB_S6_S9_S3_SB_S9_S3_PS5_21rocsparse_index_base_SD_SD_SD_bbb
; %bb.0:
	s_load_dword s3, s[0:1], 0x98
	s_load_dwordx2 s[6:7], s[0:1], 0x18
	s_load_dwordx2 s[4:5], s[0:1], 0x50
	s_waitcnt lgkmcnt(0)
	s_bitcmp1_b32 s3, 0
	s_cselect_b64 s[38:39], -1, 0
	s_bitcmp1_b32 s3, 16
	s_cselect_b64 s[8:9], -1, 0
	s_xor_b64 s[10:11], s[38:39], -1
	s_or_b64 s[10:11], s[8:9], s[10:11]
	s_and_b64 s[12:13], s[38:39], exec
	s_cselect_b32 s13, s7, 0
	s_cselect_b32 s12, s6, 0
	s_and_b64 vcc, exec, s[10:11]
	v_mov_b64_e32 v[4:5], s[12:13]
	s_cbranch_vccnz .LBB183_2
; %bb.1:
	v_mov_b64_e32 v[2:3], s[6:7]
	flat_load_dwordx2 v[4:5], v[2:3]
.LBB183_2:
	s_bitcmp1_b32 s3, 8
	s_cselect_b64 s[36:37], -1, 0
	s_load_dwordx4 s[20:23], s[0:1], 0x88
	s_xor_b64 s[6:7], s[36:37], -1
	s_or_b64 s[6:7], s[8:9], s[6:7]
	s_and_b64 s[8:9], s[36:37], exec
	s_cselect_b32 s9, s5, 0
	s_cselect_b32 s8, s4, 0
	s_and_b64 vcc, exec, s[6:7]
	v_mov_b64_e32 v[2:3], s[8:9]
	s_cbranch_vccnz .LBB183_4
; %bb.3:
	v_mov_b64_e32 v[2:3], s[4:5]
	flat_load_dwordx2 v[2:3], v[2:3]
.LBB183_4:
	s_load_dwordx2 s[34:35], s[0:1], 0x80
	s_load_dwordx8 s[4:11], s[0:1], 0x58
	s_load_dwordx4 s[24:27], s[0:1], 0x40
	s_load_dwordx8 s[12:19], s[0:1], 0x20
	s_load_dwordx4 s[28:31], s[0:1], 0x8
	s_load_dword s33, s[0:1], 0x0
	s_movk_i32 s0, 0x100
	v_cmp_gt_u32_e64 s[0:1], s0, v0
	v_lshl_add_u32 v18, v0, 3, 0
	v_lshl_add_u32 v1, v0, 2, 0
	s_and_saveexec_b64 s[40:41], s[0:1]
	s_cbranch_execz .LBB183_7
; %bb.5:
	v_mov_b32_e32 v10, 0
	v_add_u32_e32 v6, 0x400, v18
	v_or_b32_e32 v7, 0xffffff80, v0
	v_lshl_add_u32 v8, v0, 2, 0
	s_mov_b64 s[42:43], 0
	s_waitcnt lgkmcnt(0)
	v_mov_b32_e32 v9, s33
	v_mov_b32_e32 v11, v10
.LBB183_6:                              ; =>This Inner Loop Header: Depth=1
	v_add_co_u32_e32 v7, vcc, 0x80, v7
	s_xor_b64 s[44:45], vcc, -1
	s_and_b64 s[44:45], exec, s[44:45]
	ds_write_b32 v8, v9
	ds_write_b64 v6, v[10:11]
	v_add_u32_e32 v6, 0x400, v6
	s_or_b64 s[42:43], s[44:45], s[42:43]
	v_add_u32_e32 v8, 0x200, v8
	s_andn2_b64 exec, exec, s[42:43]
	s_cbranch_execnz .LBB183_6
.LBB183_7:
	s_or_b64 exec, exec, s[40:41]
	s_waitcnt lgkmcnt(0)
	s_barrier
	s_load_dword s3, s[28:29], 0x0
	v_lshrrev_b32_e32 v19, 4, v0
	s_waitcnt lgkmcnt(0)
	s_add_i32 s2, s3, s2
	s_mov_b32 s3, 0
	s_lshl_b64 s[2:3], s[2:3], 2
	s_add_u32 s2, s30, s2
	s_addc_u32 s3, s31, s3
	s_load_dword s28, s[2:3], 0x0
	s_and_b64 vcc, exec, s[38:39]
	s_cbranch_vccz .LBB183_25
; %bb.8:
	s_waitcnt lgkmcnt(0)
	s_ashr_i32 s29, s28, 31
	s_lshl_b64 s[2:3], s[28:29], 3
	s_add_u32 s2, s12, s2
	s_addc_u32 s3, s13, s3
	s_load_dwordx4 s[40:43], s[2:3], 0x0
	v_subrev_co_u32_e32 v6, vcc, s20, v19
	s_nop 1
	v_subb_co_u32_e64 v7, s[2:3], 0, 0, vcc
	s_waitcnt lgkmcnt(0)
	s_sub_u32 s2, s42, s20
	s_subb_u32 s3, s43, 0
	v_lshl_add_u64 v[6:7], s[40:41], 0, v[6:7]
	v_cmp_gt_i64_e32 vcc, s[2:3], v[6:7]
	s_and_saveexec_b64 s[12:13], vcc
	s_cbranch_execz .LBB183_24
; %bb.9:
	v_and_b32_e32 v8, 15, v0
	v_subrev_co_u32_e32 v8, vcc, s21, v8
	s_mov_b32 s29, s21
	s_nop 0
	v_subb_co_u32_e64 v9, s[30:31], 0, 0, vcc
	s_mov_b64 s[30:31], 0
	s_movk_i32 s52, 0x89
	s_branch .LBB183_11
.LBB183_10:                             ;   in Loop: Header=BB183_11 Depth=1
	s_or_b64 exec, exec, s[38:39]
	v_lshl_add_u64 v[6:7], v[6:7], 0, 8
	v_cmp_le_i64_e32 vcc, s[2:3], v[6:7]
	s_or_b64 s[30:31], vcc, s[30:31]
	s_andn2_b64 exec, exec, s[30:31]
	s_cbranch_execz .LBB183_24
.LBB183_11:                             ; =>This Loop Header: Depth=1
                                        ;     Child Loop BB183_15 Depth 2
                                        ;       Child Loop BB183_18 Depth 3
	v_lshl_add_u64 v[10:11], v[6:7], 2, s[14:15]
	global_load_dword v10, v[10:11], off
	s_waitcnt vmcnt(0)
	v_subrev_u32_e32 v10, s20, v10
	v_ashrrev_i32_e32 v11, 31, v10
	v_lshl_add_u64 v[10:11], v[10:11], 3, s[18:19]
	global_load_dwordx4 v[12:15], v[10:11], off
	s_waitcnt vmcnt(0)
	v_subrev_co_u32_e32 v10, vcc, s29, v14
	s_nop 1
	v_subbrev_co_u32_e32 v11, vcc, 0, v15, vcc
	v_lshl_add_u64 v[12:13], v[12:13], 0, v[8:9]
	v_cmp_lt_i64_e32 vcc, v[12:13], v[10:11]
	s_and_saveexec_b64 s[38:39], vcc
	s_cbranch_execz .LBB183_10
; %bb.12:                               ;   in Loop: Header=BB183_11 Depth=1
	v_lshl_add_u64 v[14:15], v[6:7], 3, s[16:17]
	global_load_dwordx2 v[14:15], v[14:15], off
	s_mov_b64 s[40:41], 0
	s_waitcnt vmcnt(0)
	v_mul_f64 v[14:15], v[4:5], v[14:15]
	s_branch .LBB183_15
.LBB183_13:                             ;   in Loop: Header=BB183_15 Depth=2
	s_or_b64 exec, exec, s[44:45]
.LBB183_14:                             ;   in Loop: Header=BB183_15 Depth=2
	s_or_b64 exec, exec, s[42:43]
	s_waitcnt vmcnt(0)
	v_mul_f64 v[16:17], v[14:15], v[16:17]
	v_lshl_add_u32 v20, v20, 3, 0
	ds_add_f64 v20, v[16:17] offset:1024
	v_lshl_add_u64 v[12:13], v[12:13], 0, 16
	v_cmp_ge_i64_e32 vcc, v[12:13], v[10:11]
	s_or_b64 s[40:41], vcc, s[40:41]
	s_andn2_b64 exec, exec, s[40:41]
	s_cbranch_execz .LBB183_10
.LBB183_15:                             ;   Parent Loop BB183_11 Depth=1
                                        ; =>  This Loop Header: Depth=2
                                        ;       Child Loop BB183_18 Depth 3
	v_lshl_add_u64 v[16:17], v[12:13], 2, s[24:25]
	global_load_dword v20, v[16:17], off
	v_lshl_add_u64 v[16:17], v[12:13], 3, s[26:27]
	global_load_dwordx2 v[16:17], v[16:17], off
	s_waitcnt vmcnt(1)
	v_subrev_u32_e32 v21, s21, v20
	v_mul_lo_u32 v20, v21, s52
	v_and_b32_e32 v20, 0xff, v20
	v_lshl_add_u32 v22, v20, 2, 0
	ds_read_b32 v23, v22
	s_waitcnt lgkmcnt(0)
	v_cmp_ne_u32_e32 vcc, v23, v21
	s_and_saveexec_b64 s[42:43], vcc
	s_cbranch_execz .LBB183_14
; %bb.16:                               ;   in Loop: Header=BB183_15 Depth=2
	s_mov_b64 s[44:45], 0
	s_branch .LBB183_18
.LBB183_17:                             ;   in Loop: Header=BB183_18 Depth=3
	s_or_b64 exec, exec, s[50:51]
	s_and_b64 s[46:47], exec, s[48:49]
	s_or_b64 s[44:45], s[46:47], s[44:45]
	s_andn2_b64 exec, exec, s[44:45]
	s_cbranch_execz .LBB183_13
.LBB183_18:                             ;   Parent Loop BB183_11 Depth=1
                                        ;     Parent Loop BB183_15 Depth=2
                                        ; =>    This Inner Loop Header: Depth=3
	v_cmp_ne_u32_e32 vcc, s33, v23
	s_mov_b64 s[46:47], 0
	s_and_saveexec_b64 s[48:49], vcc
	s_xor_b64 s[48:49], exec, s[48:49]
	s_cbranch_execz .LBB183_20
; %bb.19:                               ;   in Loop: Header=BB183_18 Depth=3
	v_add_u32_e32 v20, 1, v20
	s_mov_b64 s[46:47], exec
	v_and_b32_e32 v20, 0xff, v20
                                        ; implicit-def: $vgpr22
	s_andn2_saveexec_b64 s[48:49], s[48:49]
	s_cbranch_execz .LBB183_22
	s_branch .LBB183_21
.LBB183_20:                             ;   in Loop: Header=BB183_18 Depth=3
	s_andn2_saveexec_b64 s[48:49], s[48:49]
	s_cbranch_execz .LBB183_22
.LBB183_21:                             ;   in Loop: Header=BB183_18 Depth=3
	v_mov_b32_e32 v23, s33
	ds_cmpst_rtn_b32 v22, v22, v23, v21
	s_andn2_b64 s[46:47], s[46:47], exec
	s_waitcnt lgkmcnt(0)
	v_cmp_ne_u32_e32 vcc, s33, v22
	s_and_b64 s[50:51], vcc, exec
	s_or_b64 s[46:47], s[46:47], s[50:51]
.LBB183_22:                             ;   in Loop: Header=BB183_18 Depth=3
	s_or_b64 exec, exec, s[48:49]
	s_mov_b64 s[48:49], -1
                                        ; implicit-def: $vgpr22
                                        ; implicit-def: $vgpr23
	s_and_saveexec_b64 s[50:51], s[46:47]
	s_cbranch_execz .LBB183_17
; %bb.23:                               ;   in Loop: Header=BB183_18 Depth=3
	v_lshl_add_u32 v22, v20, 2, 0
	ds_read_b32 v23, v22
	s_waitcnt lgkmcnt(0)
	v_cmp_eq_u32_e32 vcc, v23, v21
	s_orn2_b64 s[48:49], vcc, exec
	s_branch .LBB183_17
.LBB183_24:
	s_or_b64 exec, exec, s[12:13]
.LBB183_25:
	s_andn2_b64 vcc, exec, s[36:37]
	s_cbranch_vccnz .LBB183_40
; %bb.26:
	s_waitcnt lgkmcnt(0)
	s_ashr_i32 s29, s28, 31
	s_lshl_b64 s[2:3], s[28:29], 3
	s_add_u32 s2, s4, s2
	s_addc_u32 s3, s5, s3
	s_load_dwordx4 s[12:15], s[2:3], 0x0
	s_waitcnt vmcnt(0)
	v_subrev_co_u32_e32 v4, vcc, s23, v0
	s_nop 1
	v_subb_co_u32_e64 v5, s[2:3], 0, 0, vcc
	s_waitcnt lgkmcnt(0)
	s_sub_u32 s2, s14, s23
	s_subb_u32 s3, s15, 0
	v_lshl_add_u64 v[4:5], s[12:13], 0, v[4:5]
	v_cmp_gt_i64_e32 vcc, s[2:3], v[4:5]
	s_and_saveexec_b64 s[4:5], vcc
	s_cbranch_execz .LBB183_39
; %bb.27:
	s_mov_b64 s[12:13], 0
	s_movk_i32 s29, 0x89
	s_mov_b64 s[14:15], 0x80
	s_branch .LBB183_30
.LBB183_28:                             ;   in Loop: Header=BB183_30 Depth=1
	s_or_b64 exec, exec, s[18:19]
.LBB183_29:                             ;   in Loop: Header=BB183_30 Depth=1
	s_or_b64 exec, exec, s[16:17]
	s_waitcnt vmcnt(0)
	v_mul_f64 v[6:7], v[2:3], v[6:7]
	v_lshl_add_u32 v8, v8, 3, 0
	ds_add_f64 v8, v[6:7] offset:1024
	v_lshl_add_u64 v[4:5], v[4:5], 0, s[14:15]
	v_cmp_le_i64_e32 vcc, s[2:3], v[4:5]
	s_or_b64 s[12:13], vcc, s[12:13]
	s_andn2_b64 exec, exec, s[12:13]
	s_cbranch_execz .LBB183_39
.LBB183_30:                             ; =>This Loop Header: Depth=1
                                        ;     Child Loop BB183_33 Depth 2
	v_lshl_add_u64 v[6:7], v[4:5], 2, s[6:7]
	global_load_dword v8, v[6:7], off
	v_lshl_add_u64 v[6:7], v[4:5], 3, s[8:9]
	global_load_dwordx2 v[6:7], v[6:7], off
	s_waitcnt vmcnt(1)
	v_subrev_u32_e32 v9, s23, v8
	v_mul_lo_u32 v8, v9, s29
	v_and_b32_e32 v8, 0xff, v8
	v_lshl_add_u32 v10, v8, 2, 0
	ds_read_b32 v11, v10
	s_waitcnt lgkmcnt(0)
	v_cmp_ne_u32_e32 vcc, v11, v9
	s_and_saveexec_b64 s[16:17], vcc
	s_cbranch_execz .LBB183_29
; %bb.31:                               ;   in Loop: Header=BB183_30 Depth=1
	s_mov_b64 s[18:19], 0
	s_branch .LBB183_33
.LBB183_32:                             ;   in Loop: Header=BB183_33 Depth=2
	s_or_b64 exec, exec, s[26:27]
	s_and_b64 s[20:21], exec, s[24:25]
	s_or_b64 s[18:19], s[20:21], s[18:19]
	s_andn2_b64 exec, exec, s[18:19]
	s_cbranch_execz .LBB183_28
.LBB183_33:                             ;   Parent Loop BB183_30 Depth=1
                                        ; =>  This Inner Loop Header: Depth=2
	v_cmp_ne_u32_e32 vcc, s33, v11
	s_mov_b64 s[20:21], 0
	s_and_saveexec_b64 s[24:25], vcc
	s_xor_b64 s[24:25], exec, s[24:25]
	s_cbranch_execz .LBB183_35
; %bb.34:                               ;   in Loop: Header=BB183_33 Depth=2
	v_add_u32_e32 v8, 1, v8
	s_mov_b64 s[20:21], exec
	v_and_b32_e32 v8, 0xff, v8
                                        ; implicit-def: $vgpr10
	s_andn2_saveexec_b64 s[24:25], s[24:25]
	s_cbranch_execz .LBB183_37
	s_branch .LBB183_36
.LBB183_35:                             ;   in Loop: Header=BB183_33 Depth=2
	s_andn2_saveexec_b64 s[24:25], s[24:25]
	s_cbranch_execz .LBB183_37
.LBB183_36:                             ;   in Loop: Header=BB183_33 Depth=2
	v_mov_b32_e32 v11, s33
	ds_cmpst_rtn_b32 v10, v10, v11, v9
	s_andn2_b64 s[20:21], s[20:21], exec
	s_waitcnt lgkmcnt(0)
	v_cmp_ne_u32_e32 vcc, s33, v10
	s_and_b64 s[26:27], vcc, exec
	s_or_b64 s[20:21], s[20:21], s[26:27]
.LBB183_37:                             ;   in Loop: Header=BB183_33 Depth=2
	s_or_b64 exec, exec, s[24:25]
	s_mov_b64 s[24:25], -1
                                        ; implicit-def: $vgpr10
                                        ; implicit-def: $vgpr11
	s_and_saveexec_b64 s[26:27], s[20:21]
	s_cbranch_execz .LBB183_32
; %bb.38:                               ;   in Loop: Header=BB183_33 Depth=2
	v_lshl_add_u32 v10, v8, 2, 0
	ds_read_b32 v11, v10
	s_waitcnt lgkmcnt(0)
	v_cmp_eq_u32_e32 vcc, v11, v9
	s_orn2_b64 s[24:25], vcc, exec
	s_branch .LBB183_32
.LBB183_39:
	s_or_b64 exec, exec, s[4:5]
.LBB183_40:
	s_waitcnt lgkmcnt(0)
	s_barrier
	s_and_saveexec_b64 s[4:5], s[0:1]
	s_cbranch_execz .LBB183_49
; %bb.41:
	s_waitcnt vmcnt(0)
	v_mbcnt_lo_u32_b32 v2, -1, 0
	v_mbcnt_hi_u32_b32 v2, -1, v2
	v_sub_u32_e32 v2, 63, v2
	v_and_b32_e32 v4, 4, v19
	s_movk_i32 s2, 0x7f
	v_mov_b32_e32 v6, 0
	v_lshrrev_b64 v[2:3], v2, -1
	v_add_u32_e32 v7, 0, v4
	v_cmp_lt_u32_e64 s[0:1], 63, v0
	v_cmp_eq_u32_e64 s[2:3], s2, v0
	v_add_u32_e32 v8, 0x400, v18
	v_or_b32_e32 v9, 0xffffff80, v0
	s_mov_b64 s[6:7], 0
	v_mov_b32_e32 v10, 0
	s_branch .LBB183_43
.LBB183_42:                             ;   in Loop: Header=BB183_43 Depth=1
	s_or_b64 exec, exec, s[8:9]
	s_waitcnt lgkmcnt(0)
	s_barrier
	ds_read_b32 v4, v6 offset:3076
	v_add_co_u32_e32 v9, vcc, 0x80, v9
	s_xor_b64 s[8:9], vcc, -1
	s_and_b64 s[8:9], exec, s[8:9]
	v_add_u32_e32 v8, 0x400, v8
	s_waitcnt lgkmcnt(0)
	v_add_u32_e32 v10, v4, v10
	s_or_b64 s[6:7], s[8:9], s[6:7]
	v_add_u32_e32 v1, 0x200, v1
	s_andn2_b64 exec, exec, s[6:7]
	s_cbranch_execz .LBB183_49
.LBB183_43:                             ; =>This Inner Loop Header: Depth=1
	ds_read_b32 v11, v1
	ds_read_b64 v[4:5], v8
	s_waitcnt lgkmcnt(0)
	s_barrier
	v_cmp_gt_i32_e32 vcc, s33, v11
	s_bcnt1_i32_b64 s8, vcc
	s_nop 0
	v_and_b32_e32 v13, vcc_lo, v2
	v_and_b32_e32 v12, vcc_hi, v3
	v_bcnt_u32_b32 v13, v13, 0
	v_bcnt_u32_b32 v12, v12, v13
	v_mov_b32_e32 v13, s8
	ds_write_b32 v7, v13 offset:3072
	s_waitcnt lgkmcnt(0)
	s_barrier
	s_and_saveexec_b64 s[8:9], s[0:1]
	s_cbranch_execz .LBB183_46
; %bb.44:                               ;   in Loop: Header=BB183_43 Depth=1
	ds_read_b32 v13, v6 offset:3072
	s_waitcnt lgkmcnt(0)
	v_add_u32_e32 v12, v13, v12
	s_or_b64 exec, exec, s[8:9]
	s_and_saveexec_b64 s[8:9], vcc
	s_cbranch_execnz .LBB183_47
.LBB183_45:                             ;   in Loop: Header=BB183_43 Depth=1
	s_or_b64 exec, exec, s[8:9]
	s_and_saveexec_b64 s[8:9], s[2:3]
	s_cbranch_execz .LBB183_42
	s_branch .LBB183_48
.LBB183_46:                             ;   in Loop: Header=BB183_43 Depth=1
	s_or_b64 exec, exec, s[8:9]
	s_and_saveexec_b64 s[8:9], vcc
	s_cbranch_execz .LBB183_45
.LBB183_47:                             ;   in Loop: Header=BB183_43 Depth=1
	v_add3_u32 v13, v10, -1, v12
	v_lshl_add_u32 v13, v13, 2, 0
	v_add_u32_e32 v14, v10, v12
	v_lshl_add_u32 v14, v14, 3, 0
	ds_write_b32 v13, v11
	ds_write_b64 v14, v[4:5] offset:1016
	s_or_b64 exec, exec, s[8:9]
	s_and_saveexec_b64 s[8:9], s[2:3]
	s_cbranch_execz .LBB183_42
.LBB183_48:                             ;   in Loop: Header=BB183_43 Depth=1
	ds_write_b32 v6, v12 offset:3076
	s_branch .LBB183_42
.LBB183_49:
	s_or_b64 exec, exec, s[4:5]
	s_ashr_i32 s29, s28, 31
	s_lshl_b64 s[0:1], s[28:29], 3
	s_add_u32 s4, s10, s0
	s_addc_u32 s5, s11, s1
	s_load_dwordx4 s[0:3], s[4:5], 0x0
	s_waitcnt lgkmcnt(0)
	s_sub_i32 s8, s2, s0
	v_cmp_gt_i32_e32 vcc, s8, v0
	s_and_saveexec_b64 s[4:5], vcc
	s_cbranch_execz .LBB183_59
; %bb.50:
	s_sub_u32 s4, s0, s22
	s_subb_u32 s5, s1, 0
	s_and_b32 s10, s8, 7
	s_sub_i32 s0, s0, s2
	s_cmp_lt_u32 s0, -7
	s_cselect_b64 s[0:1], -1, 0
	s_and_b32 s11, s8, -8
	s_cmp_lg_u32 s10, 0
	v_cndmask_b32_e64 v1, 0, 1, s[0:1]
	s_cselect_b64 s[2:3], -1, 0
	v_cmp_ne_u32_e64 s[0:1], 1, v1
	v_cndmask_b32_e64 v1, 0, 1, s[2:3]
	s_mov_b32 s9, 0
	s_mov_b64 s[6:7], 0
	v_cmp_ne_u32_e64 s[2:3], 1, v1
	s_waitcnt vmcnt(0)
	s_branch .LBB183_52
.LBB183_51:                             ;   in Loop: Header=BB183_52 Depth=1
	v_add_u32_e32 v0, 0x80, v0
	v_cmp_le_i32_e32 vcc, s8, v0
	v_lshl_add_u64 v[4:5], v[4:5], 3, s[34:35]
	s_or_b64 s[6:7], vcc, s[6:7]
	s_waitcnt lgkmcnt(0)
	global_store_dwordx2 v[4:5], v[2:3], off
	s_andn2_b64 exec, exec, s[6:7]
	s_cbranch_execz .LBB183_59
.LBB183_52:                             ; =>This Loop Header: Depth=1
                                        ;     Child Loop BB183_54 Depth 2
                                        ;     Child Loop BB183_58 Depth 2
	v_lshlrev_b32_e32 v1, 2, v0
	v_add_u32_e32 v2, 0, v1
	v_add_u32_e32 v3, v2, v1
	ds_read_b32 v1, v2
	ds_read_b64 v[2:3], v3 offset:1024
	s_and_b64 vcc, exec, s[0:1]
	v_mov_b64_e32 v[4:5], s[4:5]
	s_mov_b32 s12, 0
	s_cbranch_vccnz .LBB183_56
; %bb.53:                               ;   in Loop: Header=BB183_52 Depth=1
	s_mov_b32 s13, 0
	v_mov_b64_e32 v[4:5], s[4:5]
.LBB183_54:                             ;   Parent Loop BB183_52 Depth=1
                                        ; =>  This Inner Loop Header: Depth=2
	v_mov_b32_e32 v6, s13
	ds_read2_b32 v[22:23], v6 offset1:1
	ds_read2_b32 v[24:25], v6 offset0:2 offset1:3
	ds_read2_b32 v[26:27], v6 offset0:4 offset1:5
	;; [unrolled: 1-line block ×3, first 2 shown]
	v_mov_b32_e32 v7, s9
	s_waitcnt lgkmcnt(3)
	v_cmp_gt_i32_e32 vcc, v1, v22
	v_mov_b32_e32 v9, s9
	v_mov_b32_e32 v11, s9
	v_cndmask_b32_e64 v6, 0, 1, vcc
	v_cmp_gt_i32_e32 vcc, v1, v23
	v_lshl_add_u64 v[4:5], v[4:5], 0, v[6:7]
	v_mov_b32_e32 v13, s9
	v_cndmask_b32_e64 v8, 0, 1, vcc
	s_waitcnt lgkmcnt(2)
	v_cmp_gt_i32_e32 vcc, v1, v24
	v_lshl_add_u64 v[4:5], v[4:5], 0, v[8:9]
	v_mov_b32_e32 v15, s9
	v_cndmask_b32_e64 v10, 0, 1, vcc
	v_cmp_gt_i32_e32 vcc, v1, v25
	v_lshl_add_u64 v[4:5], v[4:5], 0, v[10:11]
	v_mov_b32_e32 v17, s9
	v_cndmask_b32_e64 v12, 0, 1, vcc
	s_waitcnt lgkmcnt(1)
	v_cmp_gt_i32_e32 vcc, v1, v26
	v_lshl_add_u64 v[4:5], v[4:5], 0, v[12:13]
	;; [unrolled: 9-line block ×3, first 2 shown]
	s_add_i32 s12, s12, 8
	v_cndmask_b32_e64 v18, 0, 1, vcc
	v_cmp_gt_i32_e32 vcc, v1, v29
	s_add_i32 s13, s13, 32
	v_lshl_add_u64 v[4:5], v[4:5], 0, v[18:19]
	v_cndmask_b32_e64 v20, 0, 1, vcc
	s_cmp_eq_u32 s11, s12
	v_lshl_add_u64 v[4:5], v[4:5], 0, v[20:21]
	s_cbranch_scc0 .LBB183_54
; %bb.55:                               ;   in Loop: Header=BB183_52 Depth=1
	s_mov_b32 s12, s11
.LBB183_56:                             ;   in Loop: Header=BB183_52 Depth=1
	s_and_b64 vcc, exec, s[2:3]
	s_cbranch_vccnz .LBB183_51
; %bb.57:                               ;   in Loop: Header=BB183_52 Depth=1
	s_lshl_b32 s12, s12, 2
	s_add_i32 s12, s12, 0
	s_mov_b32 s13, s10
.LBB183_58:                             ;   Parent Loop BB183_52 Depth=1
                                        ; =>  This Inner Loop Header: Depth=2
	v_mov_b32_e32 v6, s12
	ds_read_b32 v6, v6
	v_mov_b32_e32 v7, s9
	s_add_i32 s12, s12, 4
	s_add_i32 s13, s13, -1
	s_cmp_lg_u32 s13, 0
	s_waitcnt lgkmcnt(0)
	v_cmp_gt_i32_e32 vcc, v1, v6
	s_nop 1
	v_cndmask_b32_e64 v6, 0, 1, vcc
	v_lshl_add_u64 v[4:5], v[4:5], 0, v[6:7]
	s_cbranch_scc1 .LBB183_58
	s_branch .LBB183_51
.LBB183_59:
	s_endpgm
	.section	.rodata,"a",@progbits
	.p2align	6, 0x0
	.amdhsa_kernel _ZN9rocsparseL41csrgemm_numeric_fill_block_per_row_kernelILj128ELj16ELj256ELj137ELj64ElidEEvT5_PKS1_S3_NS_24const_host_device_scalarIT6_EEPKT4_S3_PKS5_S9_S3_SB_S6_S9_S3_SB_S9_S3_PS5_21rocsparse_index_base_SD_SD_SD_bbb
		.amdhsa_group_segment_fixed_size 0
		.amdhsa_private_segment_fixed_size 0
		.amdhsa_kernarg_size 156
		.amdhsa_user_sgpr_count 2
		.amdhsa_user_sgpr_dispatch_ptr 0
		.amdhsa_user_sgpr_queue_ptr 0
		.amdhsa_user_sgpr_kernarg_segment_ptr 1
		.amdhsa_user_sgpr_dispatch_id 0
		.amdhsa_user_sgpr_kernarg_preload_length 0
		.amdhsa_user_sgpr_kernarg_preload_offset 0
		.amdhsa_user_sgpr_private_segment_size 0
		.amdhsa_uses_dynamic_stack 0
		.amdhsa_enable_private_segment 0
		.amdhsa_system_sgpr_workgroup_id_x 1
		.amdhsa_system_sgpr_workgroup_id_y 0
		.amdhsa_system_sgpr_workgroup_id_z 0
		.amdhsa_system_sgpr_workgroup_info 0
		.amdhsa_system_vgpr_workitem_id 0
		.amdhsa_next_free_vgpr 30
		.amdhsa_next_free_sgpr 53
		.amdhsa_accum_offset 32
		.amdhsa_reserve_vcc 1
		.amdhsa_float_round_mode_32 0
		.amdhsa_float_round_mode_16_64 0
		.amdhsa_float_denorm_mode_32 3
		.amdhsa_float_denorm_mode_16_64 3
		.amdhsa_dx10_clamp 1
		.amdhsa_ieee_mode 1
		.amdhsa_fp16_overflow 0
		.amdhsa_tg_split 0
		.amdhsa_exception_fp_ieee_invalid_op 0
		.amdhsa_exception_fp_denorm_src 0
		.amdhsa_exception_fp_ieee_div_zero 0
		.amdhsa_exception_fp_ieee_overflow 0
		.amdhsa_exception_fp_ieee_underflow 0
		.amdhsa_exception_fp_ieee_inexact 0
		.amdhsa_exception_int_div_zero 0
	.end_amdhsa_kernel
	.section	.text._ZN9rocsparseL41csrgemm_numeric_fill_block_per_row_kernelILj128ELj16ELj256ELj137ELj64ElidEEvT5_PKS1_S3_NS_24const_host_device_scalarIT6_EEPKT4_S3_PKS5_S9_S3_SB_S6_S9_S3_SB_S9_S3_PS5_21rocsparse_index_base_SD_SD_SD_bbb,"axG",@progbits,_ZN9rocsparseL41csrgemm_numeric_fill_block_per_row_kernelILj128ELj16ELj256ELj137ELj64ElidEEvT5_PKS1_S3_NS_24const_host_device_scalarIT6_EEPKT4_S3_PKS5_S9_S3_SB_S6_S9_S3_SB_S9_S3_PS5_21rocsparse_index_base_SD_SD_SD_bbb,comdat
.Lfunc_end183:
	.size	_ZN9rocsparseL41csrgemm_numeric_fill_block_per_row_kernelILj128ELj16ELj256ELj137ELj64ElidEEvT5_PKS1_S3_NS_24const_host_device_scalarIT6_EEPKT4_S3_PKS5_S9_S3_SB_S6_S9_S3_SB_S9_S3_PS5_21rocsparse_index_base_SD_SD_SD_bbb, .Lfunc_end183-_ZN9rocsparseL41csrgemm_numeric_fill_block_per_row_kernelILj128ELj16ELj256ELj137ELj64ElidEEvT5_PKS1_S3_NS_24const_host_device_scalarIT6_EEPKT4_S3_PKS5_S9_S3_SB_S6_S9_S3_SB_S9_S3_PS5_21rocsparse_index_base_SD_SD_SD_bbb
                                        ; -- End function
	.set _ZN9rocsparseL41csrgemm_numeric_fill_block_per_row_kernelILj128ELj16ELj256ELj137ELj64ElidEEvT5_PKS1_S3_NS_24const_host_device_scalarIT6_EEPKT4_S3_PKS5_S9_S3_SB_S6_S9_S3_SB_S9_S3_PS5_21rocsparse_index_base_SD_SD_SD_bbb.num_vgpr, 30
	.set _ZN9rocsparseL41csrgemm_numeric_fill_block_per_row_kernelILj128ELj16ELj256ELj137ELj64ElidEEvT5_PKS1_S3_NS_24const_host_device_scalarIT6_EEPKT4_S3_PKS5_S9_S3_SB_S6_S9_S3_SB_S9_S3_PS5_21rocsparse_index_base_SD_SD_SD_bbb.num_agpr, 0
	.set _ZN9rocsparseL41csrgemm_numeric_fill_block_per_row_kernelILj128ELj16ELj256ELj137ELj64ElidEEvT5_PKS1_S3_NS_24const_host_device_scalarIT6_EEPKT4_S3_PKS5_S9_S3_SB_S6_S9_S3_SB_S9_S3_PS5_21rocsparse_index_base_SD_SD_SD_bbb.numbered_sgpr, 53
	.set _ZN9rocsparseL41csrgemm_numeric_fill_block_per_row_kernelILj128ELj16ELj256ELj137ELj64ElidEEvT5_PKS1_S3_NS_24const_host_device_scalarIT6_EEPKT4_S3_PKS5_S9_S3_SB_S6_S9_S3_SB_S9_S3_PS5_21rocsparse_index_base_SD_SD_SD_bbb.num_named_barrier, 0
	.set _ZN9rocsparseL41csrgemm_numeric_fill_block_per_row_kernelILj128ELj16ELj256ELj137ELj64ElidEEvT5_PKS1_S3_NS_24const_host_device_scalarIT6_EEPKT4_S3_PKS5_S9_S3_SB_S6_S9_S3_SB_S9_S3_PS5_21rocsparse_index_base_SD_SD_SD_bbb.private_seg_size, 0
	.set _ZN9rocsparseL41csrgemm_numeric_fill_block_per_row_kernelILj128ELj16ELj256ELj137ELj64ElidEEvT5_PKS1_S3_NS_24const_host_device_scalarIT6_EEPKT4_S3_PKS5_S9_S3_SB_S6_S9_S3_SB_S9_S3_PS5_21rocsparse_index_base_SD_SD_SD_bbb.uses_vcc, 1
	.set _ZN9rocsparseL41csrgemm_numeric_fill_block_per_row_kernelILj128ELj16ELj256ELj137ELj64ElidEEvT5_PKS1_S3_NS_24const_host_device_scalarIT6_EEPKT4_S3_PKS5_S9_S3_SB_S6_S9_S3_SB_S9_S3_PS5_21rocsparse_index_base_SD_SD_SD_bbb.uses_flat_scratch, 0
	.set _ZN9rocsparseL41csrgemm_numeric_fill_block_per_row_kernelILj128ELj16ELj256ELj137ELj64ElidEEvT5_PKS1_S3_NS_24const_host_device_scalarIT6_EEPKT4_S3_PKS5_S9_S3_SB_S6_S9_S3_SB_S9_S3_PS5_21rocsparse_index_base_SD_SD_SD_bbb.has_dyn_sized_stack, 0
	.set _ZN9rocsparseL41csrgemm_numeric_fill_block_per_row_kernelILj128ELj16ELj256ELj137ELj64ElidEEvT5_PKS1_S3_NS_24const_host_device_scalarIT6_EEPKT4_S3_PKS5_S9_S3_SB_S6_S9_S3_SB_S9_S3_PS5_21rocsparse_index_base_SD_SD_SD_bbb.has_recursion, 0
	.set _ZN9rocsparseL41csrgemm_numeric_fill_block_per_row_kernelILj128ELj16ELj256ELj137ELj64ElidEEvT5_PKS1_S3_NS_24const_host_device_scalarIT6_EEPKT4_S3_PKS5_S9_S3_SB_S6_S9_S3_SB_S9_S3_PS5_21rocsparse_index_base_SD_SD_SD_bbb.has_indirect_call, 0
	.section	.AMDGPU.csdata,"",@progbits
; Kernel info:
; codeLenInByte = 2368
; TotalNumSgprs: 59
; NumVgprs: 30
; NumAgprs: 0
; TotalNumVgprs: 30
; ScratchSize: 0
; MemoryBound: 0
; FloatMode: 240
; IeeeMode: 1
; LDSByteSize: 0 bytes/workgroup (compile time only)
; SGPRBlocks: 7
; VGPRBlocks: 3
; NumSGPRsForWavesPerEU: 59
; NumVGPRsForWavesPerEU: 30
; AccumOffset: 32
; Occupancy: 8
; WaveLimiterHint : 1
; COMPUTE_PGM_RSRC2:SCRATCH_EN: 0
; COMPUTE_PGM_RSRC2:USER_SGPR: 2
; COMPUTE_PGM_RSRC2:TRAP_HANDLER: 0
; COMPUTE_PGM_RSRC2:TGID_X_EN: 1
; COMPUTE_PGM_RSRC2:TGID_Y_EN: 0
; COMPUTE_PGM_RSRC2:TGID_Z_EN: 0
; COMPUTE_PGM_RSRC2:TIDIG_COMP_CNT: 0
; COMPUTE_PGM_RSRC3_GFX90A:ACCUM_OFFSET: 7
; COMPUTE_PGM_RSRC3_GFX90A:TG_SPLIT: 0
	.section	.text._ZN9rocsparseL41csrgemm_numeric_fill_block_per_row_kernelILj256ELj32ELj512ELj137ELj32ElidEEvT5_PKS1_S3_NS_24const_host_device_scalarIT6_EEPKT4_S3_PKS5_S9_S3_SB_S6_S9_S3_SB_S9_S3_PS5_21rocsparse_index_base_SD_SD_SD_bbb,"axG",@progbits,_ZN9rocsparseL41csrgemm_numeric_fill_block_per_row_kernelILj256ELj32ELj512ELj137ELj32ElidEEvT5_PKS1_S3_NS_24const_host_device_scalarIT6_EEPKT4_S3_PKS5_S9_S3_SB_S6_S9_S3_SB_S9_S3_PS5_21rocsparse_index_base_SD_SD_SD_bbb,comdat
	.globl	_ZN9rocsparseL41csrgemm_numeric_fill_block_per_row_kernelILj256ELj32ELj512ELj137ELj32ElidEEvT5_PKS1_S3_NS_24const_host_device_scalarIT6_EEPKT4_S3_PKS5_S9_S3_SB_S6_S9_S3_SB_S9_S3_PS5_21rocsparse_index_base_SD_SD_SD_bbb ; -- Begin function _ZN9rocsparseL41csrgemm_numeric_fill_block_per_row_kernelILj256ELj32ELj512ELj137ELj32ElidEEvT5_PKS1_S3_NS_24const_host_device_scalarIT6_EEPKT4_S3_PKS5_S9_S3_SB_S6_S9_S3_SB_S9_S3_PS5_21rocsparse_index_base_SD_SD_SD_bbb
	.p2align	8
	.type	_ZN9rocsparseL41csrgemm_numeric_fill_block_per_row_kernelILj256ELj32ELj512ELj137ELj32ElidEEvT5_PKS1_S3_NS_24const_host_device_scalarIT6_EEPKT4_S3_PKS5_S9_S3_SB_S6_S9_S3_SB_S9_S3_PS5_21rocsparse_index_base_SD_SD_SD_bbb,@function
_ZN9rocsparseL41csrgemm_numeric_fill_block_per_row_kernelILj256ELj32ELj512ELj137ELj32ElidEEvT5_PKS1_S3_NS_24const_host_device_scalarIT6_EEPKT4_S3_PKS5_S9_S3_SB_S6_S9_S3_SB_S9_S3_PS5_21rocsparse_index_base_SD_SD_SD_bbb: ; @_ZN9rocsparseL41csrgemm_numeric_fill_block_per_row_kernelILj256ELj32ELj512ELj137ELj32ElidEEvT5_PKS1_S3_NS_24const_host_device_scalarIT6_EEPKT4_S3_PKS5_S9_S3_SB_S6_S9_S3_SB_S9_S3_PS5_21rocsparse_index_base_SD_SD_SD_bbb
; %bb.0:
	s_load_dword s3, s[0:1], 0x98
	s_load_dwordx2 s[6:7], s[0:1], 0x18
	s_load_dwordx2 s[4:5], s[0:1], 0x50
	s_waitcnt lgkmcnt(0)
	s_bitcmp1_b32 s3, 0
	s_cselect_b64 s[38:39], -1, 0
	s_bitcmp1_b32 s3, 16
	s_cselect_b64 s[8:9], -1, 0
	s_xor_b64 s[10:11], s[38:39], -1
	s_or_b64 s[10:11], s[8:9], s[10:11]
	s_and_b64 s[12:13], s[38:39], exec
	s_cselect_b32 s13, s7, 0
	s_cselect_b32 s12, s6, 0
	s_and_b64 vcc, exec, s[10:11]
	v_mov_b64_e32 v[4:5], s[12:13]
	s_cbranch_vccnz .LBB184_2
; %bb.1:
	v_mov_b64_e32 v[2:3], s[6:7]
	flat_load_dwordx2 v[4:5], v[2:3]
.LBB184_2:
	s_bitcmp1_b32 s3, 8
	s_cselect_b64 s[36:37], -1, 0
	s_load_dwordx4 s[20:23], s[0:1], 0x88
	s_xor_b64 s[6:7], s[36:37], -1
	s_or_b64 s[6:7], s[8:9], s[6:7]
	s_and_b64 s[8:9], s[36:37], exec
	s_cselect_b32 s9, s5, 0
	s_cselect_b32 s8, s4, 0
	s_and_b64 vcc, exec, s[6:7]
	v_mov_b64_e32 v[2:3], s[8:9]
	s_cbranch_vccnz .LBB184_4
; %bb.3:
	v_mov_b64_e32 v[2:3], s[4:5]
	flat_load_dwordx2 v[2:3], v[2:3]
.LBB184_4:
	s_load_dwordx2 s[34:35], s[0:1], 0x80
	s_load_dwordx8 s[12:19], s[0:1], 0x58
	s_load_dwordx4 s[24:27], s[0:1], 0x40
	s_load_dwordx8 s[4:11], s[0:1], 0x20
	s_load_dwordx4 s[28:31], s[0:1], 0x8
	s_load_dword s33, s[0:1], 0x0
	s_movk_i32 s0, 0x200
	v_cmp_gt_u32_e64 s[0:1], s0, v0
	v_lshl_add_u32 v18, v0, 3, 0
	v_lshl_add_u32 v1, v0, 2, 0
	s_and_saveexec_b64 s[40:41], s[0:1]
	s_cbranch_execz .LBB184_7
; %bb.5:
	v_mov_b32_e32 v10, 0
	v_add_u32_e32 v6, 0x800, v18
	v_or_b32_e32 v7, 0xffffff00, v0
	v_lshl_add_u32 v8, v0, 2, 0
	s_mov_b64 s[42:43], 0
	s_waitcnt lgkmcnt(0)
	v_mov_b32_e32 v9, s33
	v_mov_b32_e32 v11, v10
.LBB184_6:                              ; =>This Inner Loop Header: Depth=1
	v_add_co_u32_e32 v7, vcc, 0x100, v7
	s_xor_b64 s[44:45], vcc, -1
	s_and_b64 s[44:45], exec, s[44:45]
	ds_write_b32 v8, v9
	ds_write_b64 v6, v[10:11]
	v_add_u32_e32 v6, 0x800, v6
	s_or_b64 s[42:43], s[44:45], s[42:43]
	v_add_u32_e32 v8, 0x400, v8
	s_andn2_b64 exec, exec, s[42:43]
	s_cbranch_execnz .LBB184_6
.LBB184_7:
	s_or_b64 exec, exec, s[40:41]
	s_waitcnt lgkmcnt(0)
	s_barrier
	s_load_dword s3, s[28:29], 0x0
	v_lshrrev_b32_e32 v19, 5, v0
	s_waitcnt lgkmcnt(0)
	s_add_i32 s2, s3, s2
	s_mov_b32 s3, 0
	s_lshl_b64 s[2:3], s[2:3], 2
	s_add_u32 s2, s30, s2
	s_addc_u32 s3, s31, s3
	s_load_dword s28, s[2:3], 0x0
	s_and_b64 vcc, exec, s[38:39]
	s_cbranch_vccz .LBB184_25
; %bb.8:
	s_waitcnt lgkmcnt(0)
	s_ashr_i32 s29, s28, 31
	s_lshl_b64 s[2:3], s[28:29], 3
	s_add_u32 s2, s4, s2
	s_addc_u32 s3, s5, s3
	s_load_dwordx4 s[40:43], s[2:3], 0x0
	v_subrev_co_u32_e32 v6, vcc, s20, v19
	s_nop 1
	v_subb_co_u32_e64 v7, s[2:3], 0, 0, vcc
	s_waitcnt lgkmcnt(0)
	s_sub_u32 s2, s42, s20
	s_subb_u32 s3, s43, 0
	v_lshl_add_u64 v[6:7], s[40:41], 0, v[6:7]
	v_cmp_gt_i64_e32 vcc, s[2:3], v[6:7]
	s_and_saveexec_b64 s[4:5], vcc
	s_cbranch_execz .LBB184_24
; %bb.9:
	v_and_b32_e32 v8, 31, v0
	v_subrev_co_u32_e32 v8, vcc, s21, v8
	s_mov_b32 s29, s21
	s_nop 0
	v_subb_co_u32_e64 v9, s[30:31], 0, 0, vcc
	s_mov_b64 s[30:31], 0
	s_movk_i32 s52, 0x89
	s_branch .LBB184_11
.LBB184_10:                             ;   in Loop: Header=BB184_11 Depth=1
	s_or_b64 exec, exec, s[38:39]
	v_lshl_add_u64 v[6:7], v[6:7], 0, 8
	v_cmp_le_i64_e32 vcc, s[2:3], v[6:7]
	s_or_b64 s[30:31], vcc, s[30:31]
	s_andn2_b64 exec, exec, s[30:31]
	s_cbranch_execz .LBB184_24
.LBB184_11:                             ; =>This Loop Header: Depth=1
                                        ;     Child Loop BB184_15 Depth 2
                                        ;       Child Loop BB184_18 Depth 3
	v_lshl_add_u64 v[10:11], v[6:7], 2, s[6:7]
	global_load_dword v10, v[10:11], off
	s_waitcnt vmcnt(0)
	v_subrev_u32_e32 v10, s20, v10
	v_ashrrev_i32_e32 v11, 31, v10
	v_lshl_add_u64 v[10:11], v[10:11], 3, s[10:11]
	global_load_dwordx4 v[12:15], v[10:11], off
	s_waitcnt vmcnt(0)
	v_subrev_co_u32_e32 v10, vcc, s29, v14
	s_nop 1
	v_subbrev_co_u32_e32 v11, vcc, 0, v15, vcc
	v_lshl_add_u64 v[12:13], v[12:13], 0, v[8:9]
	v_cmp_lt_i64_e32 vcc, v[12:13], v[10:11]
	s_and_saveexec_b64 s[38:39], vcc
	s_cbranch_execz .LBB184_10
; %bb.12:                               ;   in Loop: Header=BB184_11 Depth=1
	v_lshl_add_u64 v[14:15], v[6:7], 3, s[8:9]
	global_load_dwordx2 v[14:15], v[14:15], off
	s_mov_b64 s[40:41], 0
	s_waitcnt vmcnt(0)
	v_mul_f64 v[14:15], v[4:5], v[14:15]
	s_branch .LBB184_15
.LBB184_13:                             ;   in Loop: Header=BB184_15 Depth=2
	s_or_b64 exec, exec, s[44:45]
.LBB184_14:                             ;   in Loop: Header=BB184_15 Depth=2
	s_or_b64 exec, exec, s[42:43]
	s_waitcnt vmcnt(0)
	v_mul_f64 v[16:17], v[14:15], v[16:17]
	v_lshl_add_u32 v20, v20, 3, 0
	ds_add_f64 v20, v[16:17] offset:2048
	v_lshl_add_u64 v[12:13], v[12:13], 0, 32
	v_cmp_ge_i64_e32 vcc, v[12:13], v[10:11]
	s_or_b64 s[40:41], vcc, s[40:41]
	s_andn2_b64 exec, exec, s[40:41]
	s_cbranch_execz .LBB184_10
.LBB184_15:                             ;   Parent Loop BB184_11 Depth=1
                                        ; =>  This Loop Header: Depth=2
                                        ;       Child Loop BB184_18 Depth 3
	v_lshl_add_u64 v[16:17], v[12:13], 2, s[24:25]
	global_load_dword v20, v[16:17], off
	v_lshl_add_u64 v[16:17], v[12:13], 3, s[26:27]
	global_load_dwordx2 v[16:17], v[16:17], off
	s_waitcnt vmcnt(1)
	v_subrev_u32_e32 v21, s21, v20
	v_mul_lo_u32 v20, v21, s52
	v_and_b32_e32 v20, 0x1ff, v20
	v_lshl_add_u32 v22, v20, 2, 0
	ds_read_b32 v23, v22
	s_waitcnt lgkmcnt(0)
	v_cmp_ne_u32_e32 vcc, v23, v21
	s_and_saveexec_b64 s[42:43], vcc
	s_cbranch_execz .LBB184_14
; %bb.16:                               ;   in Loop: Header=BB184_15 Depth=2
	s_mov_b64 s[44:45], 0
	s_branch .LBB184_18
.LBB184_17:                             ;   in Loop: Header=BB184_18 Depth=3
	s_or_b64 exec, exec, s[50:51]
	s_and_b64 s[46:47], exec, s[48:49]
	s_or_b64 s[44:45], s[46:47], s[44:45]
	s_andn2_b64 exec, exec, s[44:45]
	s_cbranch_execz .LBB184_13
.LBB184_18:                             ;   Parent Loop BB184_11 Depth=1
                                        ;     Parent Loop BB184_15 Depth=2
                                        ; =>    This Inner Loop Header: Depth=3
	v_cmp_ne_u32_e32 vcc, s33, v23
	s_mov_b64 s[46:47], 0
	s_and_saveexec_b64 s[48:49], vcc
	s_xor_b64 s[48:49], exec, s[48:49]
	s_cbranch_execz .LBB184_20
; %bb.19:                               ;   in Loop: Header=BB184_18 Depth=3
	v_add_u32_e32 v20, 1, v20
	s_mov_b64 s[46:47], exec
	v_and_b32_e32 v20, 0x1ff, v20
                                        ; implicit-def: $vgpr22
	s_andn2_saveexec_b64 s[48:49], s[48:49]
	s_cbranch_execz .LBB184_22
	s_branch .LBB184_21
.LBB184_20:                             ;   in Loop: Header=BB184_18 Depth=3
	s_andn2_saveexec_b64 s[48:49], s[48:49]
	s_cbranch_execz .LBB184_22
.LBB184_21:                             ;   in Loop: Header=BB184_18 Depth=3
	v_mov_b32_e32 v23, s33
	ds_cmpst_rtn_b32 v22, v22, v23, v21
	s_andn2_b64 s[46:47], s[46:47], exec
	s_waitcnt lgkmcnt(0)
	v_cmp_ne_u32_e32 vcc, s33, v22
	s_and_b64 s[50:51], vcc, exec
	s_or_b64 s[46:47], s[46:47], s[50:51]
.LBB184_22:                             ;   in Loop: Header=BB184_18 Depth=3
	s_or_b64 exec, exec, s[48:49]
	s_mov_b64 s[48:49], -1
                                        ; implicit-def: $vgpr22
                                        ; implicit-def: $vgpr23
	s_and_saveexec_b64 s[50:51], s[46:47]
	s_cbranch_execz .LBB184_17
; %bb.23:                               ;   in Loop: Header=BB184_18 Depth=3
	v_lshl_add_u32 v22, v20, 2, 0
	ds_read_b32 v23, v22
	s_waitcnt lgkmcnt(0)
	v_cmp_eq_u32_e32 vcc, v23, v21
	s_orn2_b64 s[48:49], vcc, exec
	s_branch .LBB184_17
.LBB184_24:
	s_or_b64 exec, exec, s[4:5]
.LBB184_25:
	s_andn2_b64 vcc, exec, s[36:37]
	s_cbranch_vccnz .LBB184_40
; %bb.26:
	s_waitcnt lgkmcnt(0)
	s_ashr_i32 s29, s28, 31
	s_lshl_b64 s[2:3], s[28:29], 3
	s_add_u32 s2, s12, s2
	s_addc_u32 s3, s13, s3
	s_load_dwordx4 s[4:7], s[2:3], 0x0
	s_waitcnt vmcnt(0)
	v_subrev_co_u32_e32 v4, vcc, s23, v0
	s_nop 1
	v_subb_co_u32_e64 v5, s[2:3], 0, 0, vcc
	s_waitcnt lgkmcnt(0)
	s_sub_u32 s2, s6, s23
	s_subb_u32 s3, s7, 0
	v_lshl_add_u64 v[4:5], s[4:5], 0, v[4:5]
	v_cmp_gt_i64_e32 vcc, s[2:3], v[4:5]
	s_and_saveexec_b64 s[4:5], vcc
	s_cbranch_execz .LBB184_39
; %bb.27:
	s_mov_b64 s[6:7], 0
	s_movk_i32 s29, 0x89
	s_mov_b64 s[8:9], 0x100
	s_branch .LBB184_30
.LBB184_28:                             ;   in Loop: Header=BB184_30 Depth=1
	s_or_b64 exec, exec, s[12:13]
.LBB184_29:                             ;   in Loop: Header=BB184_30 Depth=1
	s_or_b64 exec, exec, s[10:11]
	s_waitcnt vmcnt(0)
	v_mul_f64 v[6:7], v[2:3], v[6:7]
	v_lshl_add_u32 v8, v8, 3, 0
	ds_add_f64 v8, v[6:7] offset:2048
	v_lshl_add_u64 v[4:5], v[4:5], 0, s[8:9]
	v_cmp_le_i64_e32 vcc, s[2:3], v[4:5]
	s_or_b64 s[6:7], vcc, s[6:7]
	s_andn2_b64 exec, exec, s[6:7]
	s_cbranch_execz .LBB184_39
.LBB184_30:                             ; =>This Loop Header: Depth=1
                                        ;     Child Loop BB184_33 Depth 2
	v_lshl_add_u64 v[6:7], v[4:5], 2, s[14:15]
	global_load_dword v8, v[6:7], off
	v_lshl_add_u64 v[6:7], v[4:5], 3, s[16:17]
	global_load_dwordx2 v[6:7], v[6:7], off
	s_waitcnt vmcnt(1)
	v_subrev_u32_e32 v9, s23, v8
	v_mul_lo_u32 v8, v9, s29
	v_and_b32_e32 v8, 0x1ff, v8
	v_lshl_add_u32 v10, v8, 2, 0
	ds_read_b32 v11, v10
	s_waitcnt lgkmcnt(0)
	v_cmp_ne_u32_e32 vcc, v11, v9
	s_and_saveexec_b64 s[10:11], vcc
	s_cbranch_execz .LBB184_29
; %bb.31:                               ;   in Loop: Header=BB184_30 Depth=1
	s_mov_b64 s[12:13], 0
	s_branch .LBB184_33
.LBB184_32:                             ;   in Loop: Header=BB184_33 Depth=2
	s_or_b64 exec, exec, s[26:27]
	s_and_b64 s[20:21], exec, s[24:25]
	s_or_b64 s[12:13], s[20:21], s[12:13]
	s_andn2_b64 exec, exec, s[12:13]
	s_cbranch_execz .LBB184_28
.LBB184_33:                             ;   Parent Loop BB184_30 Depth=1
                                        ; =>  This Inner Loop Header: Depth=2
	v_cmp_ne_u32_e32 vcc, s33, v11
	s_mov_b64 s[20:21], 0
	s_and_saveexec_b64 s[24:25], vcc
	s_xor_b64 s[24:25], exec, s[24:25]
	s_cbranch_execz .LBB184_35
; %bb.34:                               ;   in Loop: Header=BB184_33 Depth=2
	v_add_u32_e32 v8, 1, v8
	s_mov_b64 s[20:21], exec
	v_and_b32_e32 v8, 0x1ff, v8
                                        ; implicit-def: $vgpr10
	s_andn2_saveexec_b64 s[24:25], s[24:25]
	s_cbranch_execz .LBB184_37
	s_branch .LBB184_36
.LBB184_35:                             ;   in Loop: Header=BB184_33 Depth=2
	s_andn2_saveexec_b64 s[24:25], s[24:25]
	s_cbranch_execz .LBB184_37
.LBB184_36:                             ;   in Loop: Header=BB184_33 Depth=2
	v_mov_b32_e32 v11, s33
	ds_cmpst_rtn_b32 v10, v10, v11, v9
	s_andn2_b64 s[20:21], s[20:21], exec
	s_waitcnt lgkmcnt(0)
	v_cmp_ne_u32_e32 vcc, s33, v10
	s_and_b64 s[26:27], vcc, exec
	s_or_b64 s[20:21], s[20:21], s[26:27]
.LBB184_37:                             ;   in Loop: Header=BB184_33 Depth=2
	s_or_b64 exec, exec, s[24:25]
	s_mov_b64 s[24:25], -1
                                        ; implicit-def: $vgpr10
                                        ; implicit-def: $vgpr11
	s_and_saveexec_b64 s[26:27], s[20:21]
	s_cbranch_execz .LBB184_32
; %bb.38:                               ;   in Loop: Header=BB184_33 Depth=2
	v_lshl_add_u32 v10, v8, 2, 0
	ds_read_b32 v11, v10
	s_waitcnt lgkmcnt(0)
	v_cmp_eq_u32_e32 vcc, v11, v9
	s_orn2_b64 s[24:25], vcc, exec
	s_branch .LBB184_32
.LBB184_39:
	s_or_b64 exec, exec, s[4:5]
.LBB184_40:
	s_waitcnt lgkmcnt(0)
	s_barrier
	s_and_saveexec_b64 s[16:17], s[0:1]
	s_cbranch_execz .LBB184_61
; %bb.41:
	s_waitcnt vmcnt(0)
	v_mbcnt_lo_u32_b32 v2, -1, 0
	v_mbcnt_hi_u32_b32 v2, -1, v2
	v_sub_u32_e32 v2, 63, v2
	s_movk_i32 s0, 0xff
	s_movk_i32 s6, 0x5f
	;; [unrolled: 1-line block ×6, first 2 shown]
	v_mov_b32_e32 v6, 0
	v_lshrrev_b64 v[2:3], v2, -1
	v_lshl_add_u32 v7, v19, 2, 0
	v_cmp_eq_u32_e64 s[0:1], s0, v0
	v_cmp_lt_u32_e64 s[2:3], 31, v0
	v_cmp_lt_u32_e64 s[4:5], 63, v0
	;; [unrolled: 1-line block ×7, first 2 shown]
	v_add_u32_e32 v8, 0x800, v18
	v_or_b32_e32 v9, 0xffffff00, v0
	s_mov_b64 s[20:21], 0
	v_mov_b32_e32 v10, 0
	s_branch .LBB184_43
.LBB184_42:                             ;   in Loop: Header=BB184_43 Depth=1
	s_or_b64 exec, exec, s[24:25]
	s_waitcnt lgkmcnt(0)
	s_barrier
	ds_read_b32 v4, v6 offset:6172
	v_add_co_u32_e32 v9, vcc, 0x100, v9
	s_xor_b64 s[24:25], vcc, -1
	s_and_b64 s[24:25], exec, s[24:25]
	v_add_u32_e32 v8, 0x800, v8
	s_waitcnt lgkmcnt(0)
	v_add_u32_e32 v10, v4, v10
	s_or_b64 s[20:21], s[24:25], s[20:21]
	v_add_u32_e32 v1, 0x400, v1
	s_andn2_b64 exec, exec, s[20:21]
	s_cbranch_execz .LBB184_61
.LBB184_43:                             ; =>This Inner Loop Header: Depth=1
	ds_read_b32 v11, v1
	ds_read_b64 v[4:5], v8
	s_waitcnt lgkmcnt(0)
	s_barrier
	v_cmp_gt_i32_e32 vcc, s33, v11
	s_bcnt1_i32_b64 s23, vcc
	s_nop 0
	v_and_b32_e32 v13, vcc_lo, v2
	v_and_b32_e32 v12, vcc_hi, v3
	v_bcnt_u32_b32 v13, v13, 0
	v_bcnt_u32_b32 v12, v12, v13
	v_mov_b32_e32 v13, s23
	ds_write_b32 v7, v13 offset:6144
	s_waitcnt lgkmcnt(0)
	s_barrier
	s_and_saveexec_b64 s[24:25], s[2:3]
	s_cbranch_execz .LBB184_52
; %bb.44:                               ;   in Loop: Header=BB184_43 Depth=1
	ds_read_b32 v13, v6 offset:6144
	s_waitcnt lgkmcnt(0)
	v_add_u32_e32 v12, v13, v12
	s_or_b64 exec, exec, s[24:25]
	s_and_saveexec_b64 s[24:25], s[4:5]
	s_cbranch_execnz .LBB184_53
.LBB184_45:                             ;   in Loop: Header=BB184_43 Depth=1
	s_or_b64 exec, exec, s[24:25]
	s_and_saveexec_b64 s[24:25], s[6:7]
	s_cbranch_execz .LBB184_54
.LBB184_46:                             ;   in Loop: Header=BB184_43 Depth=1
	ds_read_b32 v13, v6 offset:6152
	s_waitcnt lgkmcnt(0)
	v_add_u32_e32 v12, v13, v12
	s_or_b64 exec, exec, s[24:25]
	s_and_saveexec_b64 s[24:25], s[8:9]
	s_cbranch_execnz .LBB184_55
.LBB184_47:                             ;   in Loop: Header=BB184_43 Depth=1
	s_or_b64 exec, exec, s[24:25]
	s_and_saveexec_b64 s[24:25], s[10:11]
	s_cbranch_execz .LBB184_56
.LBB184_48:                             ;   in Loop: Header=BB184_43 Depth=1
	ds_read_b32 v13, v6 offset:6160
	s_waitcnt lgkmcnt(0)
	v_add_u32_e32 v12, v13, v12
	s_or_b64 exec, exec, s[24:25]
	s_and_saveexec_b64 s[24:25], s[12:13]
	s_cbranch_execnz .LBB184_57
.LBB184_49:                             ;   in Loop: Header=BB184_43 Depth=1
	s_or_b64 exec, exec, s[24:25]
	s_and_saveexec_b64 s[24:25], s[14:15]
	s_cbranch_execz .LBB184_58
.LBB184_50:                             ;   in Loop: Header=BB184_43 Depth=1
	ds_read_b32 v13, v6 offset:6168
	s_waitcnt lgkmcnt(0)
	v_add_u32_e32 v12, v13, v12
	s_or_b64 exec, exec, s[24:25]
	s_and_saveexec_b64 s[24:25], vcc
	s_cbranch_execnz .LBB184_59
.LBB184_51:                             ;   in Loop: Header=BB184_43 Depth=1
	s_or_b64 exec, exec, s[24:25]
	s_and_saveexec_b64 s[24:25], s[0:1]
	s_cbranch_execz .LBB184_42
	s_branch .LBB184_60
.LBB184_52:                             ;   in Loop: Header=BB184_43 Depth=1
	s_or_b64 exec, exec, s[24:25]
	s_and_saveexec_b64 s[24:25], s[4:5]
	s_cbranch_execz .LBB184_45
.LBB184_53:                             ;   in Loop: Header=BB184_43 Depth=1
	ds_read_b32 v13, v6 offset:6148
	s_waitcnt lgkmcnt(0)
	v_add_u32_e32 v12, v13, v12
	s_or_b64 exec, exec, s[24:25]
	s_and_saveexec_b64 s[24:25], s[6:7]
	s_cbranch_execnz .LBB184_46
.LBB184_54:                             ;   in Loop: Header=BB184_43 Depth=1
	s_or_b64 exec, exec, s[24:25]
	s_and_saveexec_b64 s[24:25], s[8:9]
	s_cbranch_execz .LBB184_47
.LBB184_55:                             ;   in Loop: Header=BB184_43 Depth=1
	ds_read_b32 v13, v6 offset:6156
	s_waitcnt lgkmcnt(0)
	v_add_u32_e32 v12, v13, v12
	s_or_b64 exec, exec, s[24:25]
	s_and_saveexec_b64 s[24:25], s[10:11]
	s_cbranch_execnz .LBB184_48
.LBB184_56:                             ;   in Loop: Header=BB184_43 Depth=1
	s_or_b64 exec, exec, s[24:25]
	s_and_saveexec_b64 s[24:25], s[12:13]
	s_cbranch_execz .LBB184_49
.LBB184_57:                             ;   in Loop: Header=BB184_43 Depth=1
	ds_read_b32 v13, v6 offset:6164
	s_waitcnt lgkmcnt(0)
	v_add_u32_e32 v12, v13, v12
	s_or_b64 exec, exec, s[24:25]
	s_and_saveexec_b64 s[24:25], s[14:15]
	s_cbranch_execnz .LBB184_50
.LBB184_58:                             ;   in Loop: Header=BB184_43 Depth=1
	s_or_b64 exec, exec, s[24:25]
	s_and_saveexec_b64 s[24:25], vcc
	s_cbranch_execz .LBB184_51
.LBB184_59:                             ;   in Loop: Header=BB184_43 Depth=1
	v_add3_u32 v13, v10, -1, v12
	v_lshl_add_u32 v13, v13, 2, 0
	v_add_u32_e32 v14, v10, v12
	v_lshl_add_u32 v14, v14, 3, 0
	ds_write_b32 v13, v11
	ds_write_b64 v14, v[4:5] offset:2040
	s_or_b64 exec, exec, s[24:25]
	s_and_saveexec_b64 s[24:25], s[0:1]
	s_cbranch_execz .LBB184_42
.LBB184_60:                             ;   in Loop: Header=BB184_43 Depth=1
	ds_write_b32 v6, v12 offset:6172
	s_branch .LBB184_42
.LBB184_61:
	s_or_b64 exec, exec, s[16:17]
	s_ashr_i32 s29, s28, 31
	s_lshl_b64 s[0:1], s[28:29], 3
	s_add_u32 s4, s18, s0
	s_addc_u32 s5, s19, s1
	s_load_dwordx4 s[0:3], s[4:5], 0x0
	s_waitcnt lgkmcnt(0)
	s_sub_i32 s8, s2, s0
	v_cmp_gt_i32_e32 vcc, s8, v0
	s_and_saveexec_b64 s[4:5], vcc
	s_cbranch_execz .LBB184_71
; %bb.62:
	s_sub_u32 s4, s0, s22
	s_subb_u32 s5, s1, 0
	s_and_b32 s10, s8, 7
	s_sub_i32 s0, s0, s2
	s_cmp_lt_u32 s0, -7
	s_cselect_b64 s[0:1], -1, 0
	s_and_b32 s11, s8, -8
	s_cmp_lg_u32 s10, 0
	v_cndmask_b32_e64 v1, 0, 1, s[0:1]
	s_cselect_b64 s[2:3], -1, 0
	v_cmp_ne_u32_e64 s[0:1], 1, v1
	v_cndmask_b32_e64 v1, 0, 1, s[2:3]
	s_mov_b32 s9, 0
	s_mov_b64 s[6:7], 0
	v_cmp_ne_u32_e64 s[2:3], 1, v1
	s_waitcnt vmcnt(0)
	s_branch .LBB184_64
.LBB184_63:                             ;   in Loop: Header=BB184_64 Depth=1
	v_add_u32_e32 v0, 0x100, v0
	v_cmp_le_i32_e32 vcc, s8, v0
	v_lshl_add_u64 v[4:5], v[4:5], 3, s[34:35]
	s_or_b64 s[6:7], vcc, s[6:7]
	s_waitcnt lgkmcnt(0)
	global_store_dwordx2 v[4:5], v[2:3], off
	s_andn2_b64 exec, exec, s[6:7]
	s_cbranch_execz .LBB184_71
.LBB184_64:                             ; =>This Loop Header: Depth=1
                                        ;     Child Loop BB184_66 Depth 2
                                        ;     Child Loop BB184_70 Depth 2
	v_lshlrev_b32_e32 v1, 2, v0
	v_add_u32_e32 v2, 0, v1
	v_add_u32_e32 v3, v2, v1
	ds_read_b32 v1, v2
	ds_read_b64 v[2:3], v3 offset:2048
	s_and_b64 vcc, exec, s[0:1]
	v_mov_b64_e32 v[4:5], s[4:5]
	s_mov_b32 s12, 0
	s_cbranch_vccnz .LBB184_68
; %bb.65:                               ;   in Loop: Header=BB184_64 Depth=1
	s_mov_b32 s13, 0
	v_mov_b64_e32 v[4:5], s[4:5]
.LBB184_66:                             ;   Parent Loop BB184_64 Depth=1
                                        ; =>  This Inner Loop Header: Depth=2
	v_mov_b32_e32 v6, s13
	ds_read2_b32 v[22:23], v6 offset1:1
	ds_read2_b32 v[24:25], v6 offset0:2 offset1:3
	ds_read2_b32 v[26:27], v6 offset0:4 offset1:5
	;; [unrolled: 1-line block ×3, first 2 shown]
	v_mov_b32_e32 v7, s9
	s_waitcnt lgkmcnt(3)
	v_cmp_gt_i32_e32 vcc, v1, v22
	v_mov_b32_e32 v9, s9
	v_mov_b32_e32 v11, s9
	v_cndmask_b32_e64 v6, 0, 1, vcc
	v_cmp_gt_i32_e32 vcc, v1, v23
	v_lshl_add_u64 v[4:5], v[4:5], 0, v[6:7]
	v_mov_b32_e32 v13, s9
	v_cndmask_b32_e64 v8, 0, 1, vcc
	s_waitcnt lgkmcnt(2)
	v_cmp_gt_i32_e32 vcc, v1, v24
	v_lshl_add_u64 v[4:5], v[4:5], 0, v[8:9]
	v_mov_b32_e32 v15, s9
	v_cndmask_b32_e64 v10, 0, 1, vcc
	v_cmp_gt_i32_e32 vcc, v1, v25
	v_lshl_add_u64 v[4:5], v[4:5], 0, v[10:11]
	v_mov_b32_e32 v17, s9
	v_cndmask_b32_e64 v12, 0, 1, vcc
	s_waitcnt lgkmcnt(1)
	v_cmp_gt_i32_e32 vcc, v1, v26
	v_lshl_add_u64 v[4:5], v[4:5], 0, v[12:13]
	;; [unrolled: 9-line block ×3, first 2 shown]
	s_add_i32 s12, s12, 8
	v_cndmask_b32_e64 v18, 0, 1, vcc
	v_cmp_gt_i32_e32 vcc, v1, v29
	s_add_i32 s13, s13, 32
	v_lshl_add_u64 v[4:5], v[4:5], 0, v[18:19]
	v_cndmask_b32_e64 v20, 0, 1, vcc
	s_cmp_eq_u32 s11, s12
	v_lshl_add_u64 v[4:5], v[4:5], 0, v[20:21]
	s_cbranch_scc0 .LBB184_66
; %bb.67:                               ;   in Loop: Header=BB184_64 Depth=1
	s_mov_b32 s12, s11
.LBB184_68:                             ;   in Loop: Header=BB184_64 Depth=1
	s_and_b64 vcc, exec, s[2:3]
	s_cbranch_vccnz .LBB184_63
; %bb.69:                               ;   in Loop: Header=BB184_64 Depth=1
	s_lshl_b32 s12, s12, 2
	s_add_i32 s12, s12, 0
	s_mov_b32 s13, s10
.LBB184_70:                             ;   Parent Loop BB184_64 Depth=1
                                        ; =>  This Inner Loop Header: Depth=2
	v_mov_b32_e32 v6, s12
	ds_read_b32 v6, v6
	v_mov_b32_e32 v7, s9
	s_add_i32 s12, s12, 4
	s_add_i32 s13, s13, -1
	s_cmp_lg_u32 s13, 0
	s_waitcnt lgkmcnt(0)
	v_cmp_gt_i32_e32 vcc, v1, v6
	s_nop 1
	v_cndmask_b32_e64 v6, 0, 1, vcc
	v_lshl_add_u64 v[4:5], v[4:5], 0, v[6:7]
	s_cbranch_scc1 .LBB184_70
	s_branch .LBB184_63
.LBB184_71:
	s_endpgm
	.section	.rodata,"a",@progbits
	.p2align	6, 0x0
	.amdhsa_kernel _ZN9rocsparseL41csrgemm_numeric_fill_block_per_row_kernelILj256ELj32ELj512ELj137ELj32ElidEEvT5_PKS1_S3_NS_24const_host_device_scalarIT6_EEPKT4_S3_PKS5_S9_S3_SB_S6_S9_S3_SB_S9_S3_PS5_21rocsparse_index_base_SD_SD_SD_bbb
		.amdhsa_group_segment_fixed_size 0
		.amdhsa_private_segment_fixed_size 0
		.amdhsa_kernarg_size 156
		.amdhsa_user_sgpr_count 2
		.amdhsa_user_sgpr_dispatch_ptr 0
		.amdhsa_user_sgpr_queue_ptr 0
		.amdhsa_user_sgpr_kernarg_segment_ptr 1
		.amdhsa_user_sgpr_dispatch_id 0
		.amdhsa_user_sgpr_kernarg_preload_length 0
		.amdhsa_user_sgpr_kernarg_preload_offset 0
		.amdhsa_user_sgpr_private_segment_size 0
		.amdhsa_uses_dynamic_stack 0
		.amdhsa_enable_private_segment 0
		.amdhsa_system_sgpr_workgroup_id_x 1
		.amdhsa_system_sgpr_workgroup_id_y 0
		.amdhsa_system_sgpr_workgroup_id_z 0
		.amdhsa_system_sgpr_workgroup_info 0
		.amdhsa_system_vgpr_workitem_id 0
		.amdhsa_next_free_vgpr 30
		.amdhsa_next_free_sgpr 53
		.amdhsa_accum_offset 32
		.amdhsa_reserve_vcc 1
		.amdhsa_float_round_mode_32 0
		.amdhsa_float_round_mode_16_64 0
		.amdhsa_float_denorm_mode_32 3
		.amdhsa_float_denorm_mode_16_64 3
		.amdhsa_dx10_clamp 1
		.amdhsa_ieee_mode 1
		.amdhsa_fp16_overflow 0
		.amdhsa_tg_split 0
		.amdhsa_exception_fp_ieee_invalid_op 0
		.amdhsa_exception_fp_denorm_src 0
		.amdhsa_exception_fp_ieee_div_zero 0
		.amdhsa_exception_fp_ieee_overflow 0
		.amdhsa_exception_fp_ieee_underflow 0
		.amdhsa_exception_fp_ieee_inexact 0
		.amdhsa_exception_int_div_zero 0
	.end_amdhsa_kernel
	.section	.text._ZN9rocsparseL41csrgemm_numeric_fill_block_per_row_kernelILj256ELj32ELj512ELj137ELj32ElidEEvT5_PKS1_S3_NS_24const_host_device_scalarIT6_EEPKT4_S3_PKS5_S9_S3_SB_S6_S9_S3_SB_S9_S3_PS5_21rocsparse_index_base_SD_SD_SD_bbb,"axG",@progbits,_ZN9rocsparseL41csrgemm_numeric_fill_block_per_row_kernelILj256ELj32ELj512ELj137ELj32ElidEEvT5_PKS1_S3_NS_24const_host_device_scalarIT6_EEPKT4_S3_PKS5_S9_S3_SB_S6_S9_S3_SB_S9_S3_PS5_21rocsparse_index_base_SD_SD_SD_bbb,comdat
.Lfunc_end184:
	.size	_ZN9rocsparseL41csrgemm_numeric_fill_block_per_row_kernelILj256ELj32ELj512ELj137ELj32ElidEEvT5_PKS1_S3_NS_24const_host_device_scalarIT6_EEPKT4_S3_PKS5_S9_S3_SB_S6_S9_S3_SB_S9_S3_PS5_21rocsparse_index_base_SD_SD_SD_bbb, .Lfunc_end184-_ZN9rocsparseL41csrgemm_numeric_fill_block_per_row_kernelILj256ELj32ELj512ELj137ELj32ElidEEvT5_PKS1_S3_NS_24const_host_device_scalarIT6_EEPKT4_S3_PKS5_S9_S3_SB_S6_S9_S3_SB_S9_S3_PS5_21rocsparse_index_base_SD_SD_SD_bbb
                                        ; -- End function
	.set _ZN9rocsparseL41csrgemm_numeric_fill_block_per_row_kernelILj256ELj32ELj512ELj137ELj32ElidEEvT5_PKS1_S3_NS_24const_host_device_scalarIT6_EEPKT4_S3_PKS5_S9_S3_SB_S6_S9_S3_SB_S9_S3_PS5_21rocsparse_index_base_SD_SD_SD_bbb.num_vgpr, 30
	.set _ZN9rocsparseL41csrgemm_numeric_fill_block_per_row_kernelILj256ELj32ELj512ELj137ELj32ElidEEvT5_PKS1_S3_NS_24const_host_device_scalarIT6_EEPKT4_S3_PKS5_S9_S3_SB_S6_S9_S3_SB_S9_S3_PS5_21rocsparse_index_base_SD_SD_SD_bbb.num_agpr, 0
	.set _ZN9rocsparseL41csrgemm_numeric_fill_block_per_row_kernelILj256ELj32ELj512ELj137ELj32ElidEEvT5_PKS1_S3_NS_24const_host_device_scalarIT6_EEPKT4_S3_PKS5_S9_S3_SB_S6_S9_S3_SB_S9_S3_PS5_21rocsparse_index_base_SD_SD_SD_bbb.numbered_sgpr, 53
	.set _ZN9rocsparseL41csrgemm_numeric_fill_block_per_row_kernelILj256ELj32ELj512ELj137ELj32ElidEEvT5_PKS1_S3_NS_24const_host_device_scalarIT6_EEPKT4_S3_PKS5_S9_S3_SB_S6_S9_S3_SB_S9_S3_PS5_21rocsparse_index_base_SD_SD_SD_bbb.num_named_barrier, 0
	.set _ZN9rocsparseL41csrgemm_numeric_fill_block_per_row_kernelILj256ELj32ELj512ELj137ELj32ElidEEvT5_PKS1_S3_NS_24const_host_device_scalarIT6_EEPKT4_S3_PKS5_S9_S3_SB_S6_S9_S3_SB_S9_S3_PS5_21rocsparse_index_base_SD_SD_SD_bbb.private_seg_size, 0
	.set _ZN9rocsparseL41csrgemm_numeric_fill_block_per_row_kernelILj256ELj32ELj512ELj137ELj32ElidEEvT5_PKS1_S3_NS_24const_host_device_scalarIT6_EEPKT4_S3_PKS5_S9_S3_SB_S6_S9_S3_SB_S9_S3_PS5_21rocsparse_index_base_SD_SD_SD_bbb.uses_vcc, 1
	.set _ZN9rocsparseL41csrgemm_numeric_fill_block_per_row_kernelILj256ELj32ELj512ELj137ELj32ElidEEvT5_PKS1_S3_NS_24const_host_device_scalarIT6_EEPKT4_S3_PKS5_S9_S3_SB_S6_S9_S3_SB_S9_S3_PS5_21rocsparse_index_base_SD_SD_SD_bbb.uses_flat_scratch, 0
	.set _ZN9rocsparseL41csrgemm_numeric_fill_block_per_row_kernelILj256ELj32ELj512ELj137ELj32ElidEEvT5_PKS1_S3_NS_24const_host_device_scalarIT6_EEPKT4_S3_PKS5_S9_S3_SB_S6_S9_S3_SB_S9_S3_PS5_21rocsparse_index_base_SD_SD_SD_bbb.has_dyn_sized_stack, 0
	.set _ZN9rocsparseL41csrgemm_numeric_fill_block_per_row_kernelILj256ELj32ELj512ELj137ELj32ElidEEvT5_PKS1_S3_NS_24const_host_device_scalarIT6_EEPKT4_S3_PKS5_S9_S3_SB_S6_S9_S3_SB_S9_S3_PS5_21rocsparse_index_base_SD_SD_SD_bbb.has_recursion, 0
	.set _ZN9rocsparseL41csrgemm_numeric_fill_block_per_row_kernelILj256ELj32ELj512ELj137ELj32ElidEEvT5_PKS1_S3_NS_24const_host_device_scalarIT6_EEPKT4_S3_PKS5_S9_S3_SB_S6_S9_S3_SB_S9_S3_PS5_21rocsparse_index_base_SD_SD_SD_bbb.has_indirect_call, 0
	.section	.AMDGPU.csdata,"",@progbits
; Kernel info:
; codeLenInByte = 2676
; TotalNumSgprs: 59
; NumVgprs: 30
; NumAgprs: 0
; TotalNumVgprs: 30
; ScratchSize: 0
; MemoryBound: 0
; FloatMode: 240
; IeeeMode: 1
; LDSByteSize: 0 bytes/workgroup (compile time only)
; SGPRBlocks: 7
; VGPRBlocks: 3
; NumSGPRsForWavesPerEU: 59
; NumVGPRsForWavesPerEU: 30
; AccumOffset: 32
; Occupancy: 8
; WaveLimiterHint : 1
; COMPUTE_PGM_RSRC2:SCRATCH_EN: 0
; COMPUTE_PGM_RSRC2:USER_SGPR: 2
; COMPUTE_PGM_RSRC2:TRAP_HANDLER: 0
; COMPUTE_PGM_RSRC2:TGID_X_EN: 1
; COMPUTE_PGM_RSRC2:TGID_Y_EN: 0
; COMPUTE_PGM_RSRC2:TGID_Z_EN: 0
; COMPUTE_PGM_RSRC2:TIDIG_COMP_CNT: 0
; COMPUTE_PGM_RSRC3_GFX90A:ACCUM_OFFSET: 7
; COMPUTE_PGM_RSRC3_GFX90A:TG_SPLIT: 0
	.section	.text._ZN9rocsparseL41csrgemm_numeric_fill_block_per_row_kernelILj256ELj32ELj512ELj137ELj64ElidEEvT5_PKS1_S3_NS_24const_host_device_scalarIT6_EEPKT4_S3_PKS5_S9_S3_SB_S6_S9_S3_SB_S9_S3_PS5_21rocsparse_index_base_SD_SD_SD_bbb,"axG",@progbits,_ZN9rocsparseL41csrgemm_numeric_fill_block_per_row_kernelILj256ELj32ELj512ELj137ELj64ElidEEvT5_PKS1_S3_NS_24const_host_device_scalarIT6_EEPKT4_S3_PKS5_S9_S3_SB_S6_S9_S3_SB_S9_S3_PS5_21rocsparse_index_base_SD_SD_SD_bbb,comdat
	.globl	_ZN9rocsparseL41csrgemm_numeric_fill_block_per_row_kernelILj256ELj32ELj512ELj137ELj64ElidEEvT5_PKS1_S3_NS_24const_host_device_scalarIT6_EEPKT4_S3_PKS5_S9_S3_SB_S6_S9_S3_SB_S9_S3_PS5_21rocsparse_index_base_SD_SD_SD_bbb ; -- Begin function _ZN9rocsparseL41csrgemm_numeric_fill_block_per_row_kernelILj256ELj32ELj512ELj137ELj64ElidEEvT5_PKS1_S3_NS_24const_host_device_scalarIT6_EEPKT4_S3_PKS5_S9_S3_SB_S6_S9_S3_SB_S9_S3_PS5_21rocsparse_index_base_SD_SD_SD_bbb
	.p2align	8
	.type	_ZN9rocsparseL41csrgemm_numeric_fill_block_per_row_kernelILj256ELj32ELj512ELj137ELj64ElidEEvT5_PKS1_S3_NS_24const_host_device_scalarIT6_EEPKT4_S3_PKS5_S9_S3_SB_S6_S9_S3_SB_S9_S3_PS5_21rocsparse_index_base_SD_SD_SD_bbb,@function
_ZN9rocsparseL41csrgemm_numeric_fill_block_per_row_kernelILj256ELj32ELj512ELj137ELj64ElidEEvT5_PKS1_S3_NS_24const_host_device_scalarIT6_EEPKT4_S3_PKS5_S9_S3_SB_S6_S9_S3_SB_S9_S3_PS5_21rocsparse_index_base_SD_SD_SD_bbb: ; @_ZN9rocsparseL41csrgemm_numeric_fill_block_per_row_kernelILj256ELj32ELj512ELj137ELj64ElidEEvT5_PKS1_S3_NS_24const_host_device_scalarIT6_EEPKT4_S3_PKS5_S9_S3_SB_S6_S9_S3_SB_S9_S3_PS5_21rocsparse_index_base_SD_SD_SD_bbb
; %bb.0:
	s_load_dword s3, s[0:1], 0x98
	s_load_dwordx2 s[6:7], s[0:1], 0x18
	s_load_dwordx2 s[4:5], s[0:1], 0x50
	s_waitcnt lgkmcnt(0)
	s_bitcmp1_b32 s3, 0
	s_cselect_b64 s[38:39], -1, 0
	s_bitcmp1_b32 s3, 16
	s_cselect_b64 s[8:9], -1, 0
	s_xor_b64 s[10:11], s[38:39], -1
	s_or_b64 s[10:11], s[8:9], s[10:11]
	s_and_b64 s[12:13], s[38:39], exec
	s_cselect_b32 s13, s7, 0
	s_cselect_b32 s12, s6, 0
	s_and_b64 vcc, exec, s[10:11]
	v_mov_b64_e32 v[4:5], s[12:13]
	s_cbranch_vccnz .LBB185_2
; %bb.1:
	v_mov_b64_e32 v[2:3], s[6:7]
	flat_load_dwordx2 v[4:5], v[2:3]
.LBB185_2:
	s_bitcmp1_b32 s3, 8
	s_cselect_b64 s[36:37], -1, 0
	s_load_dwordx4 s[20:23], s[0:1], 0x88
	s_xor_b64 s[6:7], s[36:37], -1
	s_or_b64 s[6:7], s[8:9], s[6:7]
	s_and_b64 s[8:9], s[36:37], exec
	s_cselect_b32 s9, s5, 0
	s_cselect_b32 s8, s4, 0
	s_and_b64 vcc, exec, s[6:7]
	v_mov_b64_e32 v[2:3], s[8:9]
	s_cbranch_vccnz .LBB185_4
; %bb.3:
	v_mov_b64_e32 v[2:3], s[4:5]
	flat_load_dwordx2 v[2:3], v[2:3]
.LBB185_4:
	s_load_dwordx2 s[34:35], s[0:1], 0x80
	s_load_dwordx8 s[4:11], s[0:1], 0x58
	s_load_dwordx4 s[24:27], s[0:1], 0x40
	s_load_dwordx8 s[12:19], s[0:1], 0x20
	s_load_dwordx4 s[28:31], s[0:1], 0x8
	s_load_dword s33, s[0:1], 0x0
	s_movk_i32 s0, 0x200
	v_cmp_gt_u32_e64 s[0:1], s0, v0
	v_lshl_add_u32 v18, v0, 3, 0
	v_lshl_add_u32 v1, v0, 2, 0
	s_and_saveexec_b64 s[40:41], s[0:1]
	s_cbranch_execz .LBB185_7
; %bb.5:
	v_mov_b32_e32 v10, 0
	v_add_u32_e32 v6, 0x800, v18
	v_or_b32_e32 v7, 0xffffff00, v0
	v_lshl_add_u32 v8, v0, 2, 0
	s_mov_b64 s[42:43], 0
	s_waitcnt lgkmcnt(0)
	v_mov_b32_e32 v9, s33
	v_mov_b32_e32 v11, v10
.LBB185_6:                              ; =>This Inner Loop Header: Depth=1
	v_add_co_u32_e32 v7, vcc, 0x100, v7
	s_xor_b64 s[44:45], vcc, -1
	s_and_b64 s[44:45], exec, s[44:45]
	ds_write_b32 v8, v9
	ds_write_b64 v6, v[10:11]
	v_add_u32_e32 v6, 0x800, v6
	s_or_b64 s[42:43], s[44:45], s[42:43]
	v_add_u32_e32 v8, 0x400, v8
	s_andn2_b64 exec, exec, s[42:43]
	s_cbranch_execnz .LBB185_6
.LBB185_7:
	s_or_b64 exec, exec, s[40:41]
	s_waitcnt lgkmcnt(0)
	s_barrier
	s_load_dword s3, s[28:29], 0x0
	s_waitcnt lgkmcnt(0)
	s_add_i32 s2, s3, s2
	s_mov_b32 s3, 0
	s_lshl_b64 s[2:3], s[2:3], 2
	s_add_u32 s2, s30, s2
	s_addc_u32 s3, s31, s3
	s_load_dword s28, s[2:3], 0x0
	s_and_b64 vcc, exec, s[38:39]
	s_cbranch_vccz .LBB185_25
; %bb.8:
	s_waitcnt lgkmcnt(0)
	s_ashr_i32 s29, s28, 31
	s_lshl_b64 s[2:3], s[28:29], 3
	s_add_u32 s2, s12, s2
	s_addc_u32 s3, s13, s3
	s_load_dwordx4 s[40:43], s[2:3], 0x0
	v_lshrrev_b32_e32 v6, 5, v0
	v_subrev_co_u32_e32 v6, vcc, s20, v6
	s_waitcnt lgkmcnt(0)
	s_sub_u32 s2, s42, s20
	v_subb_co_u32_e64 v7, s[12:13], 0, 0, vcc
	s_subb_u32 s3, s43, 0
	v_lshl_add_u64 v[6:7], s[40:41], 0, v[6:7]
	v_cmp_gt_i64_e32 vcc, s[2:3], v[6:7]
	s_and_saveexec_b64 s[12:13], vcc
	s_cbranch_execz .LBB185_24
; %bb.9:
	v_and_b32_e32 v8, 31, v0
	v_subrev_co_u32_e32 v8, vcc, s21, v8
	s_mov_b32 s29, s21
	s_nop 0
	v_subb_co_u32_e64 v9, s[30:31], 0, 0, vcc
	s_mov_b64 s[30:31], 0
	s_movk_i32 s52, 0x89
	s_branch .LBB185_11
.LBB185_10:                             ;   in Loop: Header=BB185_11 Depth=1
	s_or_b64 exec, exec, s[38:39]
	v_lshl_add_u64 v[6:7], v[6:7], 0, 8
	v_cmp_le_i64_e32 vcc, s[2:3], v[6:7]
	s_or_b64 s[30:31], vcc, s[30:31]
	s_andn2_b64 exec, exec, s[30:31]
	s_cbranch_execz .LBB185_24
.LBB185_11:                             ; =>This Loop Header: Depth=1
                                        ;     Child Loop BB185_15 Depth 2
                                        ;       Child Loop BB185_18 Depth 3
	v_lshl_add_u64 v[10:11], v[6:7], 2, s[14:15]
	global_load_dword v10, v[10:11], off
	s_waitcnt vmcnt(0)
	v_subrev_u32_e32 v10, s20, v10
	v_ashrrev_i32_e32 v11, 31, v10
	v_lshl_add_u64 v[10:11], v[10:11], 3, s[18:19]
	global_load_dwordx4 v[12:15], v[10:11], off
	s_waitcnt vmcnt(0)
	v_subrev_co_u32_e32 v10, vcc, s29, v14
	s_nop 1
	v_subbrev_co_u32_e32 v11, vcc, 0, v15, vcc
	v_lshl_add_u64 v[12:13], v[12:13], 0, v[8:9]
	v_cmp_lt_i64_e32 vcc, v[12:13], v[10:11]
	s_and_saveexec_b64 s[38:39], vcc
	s_cbranch_execz .LBB185_10
; %bb.12:                               ;   in Loop: Header=BB185_11 Depth=1
	v_lshl_add_u64 v[14:15], v[6:7], 3, s[16:17]
	global_load_dwordx2 v[14:15], v[14:15], off
	s_mov_b64 s[40:41], 0
	s_waitcnt vmcnt(0)
	v_mul_f64 v[14:15], v[4:5], v[14:15]
	s_branch .LBB185_15
.LBB185_13:                             ;   in Loop: Header=BB185_15 Depth=2
	s_or_b64 exec, exec, s[44:45]
.LBB185_14:                             ;   in Loop: Header=BB185_15 Depth=2
	s_or_b64 exec, exec, s[42:43]
	s_waitcnt vmcnt(0)
	v_mul_f64 v[16:17], v[14:15], v[16:17]
	v_lshl_add_u32 v19, v19, 3, 0
	ds_add_f64 v19, v[16:17] offset:2048
	v_lshl_add_u64 v[12:13], v[12:13], 0, 32
	v_cmp_ge_i64_e32 vcc, v[12:13], v[10:11]
	s_or_b64 s[40:41], vcc, s[40:41]
	s_andn2_b64 exec, exec, s[40:41]
	s_cbranch_execz .LBB185_10
.LBB185_15:                             ;   Parent Loop BB185_11 Depth=1
                                        ; =>  This Loop Header: Depth=2
                                        ;       Child Loop BB185_18 Depth 3
	v_lshl_add_u64 v[16:17], v[12:13], 2, s[24:25]
	global_load_dword v19, v[16:17], off
	v_lshl_add_u64 v[16:17], v[12:13], 3, s[26:27]
	global_load_dwordx2 v[16:17], v[16:17], off
	s_waitcnt vmcnt(1)
	v_subrev_u32_e32 v20, s21, v19
	v_mul_lo_u32 v19, v20, s52
	v_and_b32_e32 v19, 0x1ff, v19
	v_lshl_add_u32 v21, v19, 2, 0
	ds_read_b32 v22, v21
	s_waitcnt lgkmcnt(0)
	v_cmp_ne_u32_e32 vcc, v22, v20
	s_and_saveexec_b64 s[42:43], vcc
	s_cbranch_execz .LBB185_14
; %bb.16:                               ;   in Loop: Header=BB185_15 Depth=2
	s_mov_b64 s[44:45], 0
	s_branch .LBB185_18
.LBB185_17:                             ;   in Loop: Header=BB185_18 Depth=3
	s_or_b64 exec, exec, s[50:51]
	s_and_b64 s[46:47], exec, s[48:49]
	s_or_b64 s[44:45], s[46:47], s[44:45]
	s_andn2_b64 exec, exec, s[44:45]
	s_cbranch_execz .LBB185_13
.LBB185_18:                             ;   Parent Loop BB185_11 Depth=1
                                        ;     Parent Loop BB185_15 Depth=2
                                        ; =>    This Inner Loop Header: Depth=3
	v_cmp_ne_u32_e32 vcc, s33, v22
	s_mov_b64 s[46:47], 0
	s_and_saveexec_b64 s[48:49], vcc
	s_xor_b64 s[48:49], exec, s[48:49]
	s_cbranch_execz .LBB185_20
; %bb.19:                               ;   in Loop: Header=BB185_18 Depth=3
	v_add_u32_e32 v19, 1, v19
	s_mov_b64 s[46:47], exec
	v_and_b32_e32 v19, 0x1ff, v19
                                        ; implicit-def: $vgpr21
	s_andn2_saveexec_b64 s[48:49], s[48:49]
	s_cbranch_execz .LBB185_22
	s_branch .LBB185_21
.LBB185_20:                             ;   in Loop: Header=BB185_18 Depth=3
	s_andn2_saveexec_b64 s[48:49], s[48:49]
	s_cbranch_execz .LBB185_22
.LBB185_21:                             ;   in Loop: Header=BB185_18 Depth=3
	v_mov_b32_e32 v22, s33
	ds_cmpst_rtn_b32 v21, v21, v22, v20
	s_andn2_b64 s[46:47], s[46:47], exec
	s_waitcnt lgkmcnt(0)
	v_cmp_ne_u32_e32 vcc, s33, v21
	s_and_b64 s[50:51], vcc, exec
	s_or_b64 s[46:47], s[46:47], s[50:51]
.LBB185_22:                             ;   in Loop: Header=BB185_18 Depth=3
	s_or_b64 exec, exec, s[48:49]
	s_mov_b64 s[48:49], -1
                                        ; implicit-def: $vgpr21
                                        ; implicit-def: $vgpr22
	s_and_saveexec_b64 s[50:51], s[46:47]
	s_cbranch_execz .LBB185_17
; %bb.23:                               ;   in Loop: Header=BB185_18 Depth=3
	v_lshl_add_u32 v21, v19, 2, 0
	ds_read_b32 v22, v21
	s_waitcnt lgkmcnt(0)
	v_cmp_eq_u32_e32 vcc, v22, v20
	s_orn2_b64 s[48:49], vcc, exec
	s_branch .LBB185_17
.LBB185_24:
	s_or_b64 exec, exec, s[12:13]
.LBB185_25:
	s_andn2_b64 vcc, exec, s[36:37]
	s_cbranch_vccnz .LBB185_40
; %bb.26:
	s_waitcnt lgkmcnt(0)
	s_ashr_i32 s29, s28, 31
	s_lshl_b64 s[2:3], s[28:29], 3
	s_add_u32 s2, s4, s2
	s_addc_u32 s3, s5, s3
	s_load_dwordx4 s[12:15], s[2:3], 0x0
	s_waitcnt vmcnt(0)
	v_subrev_co_u32_e32 v4, vcc, s23, v0
	s_nop 1
	v_subb_co_u32_e64 v5, s[2:3], 0, 0, vcc
	s_waitcnt lgkmcnt(0)
	s_sub_u32 s2, s14, s23
	s_subb_u32 s3, s15, 0
	v_lshl_add_u64 v[4:5], s[12:13], 0, v[4:5]
	v_cmp_gt_i64_e32 vcc, s[2:3], v[4:5]
	s_and_saveexec_b64 s[4:5], vcc
	s_cbranch_execz .LBB185_39
; %bb.27:
	s_mov_b64 s[12:13], 0
	s_movk_i32 s29, 0x89
	s_mov_b64 s[14:15], 0x100
	s_branch .LBB185_30
.LBB185_28:                             ;   in Loop: Header=BB185_30 Depth=1
	s_or_b64 exec, exec, s[18:19]
.LBB185_29:                             ;   in Loop: Header=BB185_30 Depth=1
	s_or_b64 exec, exec, s[16:17]
	s_waitcnt vmcnt(0)
	v_mul_f64 v[6:7], v[2:3], v[6:7]
	v_lshl_add_u32 v8, v8, 3, 0
	ds_add_f64 v8, v[6:7] offset:2048
	v_lshl_add_u64 v[4:5], v[4:5], 0, s[14:15]
	v_cmp_le_i64_e32 vcc, s[2:3], v[4:5]
	s_or_b64 s[12:13], vcc, s[12:13]
	s_andn2_b64 exec, exec, s[12:13]
	s_cbranch_execz .LBB185_39
.LBB185_30:                             ; =>This Loop Header: Depth=1
                                        ;     Child Loop BB185_33 Depth 2
	v_lshl_add_u64 v[6:7], v[4:5], 2, s[6:7]
	global_load_dword v8, v[6:7], off
	v_lshl_add_u64 v[6:7], v[4:5], 3, s[8:9]
	global_load_dwordx2 v[6:7], v[6:7], off
	s_waitcnt vmcnt(1)
	v_subrev_u32_e32 v9, s23, v8
	v_mul_lo_u32 v8, v9, s29
	v_and_b32_e32 v8, 0x1ff, v8
	v_lshl_add_u32 v10, v8, 2, 0
	ds_read_b32 v11, v10
	s_waitcnt lgkmcnt(0)
	v_cmp_ne_u32_e32 vcc, v11, v9
	s_and_saveexec_b64 s[16:17], vcc
	s_cbranch_execz .LBB185_29
; %bb.31:                               ;   in Loop: Header=BB185_30 Depth=1
	s_mov_b64 s[18:19], 0
	s_branch .LBB185_33
.LBB185_32:                             ;   in Loop: Header=BB185_33 Depth=2
	s_or_b64 exec, exec, s[26:27]
	s_and_b64 s[20:21], exec, s[24:25]
	s_or_b64 s[18:19], s[20:21], s[18:19]
	s_andn2_b64 exec, exec, s[18:19]
	s_cbranch_execz .LBB185_28
.LBB185_33:                             ;   Parent Loop BB185_30 Depth=1
                                        ; =>  This Inner Loop Header: Depth=2
	v_cmp_ne_u32_e32 vcc, s33, v11
	s_mov_b64 s[20:21], 0
	s_and_saveexec_b64 s[24:25], vcc
	s_xor_b64 s[24:25], exec, s[24:25]
	s_cbranch_execz .LBB185_35
; %bb.34:                               ;   in Loop: Header=BB185_33 Depth=2
	v_add_u32_e32 v8, 1, v8
	s_mov_b64 s[20:21], exec
	v_and_b32_e32 v8, 0x1ff, v8
                                        ; implicit-def: $vgpr10
	s_andn2_saveexec_b64 s[24:25], s[24:25]
	s_cbranch_execz .LBB185_37
	s_branch .LBB185_36
.LBB185_35:                             ;   in Loop: Header=BB185_33 Depth=2
	s_andn2_saveexec_b64 s[24:25], s[24:25]
	s_cbranch_execz .LBB185_37
.LBB185_36:                             ;   in Loop: Header=BB185_33 Depth=2
	v_mov_b32_e32 v11, s33
	ds_cmpst_rtn_b32 v10, v10, v11, v9
	s_andn2_b64 s[20:21], s[20:21], exec
	s_waitcnt lgkmcnt(0)
	v_cmp_ne_u32_e32 vcc, s33, v10
	s_and_b64 s[26:27], vcc, exec
	s_or_b64 s[20:21], s[20:21], s[26:27]
.LBB185_37:                             ;   in Loop: Header=BB185_33 Depth=2
	s_or_b64 exec, exec, s[24:25]
	s_mov_b64 s[24:25], -1
                                        ; implicit-def: $vgpr10
                                        ; implicit-def: $vgpr11
	s_and_saveexec_b64 s[26:27], s[20:21]
	s_cbranch_execz .LBB185_32
; %bb.38:                               ;   in Loop: Header=BB185_33 Depth=2
	v_lshl_add_u32 v10, v8, 2, 0
	ds_read_b32 v11, v10
	s_waitcnt lgkmcnt(0)
	v_cmp_eq_u32_e32 vcc, v11, v9
	s_orn2_b64 s[24:25], vcc, exec
	s_branch .LBB185_32
.LBB185_39:
	s_or_b64 exec, exec, s[4:5]
.LBB185_40:
	s_waitcnt lgkmcnt(0)
	s_barrier
	s_and_saveexec_b64 s[8:9], s[0:1]
	s_cbranch_execz .LBB185_53
; %bb.41:
	s_waitcnt vmcnt(0)
	v_mbcnt_lo_u32_b32 v2, -1, 0
	v_mbcnt_hi_u32_b32 v2, -1, v2
	v_lshrrev_b32_e32 v4, 4, v0
	v_sub_u32_e32 v2, 63, v2
	v_and_b32_e32 v4, 12, v4
	s_movk_i32 s0, 0xff
	s_movk_i32 s4, 0x7f
	;; [unrolled: 1-line block ×3, first 2 shown]
	v_mov_b32_e32 v6, 0
	v_lshrrev_b64 v[2:3], v2, -1
	v_add_u32_e32 v7, 0, v4
	v_cmp_eq_u32_e64 s[0:1], s0, v0
	v_cmp_lt_u32_e64 s[2:3], 63, v0
	v_cmp_lt_u32_e64 s[4:5], s4, v0
	;; [unrolled: 1-line block ×3, first 2 shown]
	v_add_u32_e32 v8, 0x800, v18
	v_or_b32_e32 v9, 0xffffff00, v0
	s_mov_b64 s[12:13], 0
	v_mov_b32_e32 v10, 0
	s_branch .LBB185_43
.LBB185_42:                             ;   in Loop: Header=BB185_43 Depth=1
	s_or_b64 exec, exec, s[14:15]
	s_waitcnt lgkmcnt(0)
	s_barrier
	ds_read_b32 v4, v6 offset:6156
	v_add_co_u32_e32 v9, vcc, 0x100, v9
	s_xor_b64 s[14:15], vcc, -1
	s_and_b64 s[14:15], exec, s[14:15]
	v_add_u32_e32 v8, 0x800, v8
	s_waitcnt lgkmcnt(0)
	v_add_u32_e32 v10, v4, v10
	s_or_b64 s[12:13], s[14:15], s[12:13]
	v_add_u32_e32 v1, 0x400, v1
	s_andn2_b64 exec, exec, s[12:13]
	s_cbranch_execz .LBB185_53
.LBB185_43:                             ; =>This Inner Loop Header: Depth=1
	ds_read_b32 v11, v1
	ds_read_b64 v[4:5], v8
	s_waitcnt lgkmcnt(0)
	s_barrier
	v_cmp_gt_i32_e32 vcc, s33, v11
	s_bcnt1_i32_b64 s14, vcc
	s_nop 0
	v_and_b32_e32 v13, vcc_lo, v2
	v_and_b32_e32 v12, vcc_hi, v3
	v_bcnt_u32_b32 v13, v13, 0
	v_bcnt_u32_b32 v12, v12, v13
	v_mov_b32_e32 v13, s14
	ds_write_b32 v7, v13 offset:6144
	s_waitcnt lgkmcnt(0)
	s_barrier
	s_and_saveexec_b64 s[14:15], s[2:3]
	s_cbranch_execz .LBB185_48
; %bb.44:                               ;   in Loop: Header=BB185_43 Depth=1
	ds_read_b32 v13, v6 offset:6144
	s_waitcnt lgkmcnt(0)
	v_add_u32_e32 v12, v13, v12
	s_or_b64 exec, exec, s[14:15]
	s_and_saveexec_b64 s[14:15], s[4:5]
	s_cbranch_execnz .LBB185_49
.LBB185_45:                             ;   in Loop: Header=BB185_43 Depth=1
	s_or_b64 exec, exec, s[14:15]
	s_and_saveexec_b64 s[14:15], s[6:7]
	s_cbranch_execz .LBB185_50
.LBB185_46:                             ;   in Loop: Header=BB185_43 Depth=1
	ds_read_b32 v13, v6 offset:6152
	s_waitcnt lgkmcnt(0)
	v_add_u32_e32 v12, v13, v12
	s_or_b64 exec, exec, s[14:15]
	s_and_saveexec_b64 s[14:15], vcc
	s_cbranch_execnz .LBB185_51
.LBB185_47:                             ;   in Loop: Header=BB185_43 Depth=1
	s_or_b64 exec, exec, s[14:15]
	s_and_saveexec_b64 s[14:15], s[0:1]
	s_cbranch_execz .LBB185_42
	s_branch .LBB185_52
.LBB185_48:                             ;   in Loop: Header=BB185_43 Depth=1
	s_or_b64 exec, exec, s[14:15]
	s_and_saveexec_b64 s[14:15], s[4:5]
	s_cbranch_execz .LBB185_45
.LBB185_49:                             ;   in Loop: Header=BB185_43 Depth=1
	ds_read_b32 v13, v6 offset:6148
	s_waitcnt lgkmcnt(0)
	v_add_u32_e32 v12, v13, v12
	s_or_b64 exec, exec, s[14:15]
	s_and_saveexec_b64 s[14:15], s[6:7]
	s_cbranch_execnz .LBB185_46
.LBB185_50:                             ;   in Loop: Header=BB185_43 Depth=1
	s_or_b64 exec, exec, s[14:15]
	s_and_saveexec_b64 s[14:15], vcc
	s_cbranch_execz .LBB185_47
.LBB185_51:                             ;   in Loop: Header=BB185_43 Depth=1
	v_add3_u32 v13, v10, -1, v12
	v_lshl_add_u32 v13, v13, 2, 0
	v_add_u32_e32 v14, v10, v12
	v_lshl_add_u32 v14, v14, 3, 0
	ds_write_b32 v13, v11
	ds_write_b64 v14, v[4:5] offset:2040
	s_or_b64 exec, exec, s[14:15]
	s_and_saveexec_b64 s[14:15], s[0:1]
	s_cbranch_execz .LBB185_42
.LBB185_52:                             ;   in Loop: Header=BB185_43 Depth=1
	ds_write_b32 v6, v12 offset:6156
	s_branch .LBB185_42
.LBB185_53:
	s_or_b64 exec, exec, s[8:9]
	s_ashr_i32 s29, s28, 31
	s_lshl_b64 s[0:1], s[28:29], 3
	s_add_u32 s4, s10, s0
	s_addc_u32 s5, s11, s1
	s_load_dwordx4 s[0:3], s[4:5], 0x0
	s_waitcnt lgkmcnt(0)
	s_sub_i32 s8, s2, s0
	v_cmp_gt_i32_e32 vcc, s8, v0
	s_and_saveexec_b64 s[4:5], vcc
	s_cbranch_execz .LBB185_63
; %bb.54:
	s_sub_u32 s4, s0, s22
	s_subb_u32 s5, s1, 0
	s_and_b32 s10, s8, 7
	s_sub_i32 s0, s0, s2
	s_cmp_lt_u32 s0, -7
	s_cselect_b64 s[0:1], -1, 0
	s_and_b32 s11, s8, -8
	s_cmp_lg_u32 s10, 0
	v_cndmask_b32_e64 v1, 0, 1, s[0:1]
	s_cselect_b64 s[2:3], -1, 0
	v_cmp_ne_u32_e64 s[0:1], 1, v1
	v_cndmask_b32_e64 v1, 0, 1, s[2:3]
	s_mov_b32 s9, 0
	s_mov_b64 s[6:7], 0
	v_cmp_ne_u32_e64 s[2:3], 1, v1
	s_waitcnt vmcnt(0)
	s_branch .LBB185_56
.LBB185_55:                             ;   in Loop: Header=BB185_56 Depth=1
	v_add_u32_e32 v0, 0x100, v0
	v_cmp_le_i32_e32 vcc, s8, v0
	v_lshl_add_u64 v[4:5], v[4:5], 3, s[34:35]
	s_or_b64 s[6:7], vcc, s[6:7]
	s_waitcnt lgkmcnt(0)
	global_store_dwordx2 v[4:5], v[2:3], off
	s_andn2_b64 exec, exec, s[6:7]
	s_cbranch_execz .LBB185_63
.LBB185_56:                             ; =>This Loop Header: Depth=1
                                        ;     Child Loop BB185_58 Depth 2
                                        ;     Child Loop BB185_62 Depth 2
	v_lshlrev_b32_e32 v1, 2, v0
	v_add_u32_e32 v2, 0, v1
	v_add_u32_e32 v3, v2, v1
	ds_read_b32 v1, v2
	ds_read_b64 v[2:3], v3 offset:2048
	s_and_b64 vcc, exec, s[0:1]
	v_mov_b64_e32 v[4:5], s[4:5]
	s_mov_b32 s12, 0
	s_cbranch_vccnz .LBB185_60
; %bb.57:                               ;   in Loop: Header=BB185_56 Depth=1
	s_mov_b32 s13, 0
	v_mov_b64_e32 v[4:5], s[4:5]
.LBB185_58:                             ;   Parent Loop BB185_56 Depth=1
                                        ; =>  This Inner Loop Header: Depth=2
	v_mov_b32_e32 v6, s13
	ds_read2_b32 v[22:23], v6 offset1:1
	ds_read2_b32 v[24:25], v6 offset0:2 offset1:3
	ds_read2_b32 v[26:27], v6 offset0:4 offset1:5
	ds_read2_b32 v[28:29], v6 offset0:6 offset1:7
	v_mov_b32_e32 v7, s9
	s_waitcnt lgkmcnt(3)
	v_cmp_gt_i32_e32 vcc, v1, v22
	v_mov_b32_e32 v9, s9
	v_mov_b32_e32 v11, s9
	v_cndmask_b32_e64 v6, 0, 1, vcc
	v_cmp_gt_i32_e32 vcc, v1, v23
	v_lshl_add_u64 v[4:5], v[4:5], 0, v[6:7]
	v_mov_b32_e32 v13, s9
	v_cndmask_b32_e64 v8, 0, 1, vcc
	s_waitcnt lgkmcnt(2)
	v_cmp_gt_i32_e32 vcc, v1, v24
	v_lshl_add_u64 v[4:5], v[4:5], 0, v[8:9]
	v_mov_b32_e32 v15, s9
	v_cndmask_b32_e64 v10, 0, 1, vcc
	v_cmp_gt_i32_e32 vcc, v1, v25
	v_lshl_add_u64 v[4:5], v[4:5], 0, v[10:11]
	v_mov_b32_e32 v17, s9
	v_cndmask_b32_e64 v12, 0, 1, vcc
	s_waitcnt lgkmcnt(1)
	v_cmp_gt_i32_e32 vcc, v1, v26
	v_lshl_add_u64 v[4:5], v[4:5], 0, v[12:13]
	;; [unrolled: 9-line block ×3, first 2 shown]
	s_add_i32 s12, s12, 8
	v_cndmask_b32_e64 v18, 0, 1, vcc
	v_cmp_gt_i32_e32 vcc, v1, v29
	s_add_i32 s13, s13, 32
	v_lshl_add_u64 v[4:5], v[4:5], 0, v[18:19]
	v_cndmask_b32_e64 v20, 0, 1, vcc
	s_cmp_eq_u32 s11, s12
	v_lshl_add_u64 v[4:5], v[4:5], 0, v[20:21]
	s_cbranch_scc0 .LBB185_58
; %bb.59:                               ;   in Loop: Header=BB185_56 Depth=1
	s_mov_b32 s12, s11
.LBB185_60:                             ;   in Loop: Header=BB185_56 Depth=1
	s_and_b64 vcc, exec, s[2:3]
	s_cbranch_vccnz .LBB185_55
; %bb.61:                               ;   in Loop: Header=BB185_56 Depth=1
	s_lshl_b32 s12, s12, 2
	s_add_i32 s12, s12, 0
	s_mov_b32 s13, s10
.LBB185_62:                             ;   Parent Loop BB185_56 Depth=1
                                        ; =>  This Inner Loop Header: Depth=2
	v_mov_b32_e32 v6, s12
	ds_read_b32 v6, v6
	v_mov_b32_e32 v7, s9
	s_add_i32 s12, s12, 4
	s_add_i32 s13, s13, -1
	s_cmp_lg_u32 s13, 0
	s_waitcnt lgkmcnt(0)
	v_cmp_gt_i32_e32 vcc, v1, v6
	s_nop 1
	v_cndmask_b32_e64 v6, 0, 1, vcc
	v_lshl_add_u64 v[4:5], v[4:5], 0, v[6:7]
	s_cbranch_scc1 .LBB185_62
	s_branch .LBB185_55
.LBB185_63:
	s_endpgm
	.section	.rodata,"a",@progbits
	.p2align	6, 0x0
	.amdhsa_kernel _ZN9rocsparseL41csrgemm_numeric_fill_block_per_row_kernelILj256ELj32ELj512ELj137ELj64ElidEEvT5_PKS1_S3_NS_24const_host_device_scalarIT6_EEPKT4_S3_PKS5_S9_S3_SB_S6_S9_S3_SB_S9_S3_PS5_21rocsparse_index_base_SD_SD_SD_bbb
		.amdhsa_group_segment_fixed_size 0
		.amdhsa_private_segment_fixed_size 0
		.amdhsa_kernarg_size 156
		.amdhsa_user_sgpr_count 2
		.amdhsa_user_sgpr_dispatch_ptr 0
		.amdhsa_user_sgpr_queue_ptr 0
		.amdhsa_user_sgpr_kernarg_segment_ptr 1
		.amdhsa_user_sgpr_dispatch_id 0
		.amdhsa_user_sgpr_kernarg_preload_length 0
		.amdhsa_user_sgpr_kernarg_preload_offset 0
		.amdhsa_user_sgpr_private_segment_size 0
		.amdhsa_uses_dynamic_stack 0
		.amdhsa_enable_private_segment 0
		.amdhsa_system_sgpr_workgroup_id_x 1
		.amdhsa_system_sgpr_workgroup_id_y 0
		.amdhsa_system_sgpr_workgroup_id_z 0
		.amdhsa_system_sgpr_workgroup_info 0
		.amdhsa_system_vgpr_workitem_id 0
		.amdhsa_next_free_vgpr 30
		.amdhsa_next_free_sgpr 53
		.amdhsa_accum_offset 32
		.amdhsa_reserve_vcc 1
		.amdhsa_float_round_mode_32 0
		.amdhsa_float_round_mode_16_64 0
		.amdhsa_float_denorm_mode_32 3
		.amdhsa_float_denorm_mode_16_64 3
		.amdhsa_dx10_clamp 1
		.amdhsa_ieee_mode 1
		.amdhsa_fp16_overflow 0
		.amdhsa_tg_split 0
		.amdhsa_exception_fp_ieee_invalid_op 0
		.amdhsa_exception_fp_denorm_src 0
		.amdhsa_exception_fp_ieee_div_zero 0
		.amdhsa_exception_fp_ieee_overflow 0
		.amdhsa_exception_fp_ieee_underflow 0
		.amdhsa_exception_fp_ieee_inexact 0
		.amdhsa_exception_int_div_zero 0
	.end_amdhsa_kernel
	.section	.text._ZN9rocsparseL41csrgemm_numeric_fill_block_per_row_kernelILj256ELj32ELj512ELj137ELj64ElidEEvT5_PKS1_S3_NS_24const_host_device_scalarIT6_EEPKT4_S3_PKS5_S9_S3_SB_S6_S9_S3_SB_S9_S3_PS5_21rocsparse_index_base_SD_SD_SD_bbb,"axG",@progbits,_ZN9rocsparseL41csrgemm_numeric_fill_block_per_row_kernelILj256ELj32ELj512ELj137ELj64ElidEEvT5_PKS1_S3_NS_24const_host_device_scalarIT6_EEPKT4_S3_PKS5_S9_S3_SB_S6_S9_S3_SB_S9_S3_PS5_21rocsparse_index_base_SD_SD_SD_bbb,comdat
.Lfunc_end185:
	.size	_ZN9rocsparseL41csrgemm_numeric_fill_block_per_row_kernelILj256ELj32ELj512ELj137ELj64ElidEEvT5_PKS1_S3_NS_24const_host_device_scalarIT6_EEPKT4_S3_PKS5_S9_S3_SB_S6_S9_S3_SB_S9_S3_PS5_21rocsparse_index_base_SD_SD_SD_bbb, .Lfunc_end185-_ZN9rocsparseL41csrgemm_numeric_fill_block_per_row_kernelILj256ELj32ELj512ELj137ELj64ElidEEvT5_PKS1_S3_NS_24const_host_device_scalarIT6_EEPKT4_S3_PKS5_S9_S3_SB_S6_S9_S3_SB_S9_S3_PS5_21rocsparse_index_base_SD_SD_SD_bbb
                                        ; -- End function
	.set _ZN9rocsparseL41csrgemm_numeric_fill_block_per_row_kernelILj256ELj32ELj512ELj137ELj64ElidEEvT5_PKS1_S3_NS_24const_host_device_scalarIT6_EEPKT4_S3_PKS5_S9_S3_SB_S6_S9_S3_SB_S9_S3_PS5_21rocsparse_index_base_SD_SD_SD_bbb.num_vgpr, 30
	.set _ZN9rocsparseL41csrgemm_numeric_fill_block_per_row_kernelILj256ELj32ELj512ELj137ELj64ElidEEvT5_PKS1_S3_NS_24const_host_device_scalarIT6_EEPKT4_S3_PKS5_S9_S3_SB_S6_S9_S3_SB_S9_S3_PS5_21rocsparse_index_base_SD_SD_SD_bbb.num_agpr, 0
	.set _ZN9rocsparseL41csrgemm_numeric_fill_block_per_row_kernelILj256ELj32ELj512ELj137ELj64ElidEEvT5_PKS1_S3_NS_24const_host_device_scalarIT6_EEPKT4_S3_PKS5_S9_S3_SB_S6_S9_S3_SB_S9_S3_PS5_21rocsparse_index_base_SD_SD_SD_bbb.numbered_sgpr, 53
	.set _ZN9rocsparseL41csrgemm_numeric_fill_block_per_row_kernelILj256ELj32ELj512ELj137ELj64ElidEEvT5_PKS1_S3_NS_24const_host_device_scalarIT6_EEPKT4_S3_PKS5_S9_S3_SB_S6_S9_S3_SB_S9_S3_PS5_21rocsparse_index_base_SD_SD_SD_bbb.num_named_barrier, 0
	.set _ZN9rocsparseL41csrgemm_numeric_fill_block_per_row_kernelILj256ELj32ELj512ELj137ELj64ElidEEvT5_PKS1_S3_NS_24const_host_device_scalarIT6_EEPKT4_S3_PKS5_S9_S3_SB_S6_S9_S3_SB_S9_S3_PS5_21rocsparse_index_base_SD_SD_SD_bbb.private_seg_size, 0
	.set _ZN9rocsparseL41csrgemm_numeric_fill_block_per_row_kernelILj256ELj32ELj512ELj137ELj64ElidEEvT5_PKS1_S3_NS_24const_host_device_scalarIT6_EEPKT4_S3_PKS5_S9_S3_SB_S6_S9_S3_SB_S9_S3_PS5_21rocsparse_index_base_SD_SD_SD_bbb.uses_vcc, 1
	.set _ZN9rocsparseL41csrgemm_numeric_fill_block_per_row_kernelILj256ELj32ELj512ELj137ELj64ElidEEvT5_PKS1_S3_NS_24const_host_device_scalarIT6_EEPKT4_S3_PKS5_S9_S3_SB_S6_S9_S3_SB_S9_S3_PS5_21rocsparse_index_base_SD_SD_SD_bbb.uses_flat_scratch, 0
	.set _ZN9rocsparseL41csrgemm_numeric_fill_block_per_row_kernelILj256ELj32ELj512ELj137ELj64ElidEEvT5_PKS1_S3_NS_24const_host_device_scalarIT6_EEPKT4_S3_PKS5_S9_S3_SB_S6_S9_S3_SB_S9_S3_PS5_21rocsparse_index_base_SD_SD_SD_bbb.has_dyn_sized_stack, 0
	.set _ZN9rocsparseL41csrgemm_numeric_fill_block_per_row_kernelILj256ELj32ELj512ELj137ELj64ElidEEvT5_PKS1_S3_NS_24const_host_device_scalarIT6_EEPKT4_S3_PKS5_S9_S3_SB_S6_S9_S3_SB_S9_S3_PS5_21rocsparse_index_base_SD_SD_SD_bbb.has_recursion, 0
	.set _ZN9rocsparseL41csrgemm_numeric_fill_block_per_row_kernelILj256ELj32ELj512ELj137ELj64ElidEEvT5_PKS1_S3_NS_24const_host_device_scalarIT6_EEPKT4_S3_PKS5_S9_S3_SB_S6_S9_S3_SB_S9_S3_PS5_21rocsparse_index_base_SD_SD_SD_bbb.has_indirect_call, 0
	.section	.AMDGPU.csdata,"",@progbits
; Kernel info:
; codeLenInByte = 2472
; TotalNumSgprs: 59
; NumVgprs: 30
; NumAgprs: 0
; TotalNumVgprs: 30
; ScratchSize: 0
; MemoryBound: 0
; FloatMode: 240
; IeeeMode: 1
; LDSByteSize: 0 bytes/workgroup (compile time only)
; SGPRBlocks: 7
; VGPRBlocks: 3
; NumSGPRsForWavesPerEU: 59
; NumVGPRsForWavesPerEU: 30
; AccumOffset: 32
; Occupancy: 8
; WaveLimiterHint : 1
; COMPUTE_PGM_RSRC2:SCRATCH_EN: 0
; COMPUTE_PGM_RSRC2:USER_SGPR: 2
; COMPUTE_PGM_RSRC2:TRAP_HANDLER: 0
; COMPUTE_PGM_RSRC2:TGID_X_EN: 1
; COMPUTE_PGM_RSRC2:TGID_Y_EN: 0
; COMPUTE_PGM_RSRC2:TGID_Z_EN: 0
; COMPUTE_PGM_RSRC2:TIDIG_COMP_CNT: 0
; COMPUTE_PGM_RSRC3_GFX90A:ACCUM_OFFSET: 7
; COMPUTE_PGM_RSRC3_GFX90A:TG_SPLIT: 0
	.section	.text._ZN9rocsparseL41csrgemm_numeric_fill_block_per_row_kernelILj512ELj32ELj1024ELj137ELj32ElidEEvT5_PKS1_S3_NS_24const_host_device_scalarIT6_EEPKT4_S3_PKS5_S9_S3_SB_S6_S9_S3_SB_S9_S3_PS5_21rocsparse_index_base_SD_SD_SD_bbb,"axG",@progbits,_ZN9rocsparseL41csrgemm_numeric_fill_block_per_row_kernelILj512ELj32ELj1024ELj137ELj32ElidEEvT5_PKS1_S3_NS_24const_host_device_scalarIT6_EEPKT4_S3_PKS5_S9_S3_SB_S6_S9_S3_SB_S9_S3_PS5_21rocsparse_index_base_SD_SD_SD_bbb,comdat
	.globl	_ZN9rocsparseL41csrgemm_numeric_fill_block_per_row_kernelILj512ELj32ELj1024ELj137ELj32ElidEEvT5_PKS1_S3_NS_24const_host_device_scalarIT6_EEPKT4_S3_PKS5_S9_S3_SB_S6_S9_S3_SB_S9_S3_PS5_21rocsparse_index_base_SD_SD_SD_bbb ; -- Begin function _ZN9rocsparseL41csrgemm_numeric_fill_block_per_row_kernelILj512ELj32ELj1024ELj137ELj32ElidEEvT5_PKS1_S3_NS_24const_host_device_scalarIT6_EEPKT4_S3_PKS5_S9_S3_SB_S6_S9_S3_SB_S9_S3_PS5_21rocsparse_index_base_SD_SD_SD_bbb
	.p2align	8
	.type	_ZN9rocsparseL41csrgemm_numeric_fill_block_per_row_kernelILj512ELj32ELj1024ELj137ELj32ElidEEvT5_PKS1_S3_NS_24const_host_device_scalarIT6_EEPKT4_S3_PKS5_S9_S3_SB_S6_S9_S3_SB_S9_S3_PS5_21rocsparse_index_base_SD_SD_SD_bbb,@function
_ZN9rocsparseL41csrgemm_numeric_fill_block_per_row_kernelILj512ELj32ELj1024ELj137ELj32ElidEEvT5_PKS1_S3_NS_24const_host_device_scalarIT6_EEPKT4_S3_PKS5_S9_S3_SB_S6_S9_S3_SB_S9_S3_PS5_21rocsparse_index_base_SD_SD_SD_bbb: ; @_ZN9rocsparseL41csrgemm_numeric_fill_block_per_row_kernelILj512ELj32ELj1024ELj137ELj32ElidEEvT5_PKS1_S3_NS_24const_host_device_scalarIT6_EEPKT4_S3_PKS5_S9_S3_SB_S6_S9_S3_SB_S9_S3_PS5_21rocsparse_index_base_SD_SD_SD_bbb
; %bb.0:
	s_load_dword s3, s[0:1], 0x98
	s_load_dwordx4 s[44:47], s[0:1], 0x88
	s_load_dwordx2 s[4:5], s[0:1], 0x18
	s_load_dwordx2 s[24:25], s[0:1], 0x50
	s_waitcnt lgkmcnt(0)
	s_bitcmp1_b32 s3, 0
	s_cselect_b64 s[22:23], -1, 0
	s_bitcmp1_b32 s3, 16
	s_cselect_b64 s[26:27], -1, 0
	s_xor_b64 s[6:7], s[22:23], -1
	s_or_b64 s[6:7], s[26:27], s[6:7]
	s_and_b64 s[8:9], s[22:23], exec
	s_cselect_b32 s9, s5, 0
	s_cselect_b32 s8, s4, 0
	s_and_b64 vcc, exec, s[6:7]
	v_mov_b64_e32 v[4:5], s[8:9]
	s_cbranch_vccnz .LBB186_2
; %bb.1:
	v_mov_b64_e32 v[2:3], s[4:5]
	flat_load_dwordx2 v[4:5], v[2:3]
.LBB186_2:
	s_load_dwordx2 s[34:35], s[0:1], 0x80
	s_load_dwordx8 s[36:43], s[0:1], 0x58
	s_load_dwordx4 s[12:15], s[0:1], 0x40
	s_load_dwordx4 s[16:19], s[0:1], 0x8
	s_load_dwordx8 s[4:11], s[0:1], 0x20
	s_bitcmp1_b32 s3, 8
	s_cselect_b64 s[20:21], -1, 0
	s_xor_b64 s[28:29], s[20:21], -1
	s_or_b64 s[26:27], s[26:27], s[28:29]
	s_and_b64 s[28:29], s[20:21], exec
	s_cselect_b32 s29, s25, 0
	s_cselect_b32 s28, s24, 0
	s_and_b64 vcc, exec, s[26:27]
	v_mov_b64_e32 v[2:3], s[28:29]
	s_cbranch_vccnz .LBB186_4
; %bb.3:
	v_mov_b64_e32 v[2:3], s[24:25]
	flat_load_dwordx2 v[2:3], v[2:3]
.LBB186_4:
	s_load_dword s33, s[0:1], 0x0
	v_lshl_add_u32 v1, v0, 3, 0
	v_mov_b32_e32 v6, 0
	v_add_u32_e32 v1, 0x1000, v1
	v_or_b32_e32 v18, 0xfffffe00, v0
	v_lshl_add_u32 v19, v0, 2, 0
	s_mov_b64 s[0:1], 0
	s_waitcnt lgkmcnt(0)
	v_mov_b32_e32 v11, s33
	v_mov_b32_e32 v7, v6
	;; [unrolled: 1-line block ×5, first 2 shown]
.LBB186_5:                              ; =>This Inner Loop Header: Depth=1
	v_add_co_u32_e32 v9, vcc, 0x200, v9
	s_xor_b64 s[24:25], vcc, -1
	s_and_b64 s[24:25], exec, s[24:25]
	ds_write_b32 v8, v11
	ds_write_b64 v10, v[6:7]
	v_add_u32_e32 v10, 0x1000, v10
	s_or_b64 s[0:1], s[24:25], s[0:1]
	v_add_u32_e32 v8, 0x800, v8
	s_andn2_b64 exec, exec, s[0:1]
	s_cbranch_execnz .LBB186_5
; %bb.6:
	s_or_b64 exec, exec, s[0:1]
	s_waitcnt lgkmcnt(0)
	s_barrier
	s_load_dword s0, s[16:17], 0x0
	s_mov_b32 s1, 0
	v_lshrrev_b32_e32 v20, 5, v0
	s_waitcnt lgkmcnt(0)
	s_add_i32 s0, s0, s2
	s_lshl_b64 s[0:1], s[0:1], 2
	s_add_u32 s0, s18, s0
	s_addc_u32 s1, s19, s1
	s_load_dword s48, s[0:1], 0x0
	s_and_b64 vcc, exec, s[22:23]
	s_cbranch_vccz .LBB186_24
; %bb.7:
	s_waitcnt lgkmcnt(0)
	s_ashr_i32 s49, s48, 31
	s_lshl_b64 s[0:1], s[48:49], 3
	s_add_u32 s0, s4, s0
	s_addc_u32 s1, s5, s1
	s_load_dwordx4 s[16:19], s[0:1], 0x0
	v_subrev_co_u32_e32 v6, vcc, s44, v20
	s_nop 1
	v_subb_co_u32_e64 v7, s[0:1], 0, 0, vcc
	s_waitcnt lgkmcnt(0)
	s_sub_u32 s0, s18, s44
	s_subb_u32 s1, s19, 0
	v_lshl_add_u64 v[6:7], s[16:17], 0, v[6:7]
	v_cmp_gt_i64_e32 vcc, s[0:1], v[6:7]
	s_and_saveexec_b64 s[2:3], vcc
	s_cbranch_execz .LBB186_23
; %bb.8:
	v_and_b32_e32 v8, 31, v0
	v_subrev_co_u32_e32 v8, vcc, s45, v8
	s_mov_b32 s49, s45
	s_nop 0
	v_subb_co_u32_e64 v9, s[4:5], 0, 0, vcc
	s_mov_b64 s[4:5], 0
	s_movk_i32 s50, 0x89
	s_branch .LBB186_10
.LBB186_9:                              ;   in Loop: Header=BB186_10 Depth=1
	s_or_b64 exec, exec, s[16:17]
	v_lshl_add_u64 v[6:7], v[6:7], 0, 16
	v_cmp_le_i64_e32 vcc, s[0:1], v[6:7]
	s_or_b64 s[4:5], vcc, s[4:5]
	s_andn2_b64 exec, exec, s[4:5]
	s_cbranch_execz .LBB186_23
.LBB186_10:                             ; =>This Loop Header: Depth=1
                                        ;     Child Loop BB186_14 Depth 2
                                        ;       Child Loop BB186_17 Depth 3
	v_lshl_add_u64 v[10:11], v[6:7], 2, s[6:7]
	global_load_dword v10, v[10:11], off
	s_waitcnt vmcnt(0)
	v_subrev_u32_e32 v10, s44, v10
	v_ashrrev_i32_e32 v11, 31, v10
	v_lshl_add_u64 v[10:11], v[10:11], 3, s[10:11]
	global_load_dwordx4 v[12:15], v[10:11], off
	s_waitcnt vmcnt(0)
	v_subrev_co_u32_e32 v10, vcc, s49, v14
	s_nop 1
	v_subbrev_co_u32_e32 v11, vcc, 0, v15, vcc
	v_lshl_add_u64 v[12:13], v[12:13], 0, v[8:9]
	v_cmp_lt_i64_e32 vcc, v[12:13], v[10:11]
	s_and_saveexec_b64 s[16:17], vcc
	s_cbranch_execz .LBB186_9
; %bb.11:                               ;   in Loop: Header=BB186_10 Depth=1
	v_lshl_add_u64 v[14:15], v[6:7], 3, s[8:9]
	global_load_dwordx2 v[14:15], v[14:15], off
	s_mov_b64 s[18:19], 0
	s_waitcnt vmcnt(0)
	v_mul_f64 v[14:15], v[4:5], v[14:15]
	s_branch .LBB186_14
.LBB186_12:                             ;   in Loop: Header=BB186_14 Depth=2
	s_or_b64 exec, exec, s[24:25]
.LBB186_13:                             ;   in Loop: Header=BB186_14 Depth=2
	s_or_b64 exec, exec, s[22:23]
	s_waitcnt vmcnt(0)
	v_mul_f64 v[16:17], v[14:15], v[16:17]
	v_lshl_add_u32 v21, v21, 3, 0
	ds_add_f64 v21, v[16:17] offset:4096
	v_lshl_add_u64 v[12:13], v[12:13], 0, 32
	v_cmp_ge_i64_e32 vcc, v[12:13], v[10:11]
	s_or_b64 s[18:19], vcc, s[18:19]
	s_andn2_b64 exec, exec, s[18:19]
	s_cbranch_execz .LBB186_9
.LBB186_14:                             ;   Parent Loop BB186_10 Depth=1
                                        ; =>  This Loop Header: Depth=2
                                        ;       Child Loop BB186_17 Depth 3
	v_lshl_add_u64 v[16:17], v[12:13], 2, s[12:13]
	global_load_dword v21, v[16:17], off
	v_lshl_add_u64 v[16:17], v[12:13], 3, s[14:15]
	global_load_dwordx2 v[16:17], v[16:17], off
	s_waitcnt vmcnt(1)
	v_subrev_u32_e32 v22, s45, v21
	v_mul_lo_u32 v21, v22, s50
	v_and_b32_e32 v21, 0x3ff, v21
	v_lshl_add_u32 v23, v21, 2, 0
	ds_read_b32 v24, v23
	s_waitcnt lgkmcnt(0)
	v_cmp_ne_u32_e32 vcc, v24, v22
	s_and_saveexec_b64 s[22:23], vcc
	s_cbranch_execz .LBB186_13
; %bb.15:                               ;   in Loop: Header=BB186_14 Depth=2
	s_mov_b64 s[24:25], 0
	s_branch .LBB186_17
.LBB186_16:                             ;   in Loop: Header=BB186_17 Depth=3
	s_or_b64 exec, exec, s[30:31]
	s_and_b64 s[26:27], exec, s[28:29]
	s_or_b64 s[24:25], s[26:27], s[24:25]
	s_andn2_b64 exec, exec, s[24:25]
	s_cbranch_execz .LBB186_12
.LBB186_17:                             ;   Parent Loop BB186_10 Depth=1
                                        ;     Parent Loop BB186_14 Depth=2
                                        ; =>    This Inner Loop Header: Depth=3
	v_cmp_ne_u32_e32 vcc, s33, v24
	s_mov_b64 s[26:27], 0
	s_and_saveexec_b64 s[28:29], vcc
	s_xor_b64 s[28:29], exec, s[28:29]
	s_cbranch_execz .LBB186_19
; %bb.18:                               ;   in Loop: Header=BB186_17 Depth=3
	v_add_u32_e32 v21, 1, v21
	s_mov_b64 s[26:27], exec
	v_and_b32_e32 v21, 0x3ff, v21
                                        ; implicit-def: $vgpr23
	s_andn2_saveexec_b64 s[28:29], s[28:29]
	s_cbranch_execz .LBB186_21
	s_branch .LBB186_20
.LBB186_19:                             ;   in Loop: Header=BB186_17 Depth=3
	s_andn2_saveexec_b64 s[28:29], s[28:29]
	s_cbranch_execz .LBB186_21
.LBB186_20:                             ;   in Loop: Header=BB186_17 Depth=3
	v_mov_b32_e32 v24, s33
	ds_cmpst_rtn_b32 v23, v23, v24, v22
	s_andn2_b64 s[26:27], s[26:27], exec
	s_waitcnt lgkmcnt(0)
	v_cmp_ne_u32_e32 vcc, s33, v23
	s_and_b64 s[30:31], vcc, exec
	s_or_b64 s[26:27], s[26:27], s[30:31]
.LBB186_21:                             ;   in Loop: Header=BB186_17 Depth=3
	s_or_b64 exec, exec, s[28:29]
	s_mov_b64 s[28:29], -1
                                        ; implicit-def: $vgpr23
                                        ; implicit-def: $vgpr24
	s_and_saveexec_b64 s[30:31], s[26:27]
	s_cbranch_execz .LBB186_16
; %bb.22:                               ;   in Loop: Header=BB186_17 Depth=3
	v_lshl_add_u32 v23, v21, 2, 0
	ds_read_b32 v24, v23
	s_waitcnt lgkmcnt(0)
	v_cmp_eq_u32_e32 vcc, v24, v22
	s_orn2_b64 s[28:29], vcc, exec
	s_branch .LBB186_16
.LBB186_23:
	s_or_b64 exec, exec, s[2:3]
.LBB186_24:
	s_andn2_b64 vcc, exec, s[20:21]
	s_cbranch_vccnz .LBB186_39
; %bb.25:
	s_waitcnt lgkmcnt(0)
	s_ashr_i32 s49, s48, 31
	s_lshl_b64 s[0:1], s[48:49], 3
	s_add_u32 s0, s36, s0
	s_addc_u32 s1, s37, s1
	s_load_dwordx4 s[4:7], s[0:1], 0x0
	s_waitcnt vmcnt(0)
	v_subrev_co_u32_e32 v4, vcc, s47, v0
	s_nop 1
	v_subb_co_u32_e64 v5, s[0:1], 0, 0, vcc
	s_waitcnt lgkmcnt(0)
	s_sub_u32 s0, s6, s47
	s_subb_u32 s1, s7, 0
	v_lshl_add_u64 v[4:5], s[4:5], 0, v[4:5]
	v_cmp_gt_i64_e32 vcc, s[0:1], v[4:5]
	s_and_saveexec_b64 s[2:3], vcc
	s_cbranch_execz .LBB186_38
; %bb.26:
	s_mov_b64 s[4:5], 0
	s_movk_i32 s18, 0x89
	s_mov_b64 s[6:7], 0x200
	s_branch .LBB186_29
.LBB186_27:                             ;   in Loop: Header=BB186_29 Depth=1
	s_or_b64 exec, exec, s[10:11]
.LBB186_28:                             ;   in Loop: Header=BB186_29 Depth=1
	s_or_b64 exec, exec, s[8:9]
	s_waitcnt vmcnt(0)
	v_mul_f64 v[6:7], v[2:3], v[6:7]
	v_lshl_add_u32 v8, v8, 3, 0
	ds_add_f64 v8, v[6:7] offset:4096
	v_lshl_add_u64 v[4:5], v[4:5], 0, s[6:7]
	v_cmp_le_i64_e32 vcc, s[0:1], v[4:5]
	s_or_b64 s[4:5], vcc, s[4:5]
	s_andn2_b64 exec, exec, s[4:5]
	s_cbranch_execz .LBB186_38
.LBB186_29:                             ; =>This Loop Header: Depth=1
                                        ;     Child Loop BB186_32 Depth 2
	v_lshl_add_u64 v[6:7], v[4:5], 2, s[38:39]
	global_load_dword v8, v[6:7], off
	v_lshl_add_u64 v[6:7], v[4:5], 3, s[40:41]
	global_load_dwordx2 v[6:7], v[6:7], off
	s_waitcnt vmcnt(1)
	v_subrev_u32_e32 v9, s47, v8
	v_mul_lo_u32 v8, v9, s18
	v_and_b32_e32 v8, 0x3ff, v8
	v_lshl_add_u32 v10, v8, 2, 0
	ds_read_b32 v11, v10
	s_waitcnt lgkmcnt(0)
	v_cmp_ne_u32_e32 vcc, v11, v9
	s_and_saveexec_b64 s[8:9], vcc
	s_cbranch_execz .LBB186_28
; %bb.30:                               ;   in Loop: Header=BB186_29 Depth=1
	s_mov_b64 s[10:11], 0
	s_branch .LBB186_32
.LBB186_31:                             ;   in Loop: Header=BB186_32 Depth=2
	s_or_b64 exec, exec, s[16:17]
	s_and_b64 s[12:13], exec, s[14:15]
	s_or_b64 s[10:11], s[12:13], s[10:11]
	s_andn2_b64 exec, exec, s[10:11]
	s_cbranch_execz .LBB186_27
.LBB186_32:                             ;   Parent Loop BB186_29 Depth=1
                                        ; =>  This Inner Loop Header: Depth=2
	v_cmp_ne_u32_e32 vcc, s33, v11
	s_mov_b64 s[12:13], 0
	s_and_saveexec_b64 s[14:15], vcc
	s_xor_b64 s[14:15], exec, s[14:15]
	s_cbranch_execz .LBB186_34
; %bb.33:                               ;   in Loop: Header=BB186_32 Depth=2
	v_add_u32_e32 v8, 1, v8
	s_mov_b64 s[12:13], exec
	v_and_b32_e32 v8, 0x3ff, v8
                                        ; implicit-def: $vgpr10
	s_andn2_saveexec_b64 s[14:15], s[14:15]
	s_cbranch_execz .LBB186_36
	s_branch .LBB186_35
.LBB186_34:                             ;   in Loop: Header=BB186_32 Depth=2
	s_andn2_saveexec_b64 s[14:15], s[14:15]
	s_cbranch_execz .LBB186_36
.LBB186_35:                             ;   in Loop: Header=BB186_32 Depth=2
	v_mov_b32_e32 v11, s33
	ds_cmpst_rtn_b32 v10, v10, v11, v9
	s_andn2_b64 s[12:13], s[12:13], exec
	s_waitcnt lgkmcnt(0)
	v_cmp_ne_u32_e32 vcc, s33, v10
	s_and_b64 s[16:17], vcc, exec
	s_or_b64 s[12:13], s[12:13], s[16:17]
.LBB186_36:                             ;   in Loop: Header=BB186_32 Depth=2
	s_or_b64 exec, exec, s[14:15]
	s_mov_b64 s[14:15], -1
                                        ; implicit-def: $vgpr10
                                        ; implicit-def: $vgpr11
	s_and_saveexec_b64 s[16:17], s[12:13]
	s_cbranch_execz .LBB186_31
; %bb.37:                               ;   in Loop: Header=BB186_32 Depth=2
	v_lshl_add_u32 v10, v8, 2, 0
	ds_read_b32 v11, v10
	s_waitcnt lgkmcnt(0)
	v_cmp_eq_u32_e32 vcc, v11, v9
	s_orn2_b64 s[14:15], vcc, exec
	s_branch .LBB186_31
.LBB186_38:
	s_or_b64 exec, exec, s[2:3]
.LBB186_39:
	s_waitcnt vmcnt(0)
	v_mbcnt_lo_u32_b32 v2, -1, 0
	v_mbcnt_hi_u32_b32 v2, -1, v2
	v_sub_u32_e32 v2, 63, v2
	s_movk_i32 s0, 0x1ff
	s_movk_i32 s6, 0x5f
	;; [unrolled: 1-line block ×14, first 2 shown]
	v_mov_b32_e32 v6, 0
	v_lshrrev_b64 v[2:3], v2, -1
	v_lshl_add_u32 v7, v20, 2, 0
	v_cmp_eq_u32_e64 s[0:1], s0, v0
	v_cmp_lt_u32_e64 s[2:3], 31, v0
	v_cmp_lt_u32_e64 s[4:5], 63, v0
	;; [unrolled: 1-line block ×15, first 2 shown]
	s_mov_b64 s[36:37], 0
	v_mov_b32_e32 v8, 0
	s_waitcnt lgkmcnt(0)
	s_barrier
	s_branch .LBB186_41
.LBB186_40:                             ;   in Loop: Header=BB186_41 Depth=1
	s_or_b64 exec, exec, s[38:39]
	s_waitcnt lgkmcnt(0)
	s_barrier
	ds_read_b32 v4, v6 offset:12348
	v_add_co_u32_e32 v18, vcc, 0x200, v18
	s_xor_b64 s[38:39], vcc, -1
	s_and_b64 s[38:39], exec, s[38:39]
	v_add_u32_e32 v1, 0x1000, v1
	s_waitcnt lgkmcnt(0)
	v_add_u32_e32 v8, v4, v8
	s_or_b64 s[36:37], s[38:39], s[36:37]
	v_add_u32_e32 v19, 0x800, v19
	s_andn2_b64 exec, exec, s[36:37]
	s_cbranch_execz .LBB186_75
.LBB186_41:                             ; =>This Inner Loop Header: Depth=1
	ds_read_b32 v9, v19
	ds_read_b64 v[4:5], v1
	s_waitcnt lgkmcnt(0)
	s_barrier
	v_cmp_gt_i32_e32 vcc, s33, v9
	s_bcnt1_i32_b64 s38, vcc
	s_nop 0
	v_and_b32_e32 v11, vcc_lo, v2
	v_and_b32_e32 v10, vcc_hi, v3
	v_bcnt_u32_b32 v11, v11, 0
	v_bcnt_u32_b32 v10, v10, v11
	v_mov_b32_e32 v11, s38
	ds_write_b32 v7, v11 offset:12288
	s_waitcnt lgkmcnt(0)
	s_barrier
	s_and_saveexec_b64 s[38:39], s[2:3]
	s_cbranch_execz .LBB186_58
; %bb.42:                               ;   in Loop: Header=BB186_41 Depth=1
	ds_read_b32 v11, v6 offset:12288
	s_waitcnt lgkmcnt(0)
	v_add_u32_e32 v10, v11, v10
	s_or_b64 exec, exec, s[38:39]
	s_and_saveexec_b64 s[38:39], s[4:5]
	s_cbranch_execnz .LBB186_59
.LBB186_43:                             ;   in Loop: Header=BB186_41 Depth=1
	s_or_b64 exec, exec, s[38:39]
	s_and_saveexec_b64 s[38:39], s[6:7]
	s_cbranch_execz .LBB186_60
.LBB186_44:                             ;   in Loop: Header=BB186_41 Depth=1
	ds_read_b32 v11, v6 offset:12296
	s_waitcnt lgkmcnt(0)
	v_add_u32_e32 v10, v11, v10
	s_or_b64 exec, exec, s[38:39]
	s_and_saveexec_b64 s[38:39], s[8:9]
	s_cbranch_execnz .LBB186_61
.LBB186_45:                             ;   in Loop: Header=BB186_41 Depth=1
	s_or_b64 exec, exec, s[38:39]
	s_and_saveexec_b64 s[38:39], s[10:11]
	s_cbranch_execz .LBB186_62
.LBB186_46:                             ;   in Loop: Header=BB186_41 Depth=1
	ds_read_b32 v11, v6 offset:12304
	s_waitcnt lgkmcnt(0)
	v_add_u32_e32 v10, v11, v10
	s_or_b64 exec, exec, s[38:39]
	s_and_saveexec_b64 s[38:39], s[12:13]
	s_cbranch_execnz .LBB186_63
.LBB186_47:                             ;   in Loop: Header=BB186_41 Depth=1
	s_or_b64 exec, exec, s[38:39]
	s_and_saveexec_b64 s[38:39], s[14:15]
	s_cbranch_execz .LBB186_64
.LBB186_48:                             ;   in Loop: Header=BB186_41 Depth=1
	ds_read_b32 v11, v6 offset:12312
	s_waitcnt lgkmcnt(0)
	v_add_u32_e32 v10, v11, v10
	s_or_b64 exec, exec, s[38:39]
	s_and_saveexec_b64 s[38:39], s[16:17]
	s_cbranch_execnz .LBB186_65
.LBB186_49:                             ;   in Loop: Header=BB186_41 Depth=1
	s_or_b64 exec, exec, s[38:39]
	s_and_saveexec_b64 s[38:39], s[18:19]
	s_cbranch_execz .LBB186_66
.LBB186_50:                             ;   in Loop: Header=BB186_41 Depth=1
	ds_read_b32 v11, v6 offset:12320
	s_waitcnt lgkmcnt(0)
	v_add_u32_e32 v10, v11, v10
	s_or_b64 exec, exec, s[38:39]
	s_and_saveexec_b64 s[38:39], s[20:21]
	s_cbranch_execnz .LBB186_67
.LBB186_51:                             ;   in Loop: Header=BB186_41 Depth=1
	s_or_b64 exec, exec, s[38:39]
	s_and_saveexec_b64 s[38:39], s[22:23]
	s_cbranch_execz .LBB186_68
.LBB186_52:                             ;   in Loop: Header=BB186_41 Depth=1
	ds_read_b32 v11, v6 offset:12328
	s_waitcnt lgkmcnt(0)
	v_add_u32_e32 v10, v11, v10
	s_or_b64 exec, exec, s[38:39]
	s_and_saveexec_b64 s[38:39], s[24:25]
	s_cbranch_execnz .LBB186_69
.LBB186_53:                             ;   in Loop: Header=BB186_41 Depth=1
	s_or_b64 exec, exec, s[38:39]
	s_and_saveexec_b64 s[38:39], s[26:27]
	s_cbranch_execz .LBB186_70
.LBB186_54:                             ;   in Loop: Header=BB186_41 Depth=1
	ds_read_b32 v11, v6 offset:12336
	s_waitcnt lgkmcnt(0)
	v_add_u32_e32 v10, v11, v10
	s_or_b64 exec, exec, s[38:39]
	s_and_saveexec_b64 s[38:39], s[28:29]
	s_cbranch_execnz .LBB186_71
.LBB186_55:                             ;   in Loop: Header=BB186_41 Depth=1
	s_or_b64 exec, exec, s[38:39]
	s_and_saveexec_b64 s[38:39], s[30:31]
	s_cbranch_execz .LBB186_72
.LBB186_56:                             ;   in Loop: Header=BB186_41 Depth=1
	ds_read_b32 v11, v6 offset:12344
	s_waitcnt lgkmcnt(0)
	v_add_u32_e32 v10, v11, v10
	s_or_b64 exec, exec, s[38:39]
	s_and_saveexec_b64 s[38:39], vcc
	s_cbranch_execnz .LBB186_73
.LBB186_57:                             ;   in Loop: Header=BB186_41 Depth=1
	s_or_b64 exec, exec, s[38:39]
	s_and_saveexec_b64 s[38:39], s[0:1]
	s_cbranch_execz .LBB186_40
	s_branch .LBB186_74
.LBB186_58:                             ;   in Loop: Header=BB186_41 Depth=1
	s_or_b64 exec, exec, s[38:39]
	s_and_saveexec_b64 s[38:39], s[4:5]
	s_cbranch_execz .LBB186_43
.LBB186_59:                             ;   in Loop: Header=BB186_41 Depth=1
	ds_read_b32 v11, v6 offset:12292
	s_waitcnt lgkmcnt(0)
	v_add_u32_e32 v10, v11, v10
	s_or_b64 exec, exec, s[38:39]
	s_and_saveexec_b64 s[38:39], s[6:7]
	s_cbranch_execnz .LBB186_44
.LBB186_60:                             ;   in Loop: Header=BB186_41 Depth=1
	s_or_b64 exec, exec, s[38:39]
	s_and_saveexec_b64 s[38:39], s[8:9]
	s_cbranch_execz .LBB186_45
.LBB186_61:                             ;   in Loop: Header=BB186_41 Depth=1
	ds_read_b32 v11, v6 offset:12300
	s_waitcnt lgkmcnt(0)
	v_add_u32_e32 v10, v11, v10
	s_or_b64 exec, exec, s[38:39]
	s_and_saveexec_b64 s[38:39], s[10:11]
	s_cbranch_execnz .LBB186_46
.LBB186_62:                             ;   in Loop: Header=BB186_41 Depth=1
	s_or_b64 exec, exec, s[38:39]
	s_and_saveexec_b64 s[38:39], s[12:13]
	s_cbranch_execz .LBB186_47
.LBB186_63:                             ;   in Loop: Header=BB186_41 Depth=1
	ds_read_b32 v11, v6 offset:12308
	s_waitcnt lgkmcnt(0)
	v_add_u32_e32 v10, v11, v10
	s_or_b64 exec, exec, s[38:39]
	s_and_saveexec_b64 s[38:39], s[14:15]
	s_cbranch_execnz .LBB186_48
.LBB186_64:                             ;   in Loop: Header=BB186_41 Depth=1
	s_or_b64 exec, exec, s[38:39]
	s_and_saveexec_b64 s[38:39], s[16:17]
	s_cbranch_execz .LBB186_49
.LBB186_65:                             ;   in Loop: Header=BB186_41 Depth=1
	ds_read_b32 v11, v6 offset:12316
	s_waitcnt lgkmcnt(0)
	v_add_u32_e32 v10, v11, v10
	s_or_b64 exec, exec, s[38:39]
	s_and_saveexec_b64 s[38:39], s[18:19]
	s_cbranch_execnz .LBB186_50
.LBB186_66:                             ;   in Loop: Header=BB186_41 Depth=1
	s_or_b64 exec, exec, s[38:39]
	s_and_saveexec_b64 s[38:39], s[20:21]
	s_cbranch_execz .LBB186_51
.LBB186_67:                             ;   in Loop: Header=BB186_41 Depth=1
	ds_read_b32 v11, v6 offset:12324
	s_waitcnt lgkmcnt(0)
	v_add_u32_e32 v10, v11, v10
	s_or_b64 exec, exec, s[38:39]
	s_and_saveexec_b64 s[38:39], s[22:23]
	s_cbranch_execnz .LBB186_52
.LBB186_68:                             ;   in Loop: Header=BB186_41 Depth=1
	s_or_b64 exec, exec, s[38:39]
	s_and_saveexec_b64 s[38:39], s[24:25]
	s_cbranch_execz .LBB186_53
.LBB186_69:                             ;   in Loop: Header=BB186_41 Depth=1
	ds_read_b32 v11, v6 offset:12332
	s_waitcnt lgkmcnt(0)
	v_add_u32_e32 v10, v11, v10
	s_or_b64 exec, exec, s[38:39]
	s_and_saveexec_b64 s[38:39], s[26:27]
	s_cbranch_execnz .LBB186_54
.LBB186_70:                             ;   in Loop: Header=BB186_41 Depth=1
	s_or_b64 exec, exec, s[38:39]
	s_and_saveexec_b64 s[38:39], s[28:29]
	s_cbranch_execz .LBB186_55
.LBB186_71:                             ;   in Loop: Header=BB186_41 Depth=1
	ds_read_b32 v11, v6 offset:12340
	s_waitcnt lgkmcnt(0)
	v_add_u32_e32 v10, v11, v10
	s_or_b64 exec, exec, s[38:39]
	s_and_saveexec_b64 s[38:39], s[30:31]
	s_cbranch_execnz .LBB186_56
.LBB186_72:                             ;   in Loop: Header=BB186_41 Depth=1
	s_or_b64 exec, exec, s[38:39]
	s_and_saveexec_b64 s[38:39], vcc
	s_cbranch_execz .LBB186_57
.LBB186_73:                             ;   in Loop: Header=BB186_41 Depth=1
	v_add3_u32 v11, v8, -1, v10
	v_lshl_add_u32 v11, v11, 2, 0
	v_add_u32_e32 v12, v8, v10
	v_lshl_add_u32 v12, v12, 3, 0
	ds_write_b32 v11, v9
	ds_write_b64 v12, v[4:5] offset:4088
	s_or_b64 exec, exec, s[38:39]
	s_and_saveexec_b64 s[38:39], s[0:1]
	s_cbranch_execz .LBB186_40
.LBB186_74:                             ;   in Loop: Header=BB186_41 Depth=1
	ds_write_b32 v6, v10 offset:12348
	s_branch .LBB186_40
.LBB186_75:
	s_or_b64 exec, exec, s[36:37]
	s_ashr_i32 s49, s48, 31
	s_lshl_b64 s[0:1], s[48:49], 3
	s_add_u32 s4, s42, s0
	s_addc_u32 s5, s43, s1
	s_load_dwordx4 s[0:3], s[4:5], 0x0
	s_waitcnt lgkmcnt(0)
	s_sub_i32 s8, s2, s0
	v_cmp_gt_i32_e32 vcc, s8, v0
	s_and_saveexec_b64 s[4:5], vcc
	s_cbranch_execz .LBB186_85
; %bb.76:
	s_sub_u32 s4, s0, s46
	s_subb_u32 s5, s1, 0
	s_and_b32 s10, s8, 7
	s_sub_i32 s0, s0, s2
	s_cmp_lt_u32 s0, -7
	s_cselect_b64 s[0:1], -1, 0
	s_and_b32 s11, s8, -8
	s_cmp_lg_u32 s10, 0
	v_cndmask_b32_e64 v1, 0, 1, s[0:1]
	s_cselect_b64 s[2:3], -1, 0
	v_cmp_ne_u32_e64 s[0:1], 1, v1
	v_cndmask_b32_e64 v1, 0, 1, s[2:3]
	s_mov_b32 s9, 0
	s_mov_b64 s[6:7], 0
	v_cmp_ne_u32_e64 s[2:3], 1, v1
	s_branch .LBB186_78
.LBB186_77:                             ;   in Loop: Header=BB186_78 Depth=1
	v_add_u32_e32 v0, 0x200, v0
	v_cmp_le_i32_e32 vcc, s8, v0
	v_lshl_add_u64 v[4:5], v[4:5], 3, s[34:35]
	s_or_b64 s[6:7], vcc, s[6:7]
	s_waitcnt lgkmcnt(0)
	global_store_dwordx2 v[4:5], v[2:3], off
	s_andn2_b64 exec, exec, s[6:7]
	s_cbranch_execz .LBB186_85
.LBB186_78:                             ; =>This Loop Header: Depth=1
                                        ;     Child Loop BB186_80 Depth 2
                                        ;     Child Loop BB186_84 Depth 2
	v_lshlrev_b32_e32 v1, 2, v0
	v_add_u32_e32 v2, 0, v1
	v_add_u32_e32 v3, v2, v1
	ds_read_b32 v1, v2
	ds_read_b64 v[2:3], v3 offset:4096
	s_and_b64 vcc, exec, s[0:1]
	v_mov_b64_e32 v[4:5], s[4:5]
	s_mov_b32 s12, 0
	s_cbranch_vccnz .LBB186_82
; %bb.79:                               ;   in Loop: Header=BB186_78 Depth=1
	s_mov_b32 s13, 0
	v_mov_b64_e32 v[4:5], s[4:5]
.LBB186_80:                             ;   Parent Loop BB186_78 Depth=1
                                        ; =>  This Inner Loop Header: Depth=2
	v_mov_b32_e32 v6, s13
	ds_read2_b32 v[22:23], v6 offset1:1
	ds_read2_b32 v[24:25], v6 offset0:2 offset1:3
	ds_read2_b32 v[26:27], v6 offset0:4 offset1:5
	;; [unrolled: 1-line block ×3, first 2 shown]
	v_mov_b32_e32 v7, s9
	s_waitcnt lgkmcnt(3)
	v_cmp_gt_i32_e32 vcc, v1, v22
	v_mov_b32_e32 v9, s9
	v_mov_b32_e32 v11, s9
	v_cndmask_b32_e64 v6, 0, 1, vcc
	v_cmp_gt_i32_e32 vcc, v1, v23
	v_lshl_add_u64 v[4:5], v[4:5], 0, v[6:7]
	v_mov_b32_e32 v13, s9
	v_cndmask_b32_e64 v8, 0, 1, vcc
	s_waitcnt lgkmcnt(2)
	v_cmp_gt_i32_e32 vcc, v1, v24
	v_lshl_add_u64 v[4:5], v[4:5], 0, v[8:9]
	v_mov_b32_e32 v15, s9
	v_cndmask_b32_e64 v10, 0, 1, vcc
	v_cmp_gt_i32_e32 vcc, v1, v25
	v_lshl_add_u64 v[4:5], v[4:5], 0, v[10:11]
	v_mov_b32_e32 v17, s9
	v_cndmask_b32_e64 v12, 0, 1, vcc
	s_waitcnt lgkmcnt(1)
	v_cmp_gt_i32_e32 vcc, v1, v26
	v_lshl_add_u64 v[4:5], v[4:5], 0, v[12:13]
	;; [unrolled: 9-line block ×3, first 2 shown]
	s_add_i32 s12, s12, 8
	v_cndmask_b32_e64 v18, 0, 1, vcc
	v_cmp_gt_i32_e32 vcc, v1, v29
	s_add_i32 s13, s13, 32
	v_lshl_add_u64 v[4:5], v[4:5], 0, v[18:19]
	v_cndmask_b32_e64 v20, 0, 1, vcc
	s_cmp_eq_u32 s11, s12
	v_lshl_add_u64 v[4:5], v[4:5], 0, v[20:21]
	s_cbranch_scc0 .LBB186_80
; %bb.81:                               ;   in Loop: Header=BB186_78 Depth=1
	s_mov_b32 s12, s11
.LBB186_82:                             ;   in Loop: Header=BB186_78 Depth=1
	s_and_b64 vcc, exec, s[2:3]
	s_cbranch_vccnz .LBB186_77
; %bb.83:                               ;   in Loop: Header=BB186_78 Depth=1
	s_lshl_b32 s12, s12, 2
	s_add_i32 s12, s12, 0
	s_mov_b32 s13, s10
.LBB186_84:                             ;   Parent Loop BB186_78 Depth=1
                                        ; =>  This Inner Loop Header: Depth=2
	v_mov_b32_e32 v6, s12
	ds_read_b32 v6, v6
	v_mov_b32_e32 v7, s9
	s_add_i32 s12, s12, 4
	s_add_i32 s13, s13, -1
	s_cmp_lg_u32 s13, 0
	s_waitcnt lgkmcnt(0)
	v_cmp_gt_i32_e32 vcc, v1, v6
	s_nop 1
	v_cndmask_b32_e64 v6, 0, 1, vcc
	v_lshl_add_u64 v[4:5], v[4:5], 0, v[6:7]
	s_cbranch_scc1 .LBB186_84
	s_branch .LBB186_77
.LBB186_85:
	s_endpgm
	.section	.rodata,"a",@progbits
	.p2align	6, 0x0
	.amdhsa_kernel _ZN9rocsparseL41csrgemm_numeric_fill_block_per_row_kernelILj512ELj32ELj1024ELj137ELj32ElidEEvT5_PKS1_S3_NS_24const_host_device_scalarIT6_EEPKT4_S3_PKS5_S9_S3_SB_S6_S9_S3_SB_S9_S3_PS5_21rocsparse_index_base_SD_SD_SD_bbb
		.amdhsa_group_segment_fixed_size 0
		.amdhsa_private_segment_fixed_size 0
		.amdhsa_kernarg_size 156
		.amdhsa_user_sgpr_count 2
		.amdhsa_user_sgpr_dispatch_ptr 0
		.amdhsa_user_sgpr_queue_ptr 0
		.amdhsa_user_sgpr_kernarg_segment_ptr 1
		.amdhsa_user_sgpr_dispatch_id 0
		.amdhsa_user_sgpr_kernarg_preload_length 0
		.amdhsa_user_sgpr_kernarg_preload_offset 0
		.amdhsa_user_sgpr_private_segment_size 0
		.amdhsa_uses_dynamic_stack 0
		.amdhsa_enable_private_segment 0
		.amdhsa_system_sgpr_workgroup_id_x 1
		.amdhsa_system_sgpr_workgroup_id_y 0
		.amdhsa_system_sgpr_workgroup_id_z 0
		.amdhsa_system_sgpr_workgroup_info 0
		.amdhsa_system_vgpr_workitem_id 0
		.amdhsa_next_free_vgpr 30
		.amdhsa_next_free_sgpr 51
		.amdhsa_accum_offset 32
		.amdhsa_reserve_vcc 1
		.amdhsa_float_round_mode_32 0
		.amdhsa_float_round_mode_16_64 0
		.amdhsa_float_denorm_mode_32 3
		.amdhsa_float_denorm_mode_16_64 3
		.amdhsa_dx10_clamp 1
		.amdhsa_ieee_mode 1
		.amdhsa_fp16_overflow 0
		.amdhsa_tg_split 0
		.amdhsa_exception_fp_ieee_invalid_op 0
		.amdhsa_exception_fp_denorm_src 0
		.amdhsa_exception_fp_ieee_div_zero 0
		.amdhsa_exception_fp_ieee_overflow 0
		.amdhsa_exception_fp_ieee_underflow 0
		.amdhsa_exception_fp_ieee_inexact 0
		.amdhsa_exception_int_div_zero 0
	.end_amdhsa_kernel
	.section	.text._ZN9rocsparseL41csrgemm_numeric_fill_block_per_row_kernelILj512ELj32ELj1024ELj137ELj32ElidEEvT5_PKS1_S3_NS_24const_host_device_scalarIT6_EEPKT4_S3_PKS5_S9_S3_SB_S6_S9_S3_SB_S9_S3_PS5_21rocsparse_index_base_SD_SD_SD_bbb,"axG",@progbits,_ZN9rocsparseL41csrgemm_numeric_fill_block_per_row_kernelILj512ELj32ELj1024ELj137ELj32ElidEEvT5_PKS1_S3_NS_24const_host_device_scalarIT6_EEPKT4_S3_PKS5_S9_S3_SB_S6_S9_S3_SB_S9_S3_PS5_21rocsparse_index_base_SD_SD_SD_bbb,comdat
.Lfunc_end186:
	.size	_ZN9rocsparseL41csrgemm_numeric_fill_block_per_row_kernelILj512ELj32ELj1024ELj137ELj32ElidEEvT5_PKS1_S3_NS_24const_host_device_scalarIT6_EEPKT4_S3_PKS5_S9_S3_SB_S6_S9_S3_SB_S9_S3_PS5_21rocsparse_index_base_SD_SD_SD_bbb, .Lfunc_end186-_ZN9rocsparseL41csrgemm_numeric_fill_block_per_row_kernelILj512ELj32ELj1024ELj137ELj32ElidEEvT5_PKS1_S3_NS_24const_host_device_scalarIT6_EEPKT4_S3_PKS5_S9_S3_SB_S6_S9_S3_SB_S9_S3_PS5_21rocsparse_index_base_SD_SD_SD_bbb
                                        ; -- End function
	.set _ZN9rocsparseL41csrgemm_numeric_fill_block_per_row_kernelILj512ELj32ELj1024ELj137ELj32ElidEEvT5_PKS1_S3_NS_24const_host_device_scalarIT6_EEPKT4_S3_PKS5_S9_S3_SB_S6_S9_S3_SB_S9_S3_PS5_21rocsparse_index_base_SD_SD_SD_bbb.num_vgpr, 30
	.set _ZN9rocsparseL41csrgemm_numeric_fill_block_per_row_kernelILj512ELj32ELj1024ELj137ELj32ElidEEvT5_PKS1_S3_NS_24const_host_device_scalarIT6_EEPKT4_S3_PKS5_S9_S3_SB_S6_S9_S3_SB_S9_S3_PS5_21rocsparse_index_base_SD_SD_SD_bbb.num_agpr, 0
	.set _ZN9rocsparseL41csrgemm_numeric_fill_block_per_row_kernelILj512ELj32ELj1024ELj137ELj32ElidEEvT5_PKS1_S3_NS_24const_host_device_scalarIT6_EEPKT4_S3_PKS5_S9_S3_SB_S6_S9_S3_SB_S9_S3_PS5_21rocsparse_index_base_SD_SD_SD_bbb.numbered_sgpr, 51
	.set _ZN9rocsparseL41csrgemm_numeric_fill_block_per_row_kernelILj512ELj32ELj1024ELj137ELj32ElidEEvT5_PKS1_S3_NS_24const_host_device_scalarIT6_EEPKT4_S3_PKS5_S9_S3_SB_S6_S9_S3_SB_S9_S3_PS5_21rocsparse_index_base_SD_SD_SD_bbb.num_named_barrier, 0
	.set _ZN9rocsparseL41csrgemm_numeric_fill_block_per_row_kernelILj512ELj32ELj1024ELj137ELj32ElidEEvT5_PKS1_S3_NS_24const_host_device_scalarIT6_EEPKT4_S3_PKS5_S9_S3_SB_S6_S9_S3_SB_S9_S3_PS5_21rocsparse_index_base_SD_SD_SD_bbb.private_seg_size, 0
	.set _ZN9rocsparseL41csrgemm_numeric_fill_block_per_row_kernelILj512ELj32ELj1024ELj137ELj32ElidEEvT5_PKS1_S3_NS_24const_host_device_scalarIT6_EEPKT4_S3_PKS5_S9_S3_SB_S6_S9_S3_SB_S9_S3_PS5_21rocsparse_index_base_SD_SD_SD_bbb.uses_vcc, 1
	.set _ZN9rocsparseL41csrgemm_numeric_fill_block_per_row_kernelILj512ELj32ELj1024ELj137ELj32ElidEEvT5_PKS1_S3_NS_24const_host_device_scalarIT6_EEPKT4_S3_PKS5_S9_S3_SB_S6_S9_S3_SB_S9_S3_PS5_21rocsparse_index_base_SD_SD_SD_bbb.uses_flat_scratch, 0
	.set _ZN9rocsparseL41csrgemm_numeric_fill_block_per_row_kernelILj512ELj32ELj1024ELj137ELj32ElidEEvT5_PKS1_S3_NS_24const_host_device_scalarIT6_EEPKT4_S3_PKS5_S9_S3_SB_S6_S9_S3_SB_S9_S3_PS5_21rocsparse_index_base_SD_SD_SD_bbb.has_dyn_sized_stack, 0
	.set _ZN9rocsparseL41csrgemm_numeric_fill_block_per_row_kernelILj512ELj32ELj1024ELj137ELj32ElidEEvT5_PKS1_S3_NS_24const_host_device_scalarIT6_EEPKT4_S3_PKS5_S9_S3_SB_S6_S9_S3_SB_S9_S3_PS5_21rocsparse_index_base_SD_SD_SD_bbb.has_recursion, 0
	.set _ZN9rocsparseL41csrgemm_numeric_fill_block_per_row_kernelILj512ELj32ELj1024ELj137ELj32ElidEEvT5_PKS1_S3_NS_24const_host_device_scalarIT6_EEPKT4_S3_PKS5_S9_S3_SB_S6_S9_S3_SB_S9_S3_PS5_21rocsparse_index_base_SD_SD_SD_bbb.has_indirect_call, 0
	.section	.AMDGPU.csdata,"",@progbits
; Kernel info:
; codeLenInByte = 3048
; TotalNumSgprs: 57
; NumVgprs: 30
; NumAgprs: 0
; TotalNumVgprs: 30
; ScratchSize: 0
; MemoryBound: 0
; FloatMode: 240
; IeeeMode: 1
; LDSByteSize: 0 bytes/workgroup (compile time only)
; SGPRBlocks: 7
; VGPRBlocks: 3
; NumSGPRsForWavesPerEU: 57
; NumVGPRsForWavesPerEU: 30
; AccumOffset: 32
; Occupancy: 8
; WaveLimiterHint : 1
; COMPUTE_PGM_RSRC2:SCRATCH_EN: 0
; COMPUTE_PGM_RSRC2:USER_SGPR: 2
; COMPUTE_PGM_RSRC2:TRAP_HANDLER: 0
; COMPUTE_PGM_RSRC2:TGID_X_EN: 1
; COMPUTE_PGM_RSRC2:TGID_Y_EN: 0
; COMPUTE_PGM_RSRC2:TGID_Z_EN: 0
; COMPUTE_PGM_RSRC2:TIDIG_COMP_CNT: 0
; COMPUTE_PGM_RSRC3_GFX90A:ACCUM_OFFSET: 7
; COMPUTE_PGM_RSRC3_GFX90A:TG_SPLIT: 0
	.section	.text._ZN9rocsparseL41csrgemm_numeric_fill_block_per_row_kernelILj512ELj32ELj1024ELj137ELj64ElidEEvT5_PKS1_S3_NS_24const_host_device_scalarIT6_EEPKT4_S3_PKS5_S9_S3_SB_S6_S9_S3_SB_S9_S3_PS5_21rocsparse_index_base_SD_SD_SD_bbb,"axG",@progbits,_ZN9rocsparseL41csrgemm_numeric_fill_block_per_row_kernelILj512ELj32ELj1024ELj137ELj64ElidEEvT5_PKS1_S3_NS_24const_host_device_scalarIT6_EEPKT4_S3_PKS5_S9_S3_SB_S6_S9_S3_SB_S9_S3_PS5_21rocsparse_index_base_SD_SD_SD_bbb,comdat
	.globl	_ZN9rocsparseL41csrgemm_numeric_fill_block_per_row_kernelILj512ELj32ELj1024ELj137ELj64ElidEEvT5_PKS1_S3_NS_24const_host_device_scalarIT6_EEPKT4_S3_PKS5_S9_S3_SB_S6_S9_S3_SB_S9_S3_PS5_21rocsparse_index_base_SD_SD_SD_bbb ; -- Begin function _ZN9rocsparseL41csrgemm_numeric_fill_block_per_row_kernelILj512ELj32ELj1024ELj137ELj64ElidEEvT5_PKS1_S3_NS_24const_host_device_scalarIT6_EEPKT4_S3_PKS5_S9_S3_SB_S6_S9_S3_SB_S9_S3_PS5_21rocsparse_index_base_SD_SD_SD_bbb
	.p2align	8
	.type	_ZN9rocsparseL41csrgemm_numeric_fill_block_per_row_kernelILj512ELj32ELj1024ELj137ELj64ElidEEvT5_PKS1_S3_NS_24const_host_device_scalarIT6_EEPKT4_S3_PKS5_S9_S3_SB_S6_S9_S3_SB_S9_S3_PS5_21rocsparse_index_base_SD_SD_SD_bbb,@function
_ZN9rocsparseL41csrgemm_numeric_fill_block_per_row_kernelILj512ELj32ELj1024ELj137ELj64ElidEEvT5_PKS1_S3_NS_24const_host_device_scalarIT6_EEPKT4_S3_PKS5_S9_S3_SB_S6_S9_S3_SB_S9_S3_PS5_21rocsparse_index_base_SD_SD_SD_bbb: ; @_ZN9rocsparseL41csrgemm_numeric_fill_block_per_row_kernelILj512ELj32ELj1024ELj137ELj64ElidEEvT5_PKS1_S3_NS_24const_host_device_scalarIT6_EEPKT4_S3_PKS5_S9_S3_SB_S6_S9_S3_SB_S9_S3_PS5_21rocsparse_index_base_SD_SD_SD_bbb
; %bb.0:
	s_load_dword s3, s[0:1], 0x98
	s_load_dwordx4 s[20:23], s[0:1], 0x88
	s_load_dwordx2 s[4:5], s[0:1], 0x18
	s_load_dwordx2 s[40:41], s[0:1], 0x50
	s_waitcnt lgkmcnt(0)
	s_bitcmp1_b32 s3, 0
	s_cselect_b64 s[38:39], -1, 0
	s_bitcmp1_b32 s3, 16
	s_cselect_b64 s[42:43], -1, 0
	s_xor_b64 s[6:7], s[38:39], -1
	s_or_b64 s[6:7], s[42:43], s[6:7]
	s_and_b64 s[8:9], s[38:39], exec
	s_cselect_b32 s9, s5, 0
	s_cselect_b32 s8, s4, 0
	s_and_b64 vcc, exec, s[6:7]
	v_mov_b64_e32 v[4:5], s[8:9]
	s_cbranch_vccnz .LBB187_2
; %bb.1:
	v_mov_b64_e32 v[2:3], s[4:5]
	flat_load_dwordx2 v[4:5], v[2:3]
.LBB187_2:
	s_load_dwordx2 s[34:35], s[0:1], 0x80
	s_load_dwordx8 s[12:19], s[0:1], 0x58
	s_load_dwordx4 s[24:27], s[0:1], 0x40
	s_load_dwordx4 s[28:31], s[0:1], 0x8
	s_load_dwordx8 s[4:11], s[0:1], 0x20
	s_bitcmp1_b32 s3, 8
	s_cselect_b64 s[36:37], -1, 0
	s_xor_b64 s[44:45], s[36:37], -1
	s_or_b64 s[42:43], s[42:43], s[44:45]
	s_and_b64 s[44:45], s[36:37], exec
	s_cselect_b32 s45, s41, 0
	s_cselect_b32 s44, s40, 0
	s_and_b64 vcc, exec, s[42:43]
	v_mov_b64_e32 v[2:3], s[44:45]
	s_cbranch_vccnz .LBB187_4
; %bb.3:
	v_mov_b64_e32 v[2:3], s[40:41]
	flat_load_dwordx2 v[2:3], v[2:3]
.LBB187_4:
	s_load_dword s33, s[0:1], 0x0
	v_lshl_add_u32 v1, v0, 3, 0
	v_mov_b32_e32 v6, 0
	v_add_u32_e32 v1, 0x1000, v1
	v_or_b32_e32 v18, 0xfffffe00, v0
	v_lshl_add_u32 v19, v0, 2, 0
	s_mov_b64 s[0:1], 0
	s_waitcnt lgkmcnt(0)
	v_mov_b32_e32 v11, s33
	v_mov_b32_e32 v7, v6
	;; [unrolled: 1-line block ×5, first 2 shown]
.LBB187_5:                              ; =>This Inner Loop Header: Depth=1
	v_add_co_u32_e32 v9, vcc, 0x200, v9
	s_xor_b64 s[40:41], vcc, -1
	s_and_b64 s[40:41], exec, s[40:41]
	ds_write_b32 v8, v11
	ds_write_b64 v10, v[6:7]
	v_add_u32_e32 v10, 0x1000, v10
	s_or_b64 s[0:1], s[40:41], s[0:1]
	v_add_u32_e32 v8, 0x800, v8
	s_andn2_b64 exec, exec, s[0:1]
	s_cbranch_execnz .LBB187_5
; %bb.6:
	s_or_b64 exec, exec, s[0:1]
	s_waitcnt lgkmcnt(0)
	s_barrier
	s_load_dword s0, s[28:29], 0x0
	s_mov_b32 s1, 0
	s_waitcnt lgkmcnt(0)
	s_add_i32 s0, s0, s2
	s_lshl_b64 s[0:1], s[0:1], 2
	s_add_u32 s0, s30, s0
	s_addc_u32 s1, s31, s1
	s_load_dword s28, s[0:1], 0x0
	s_and_b64 vcc, exec, s[38:39]
	s_cbranch_vccz .LBB187_24
; %bb.7:
	s_waitcnt lgkmcnt(0)
	s_ashr_i32 s29, s28, 31
	s_lshl_b64 s[0:1], s[28:29], 3
	s_add_u32 s0, s4, s0
	s_addc_u32 s1, s5, s1
	s_load_dwordx4 s[40:43], s[0:1], 0x0
	v_lshrrev_b32_e32 v6, 5, v0
	v_subrev_co_u32_e32 v6, vcc, s20, v6
	s_waitcnt lgkmcnt(0)
	s_sub_u32 s0, s42, s20
	v_subb_co_u32_e64 v7, s[2:3], 0, 0, vcc
	s_subb_u32 s1, s43, 0
	v_lshl_add_u64 v[6:7], s[40:41], 0, v[6:7]
	v_cmp_gt_i64_e32 vcc, s[0:1], v[6:7]
	s_and_saveexec_b64 s[2:3], vcc
	s_cbranch_execz .LBB187_23
; %bb.8:
	v_and_b32_e32 v8, 31, v0
	v_subrev_co_u32_e32 v8, vcc, s21, v8
	s_mov_b32 s29, s21
	s_nop 0
	v_subb_co_u32_e64 v9, s[4:5], 0, 0, vcc
	s_mov_b64 s[4:5], 0
	s_movk_i32 s50, 0x89
	s_branch .LBB187_10
.LBB187_9:                              ;   in Loop: Header=BB187_10 Depth=1
	s_or_b64 exec, exec, s[30:31]
	v_lshl_add_u64 v[6:7], v[6:7], 0, 16
	v_cmp_le_i64_e32 vcc, s[0:1], v[6:7]
	s_or_b64 s[4:5], vcc, s[4:5]
	s_andn2_b64 exec, exec, s[4:5]
	s_cbranch_execz .LBB187_23
.LBB187_10:                             ; =>This Loop Header: Depth=1
                                        ;     Child Loop BB187_14 Depth 2
                                        ;       Child Loop BB187_17 Depth 3
	v_lshl_add_u64 v[10:11], v[6:7], 2, s[6:7]
	global_load_dword v10, v[10:11], off
	s_waitcnt vmcnt(0)
	v_subrev_u32_e32 v10, s20, v10
	v_ashrrev_i32_e32 v11, 31, v10
	v_lshl_add_u64 v[10:11], v[10:11], 3, s[10:11]
	global_load_dwordx4 v[12:15], v[10:11], off
	s_waitcnt vmcnt(0)
	v_subrev_co_u32_e32 v10, vcc, s29, v14
	s_nop 1
	v_subbrev_co_u32_e32 v11, vcc, 0, v15, vcc
	v_lshl_add_u64 v[12:13], v[12:13], 0, v[8:9]
	v_cmp_lt_i64_e32 vcc, v[12:13], v[10:11]
	s_and_saveexec_b64 s[30:31], vcc
	s_cbranch_execz .LBB187_9
; %bb.11:                               ;   in Loop: Header=BB187_10 Depth=1
	v_lshl_add_u64 v[14:15], v[6:7], 3, s[8:9]
	global_load_dwordx2 v[14:15], v[14:15], off
	s_mov_b64 s[38:39], 0
	s_waitcnt vmcnt(0)
	v_mul_f64 v[14:15], v[4:5], v[14:15]
	s_branch .LBB187_14
.LBB187_12:                             ;   in Loop: Header=BB187_14 Depth=2
	s_or_b64 exec, exec, s[42:43]
.LBB187_13:                             ;   in Loop: Header=BB187_14 Depth=2
	s_or_b64 exec, exec, s[40:41]
	s_waitcnt vmcnt(0)
	v_mul_f64 v[16:17], v[14:15], v[16:17]
	v_lshl_add_u32 v20, v20, 3, 0
	ds_add_f64 v20, v[16:17] offset:4096
	v_lshl_add_u64 v[12:13], v[12:13], 0, 32
	v_cmp_ge_i64_e32 vcc, v[12:13], v[10:11]
	s_or_b64 s[38:39], vcc, s[38:39]
	s_andn2_b64 exec, exec, s[38:39]
	s_cbranch_execz .LBB187_9
.LBB187_14:                             ;   Parent Loop BB187_10 Depth=1
                                        ; =>  This Loop Header: Depth=2
                                        ;       Child Loop BB187_17 Depth 3
	v_lshl_add_u64 v[16:17], v[12:13], 2, s[24:25]
	global_load_dword v20, v[16:17], off
	v_lshl_add_u64 v[16:17], v[12:13], 3, s[26:27]
	global_load_dwordx2 v[16:17], v[16:17], off
	s_waitcnt vmcnt(1)
	v_subrev_u32_e32 v21, s21, v20
	v_mul_lo_u32 v20, v21, s50
	v_and_b32_e32 v20, 0x3ff, v20
	v_lshl_add_u32 v22, v20, 2, 0
	ds_read_b32 v23, v22
	s_waitcnt lgkmcnt(0)
	v_cmp_ne_u32_e32 vcc, v23, v21
	s_and_saveexec_b64 s[40:41], vcc
	s_cbranch_execz .LBB187_13
; %bb.15:                               ;   in Loop: Header=BB187_14 Depth=2
	s_mov_b64 s[42:43], 0
	s_branch .LBB187_17
.LBB187_16:                             ;   in Loop: Header=BB187_17 Depth=3
	s_or_b64 exec, exec, s[48:49]
	s_and_b64 s[44:45], exec, s[46:47]
	s_or_b64 s[42:43], s[44:45], s[42:43]
	s_andn2_b64 exec, exec, s[42:43]
	s_cbranch_execz .LBB187_12
.LBB187_17:                             ;   Parent Loop BB187_10 Depth=1
                                        ;     Parent Loop BB187_14 Depth=2
                                        ; =>    This Inner Loop Header: Depth=3
	v_cmp_ne_u32_e32 vcc, s33, v23
	s_mov_b64 s[44:45], 0
	s_and_saveexec_b64 s[46:47], vcc
	s_xor_b64 s[46:47], exec, s[46:47]
	s_cbranch_execz .LBB187_19
; %bb.18:                               ;   in Loop: Header=BB187_17 Depth=3
	v_add_u32_e32 v20, 1, v20
	s_mov_b64 s[44:45], exec
	v_and_b32_e32 v20, 0x3ff, v20
                                        ; implicit-def: $vgpr22
	s_andn2_saveexec_b64 s[46:47], s[46:47]
	s_cbranch_execz .LBB187_21
	s_branch .LBB187_20
.LBB187_19:                             ;   in Loop: Header=BB187_17 Depth=3
	s_andn2_saveexec_b64 s[46:47], s[46:47]
	s_cbranch_execz .LBB187_21
.LBB187_20:                             ;   in Loop: Header=BB187_17 Depth=3
	v_mov_b32_e32 v23, s33
	ds_cmpst_rtn_b32 v22, v22, v23, v21
	s_andn2_b64 s[44:45], s[44:45], exec
	s_waitcnt lgkmcnt(0)
	v_cmp_ne_u32_e32 vcc, s33, v22
	s_and_b64 s[48:49], vcc, exec
	s_or_b64 s[44:45], s[44:45], s[48:49]
.LBB187_21:                             ;   in Loop: Header=BB187_17 Depth=3
	s_or_b64 exec, exec, s[46:47]
	s_mov_b64 s[46:47], -1
                                        ; implicit-def: $vgpr22
                                        ; implicit-def: $vgpr23
	s_and_saveexec_b64 s[48:49], s[44:45]
	s_cbranch_execz .LBB187_16
; %bb.22:                               ;   in Loop: Header=BB187_17 Depth=3
	v_lshl_add_u32 v22, v20, 2, 0
	ds_read_b32 v23, v22
	s_waitcnt lgkmcnt(0)
	v_cmp_eq_u32_e32 vcc, v23, v21
	s_orn2_b64 s[46:47], vcc, exec
	s_branch .LBB187_16
.LBB187_23:
	s_or_b64 exec, exec, s[2:3]
.LBB187_24:
	s_andn2_b64 vcc, exec, s[36:37]
	s_cbranch_vccnz .LBB187_39
; %bb.25:
	s_waitcnt lgkmcnt(0)
	s_ashr_i32 s29, s28, 31
	s_lshl_b64 s[0:1], s[28:29], 3
	s_add_u32 s0, s12, s0
	s_addc_u32 s1, s13, s1
	s_load_dwordx4 s[4:7], s[0:1], 0x0
	s_waitcnt vmcnt(0)
	v_subrev_co_u32_e32 v4, vcc, s23, v0
	s_nop 1
	v_subb_co_u32_e64 v5, s[0:1], 0, 0, vcc
	s_waitcnt lgkmcnt(0)
	s_sub_u32 s0, s6, s23
	s_subb_u32 s1, s7, 0
	v_lshl_add_u64 v[4:5], s[4:5], 0, v[4:5]
	v_cmp_gt_i64_e32 vcc, s[0:1], v[4:5]
	s_and_saveexec_b64 s[2:3], vcc
	s_cbranch_execz .LBB187_38
; %bb.26:
	s_mov_b64 s[4:5], 0
	s_movk_i32 s26, 0x89
	s_mov_b64 s[6:7], 0x200
	s_branch .LBB187_29
.LBB187_27:                             ;   in Loop: Header=BB187_29 Depth=1
	s_or_b64 exec, exec, s[10:11]
.LBB187_28:                             ;   in Loop: Header=BB187_29 Depth=1
	s_or_b64 exec, exec, s[8:9]
	s_waitcnt vmcnt(0)
	v_mul_f64 v[6:7], v[2:3], v[6:7]
	v_lshl_add_u32 v8, v8, 3, 0
	ds_add_f64 v8, v[6:7] offset:4096
	v_lshl_add_u64 v[4:5], v[4:5], 0, s[6:7]
	v_cmp_le_i64_e32 vcc, s[0:1], v[4:5]
	s_or_b64 s[4:5], vcc, s[4:5]
	s_andn2_b64 exec, exec, s[4:5]
	s_cbranch_execz .LBB187_38
.LBB187_29:                             ; =>This Loop Header: Depth=1
                                        ;     Child Loop BB187_32 Depth 2
	v_lshl_add_u64 v[6:7], v[4:5], 2, s[14:15]
	global_load_dword v8, v[6:7], off
	v_lshl_add_u64 v[6:7], v[4:5], 3, s[16:17]
	global_load_dwordx2 v[6:7], v[6:7], off
	s_waitcnt vmcnt(1)
	v_subrev_u32_e32 v9, s23, v8
	v_mul_lo_u32 v8, v9, s26
	v_and_b32_e32 v8, 0x3ff, v8
	v_lshl_add_u32 v10, v8, 2, 0
	ds_read_b32 v11, v10
	s_waitcnt lgkmcnt(0)
	v_cmp_ne_u32_e32 vcc, v11, v9
	s_and_saveexec_b64 s[8:9], vcc
	s_cbranch_execz .LBB187_28
; %bb.30:                               ;   in Loop: Header=BB187_29 Depth=1
	s_mov_b64 s[10:11], 0
	s_branch .LBB187_32
.LBB187_31:                             ;   in Loop: Header=BB187_32 Depth=2
	s_or_b64 exec, exec, s[24:25]
	s_and_b64 s[12:13], exec, s[20:21]
	s_or_b64 s[10:11], s[12:13], s[10:11]
	s_andn2_b64 exec, exec, s[10:11]
	s_cbranch_execz .LBB187_27
.LBB187_32:                             ;   Parent Loop BB187_29 Depth=1
                                        ; =>  This Inner Loop Header: Depth=2
	v_cmp_ne_u32_e32 vcc, s33, v11
	s_mov_b64 s[12:13], 0
	s_and_saveexec_b64 s[20:21], vcc
	s_xor_b64 s[20:21], exec, s[20:21]
	s_cbranch_execz .LBB187_34
; %bb.33:                               ;   in Loop: Header=BB187_32 Depth=2
	v_add_u32_e32 v8, 1, v8
	s_mov_b64 s[12:13], exec
	v_and_b32_e32 v8, 0x3ff, v8
                                        ; implicit-def: $vgpr10
	s_andn2_saveexec_b64 s[20:21], s[20:21]
	s_cbranch_execz .LBB187_36
	s_branch .LBB187_35
.LBB187_34:                             ;   in Loop: Header=BB187_32 Depth=2
	s_andn2_saveexec_b64 s[20:21], s[20:21]
	s_cbranch_execz .LBB187_36
.LBB187_35:                             ;   in Loop: Header=BB187_32 Depth=2
	v_mov_b32_e32 v11, s33
	ds_cmpst_rtn_b32 v10, v10, v11, v9
	s_andn2_b64 s[12:13], s[12:13], exec
	s_waitcnt lgkmcnt(0)
	v_cmp_ne_u32_e32 vcc, s33, v10
	s_and_b64 s[24:25], vcc, exec
	s_or_b64 s[12:13], s[12:13], s[24:25]
.LBB187_36:                             ;   in Loop: Header=BB187_32 Depth=2
	s_or_b64 exec, exec, s[20:21]
	s_mov_b64 s[20:21], -1
                                        ; implicit-def: $vgpr10
                                        ; implicit-def: $vgpr11
	s_and_saveexec_b64 s[24:25], s[12:13]
	s_cbranch_execz .LBB187_31
; %bb.37:                               ;   in Loop: Header=BB187_32 Depth=2
	v_lshl_add_u32 v10, v8, 2, 0
	ds_read_b32 v11, v10
	s_waitcnt lgkmcnt(0)
	v_cmp_eq_u32_e32 vcc, v11, v9
	s_orn2_b64 s[20:21], vcc, exec
	s_branch .LBB187_31
.LBB187_38:
	s_or_b64 exec, exec, s[2:3]
.LBB187_39:
	s_waitcnt vmcnt(0)
	v_mbcnt_lo_u32_b32 v2, -1, 0
	v_mbcnt_hi_u32_b32 v2, -1, v2
	v_lshrrev_b32_e32 v4, 4, v0
	v_sub_u32_e32 v2, 63, v2
	v_and_b32_e32 v4, 28, v4
	s_movk_i32 s0, 0x1ff
	s_movk_i32 s4, 0x7f
	;; [unrolled: 1-line block ×7, first 2 shown]
	v_mov_b32_e32 v6, 0
	v_lshrrev_b64 v[2:3], v2, -1
	v_add_u32_e32 v7, 0, v4
	v_cmp_eq_u32_e64 s[0:1], s0, v0
	v_cmp_lt_u32_e64 s[2:3], 63, v0
	v_cmp_lt_u32_e64 s[4:5], s4, v0
	v_cmp_lt_u32_e64 s[6:7], s6, v0
	v_cmp_lt_u32_e64 s[8:9], s8, v0
	v_cmp_lt_u32_e64 s[10:11], s10, v0
	v_cmp_lt_u32_e64 s[12:13], s12, v0
	v_cmp_lt_u32_e64 s[14:15], s14, v0
	s_mov_b64 s[16:17], 0
	v_mov_b32_e32 v8, 0
	s_waitcnt lgkmcnt(0)
	s_barrier
	s_branch .LBB187_41
.LBB187_40:                             ;   in Loop: Header=BB187_41 Depth=1
	s_or_b64 exec, exec, s[20:21]
	s_waitcnt lgkmcnt(0)
	s_barrier
	ds_read_b32 v4, v6 offset:12316
	v_add_co_u32_e32 v18, vcc, 0x200, v18
	s_xor_b64 s[20:21], vcc, -1
	s_and_b64 s[20:21], exec, s[20:21]
	v_add_u32_e32 v1, 0x1000, v1
	s_waitcnt lgkmcnt(0)
	v_add_u32_e32 v8, v4, v8
	s_or_b64 s[16:17], s[20:21], s[16:17]
	v_add_u32_e32 v19, 0x800, v19
	s_andn2_b64 exec, exec, s[16:17]
	s_cbranch_execz .LBB187_59
.LBB187_41:                             ; =>This Inner Loop Header: Depth=1
	ds_read_b32 v9, v19
	ds_read_b64 v[4:5], v1
	s_waitcnt lgkmcnt(0)
	s_barrier
	v_cmp_gt_i32_e32 vcc, s33, v9
	s_bcnt1_i32_b64 s20, vcc
	s_nop 0
	v_and_b32_e32 v11, vcc_lo, v2
	v_and_b32_e32 v10, vcc_hi, v3
	v_bcnt_u32_b32 v11, v11, 0
	v_bcnt_u32_b32 v10, v10, v11
	v_mov_b32_e32 v11, s20
	ds_write_b32 v7, v11 offset:12288
	s_waitcnt lgkmcnt(0)
	s_barrier
	s_and_saveexec_b64 s[20:21], s[2:3]
	s_cbranch_execz .LBB187_50
; %bb.42:                               ;   in Loop: Header=BB187_41 Depth=1
	ds_read_b32 v11, v6 offset:12288
	s_waitcnt lgkmcnt(0)
	v_add_u32_e32 v10, v11, v10
	s_or_b64 exec, exec, s[20:21]
	s_and_saveexec_b64 s[20:21], s[4:5]
	s_cbranch_execnz .LBB187_51
.LBB187_43:                             ;   in Loop: Header=BB187_41 Depth=1
	s_or_b64 exec, exec, s[20:21]
	s_and_saveexec_b64 s[20:21], s[6:7]
	s_cbranch_execz .LBB187_52
.LBB187_44:                             ;   in Loop: Header=BB187_41 Depth=1
	ds_read_b32 v11, v6 offset:12296
	s_waitcnt lgkmcnt(0)
	v_add_u32_e32 v10, v11, v10
	s_or_b64 exec, exec, s[20:21]
	s_and_saveexec_b64 s[20:21], s[8:9]
	s_cbranch_execnz .LBB187_53
.LBB187_45:                             ;   in Loop: Header=BB187_41 Depth=1
	s_or_b64 exec, exec, s[20:21]
	s_and_saveexec_b64 s[20:21], s[10:11]
	s_cbranch_execz .LBB187_54
.LBB187_46:                             ;   in Loop: Header=BB187_41 Depth=1
	ds_read_b32 v11, v6 offset:12304
	s_waitcnt lgkmcnt(0)
	v_add_u32_e32 v10, v11, v10
	s_or_b64 exec, exec, s[20:21]
	s_and_saveexec_b64 s[20:21], s[12:13]
	s_cbranch_execnz .LBB187_55
.LBB187_47:                             ;   in Loop: Header=BB187_41 Depth=1
	s_or_b64 exec, exec, s[20:21]
	s_and_saveexec_b64 s[20:21], s[14:15]
	s_cbranch_execz .LBB187_56
.LBB187_48:                             ;   in Loop: Header=BB187_41 Depth=1
	ds_read_b32 v11, v6 offset:12312
	s_waitcnt lgkmcnt(0)
	v_add_u32_e32 v10, v11, v10
	s_or_b64 exec, exec, s[20:21]
	s_and_saveexec_b64 s[20:21], vcc
	s_cbranch_execnz .LBB187_57
.LBB187_49:                             ;   in Loop: Header=BB187_41 Depth=1
	s_or_b64 exec, exec, s[20:21]
	s_and_saveexec_b64 s[20:21], s[0:1]
	s_cbranch_execz .LBB187_40
	s_branch .LBB187_58
.LBB187_50:                             ;   in Loop: Header=BB187_41 Depth=1
	s_or_b64 exec, exec, s[20:21]
	s_and_saveexec_b64 s[20:21], s[4:5]
	s_cbranch_execz .LBB187_43
.LBB187_51:                             ;   in Loop: Header=BB187_41 Depth=1
	ds_read_b32 v11, v6 offset:12292
	s_waitcnt lgkmcnt(0)
	v_add_u32_e32 v10, v11, v10
	s_or_b64 exec, exec, s[20:21]
	s_and_saveexec_b64 s[20:21], s[6:7]
	s_cbranch_execnz .LBB187_44
.LBB187_52:                             ;   in Loop: Header=BB187_41 Depth=1
	s_or_b64 exec, exec, s[20:21]
	s_and_saveexec_b64 s[20:21], s[8:9]
	s_cbranch_execz .LBB187_45
.LBB187_53:                             ;   in Loop: Header=BB187_41 Depth=1
	ds_read_b32 v11, v6 offset:12300
	s_waitcnt lgkmcnt(0)
	v_add_u32_e32 v10, v11, v10
	s_or_b64 exec, exec, s[20:21]
	s_and_saveexec_b64 s[20:21], s[10:11]
	s_cbranch_execnz .LBB187_46
.LBB187_54:                             ;   in Loop: Header=BB187_41 Depth=1
	s_or_b64 exec, exec, s[20:21]
	s_and_saveexec_b64 s[20:21], s[12:13]
	s_cbranch_execz .LBB187_47
.LBB187_55:                             ;   in Loop: Header=BB187_41 Depth=1
	ds_read_b32 v11, v6 offset:12308
	s_waitcnt lgkmcnt(0)
	v_add_u32_e32 v10, v11, v10
	s_or_b64 exec, exec, s[20:21]
	s_and_saveexec_b64 s[20:21], s[14:15]
	s_cbranch_execnz .LBB187_48
.LBB187_56:                             ;   in Loop: Header=BB187_41 Depth=1
	s_or_b64 exec, exec, s[20:21]
	s_and_saveexec_b64 s[20:21], vcc
	s_cbranch_execz .LBB187_49
.LBB187_57:                             ;   in Loop: Header=BB187_41 Depth=1
	v_add3_u32 v11, v8, -1, v10
	v_lshl_add_u32 v11, v11, 2, 0
	v_add_u32_e32 v12, v8, v10
	v_lshl_add_u32 v12, v12, 3, 0
	ds_write_b32 v11, v9
	ds_write_b64 v12, v[4:5] offset:4088
	s_or_b64 exec, exec, s[20:21]
	s_and_saveexec_b64 s[20:21], s[0:1]
	s_cbranch_execz .LBB187_40
.LBB187_58:                             ;   in Loop: Header=BB187_41 Depth=1
	ds_write_b32 v6, v10 offset:12316
	s_branch .LBB187_40
.LBB187_59:
	s_or_b64 exec, exec, s[16:17]
	s_ashr_i32 s29, s28, 31
	s_lshl_b64 s[0:1], s[28:29], 3
	s_add_u32 s4, s18, s0
	s_addc_u32 s5, s19, s1
	s_load_dwordx4 s[0:3], s[4:5], 0x0
	s_waitcnt lgkmcnt(0)
	s_sub_i32 s8, s2, s0
	v_cmp_gt_i32_e32 vcc, s8, v0
	s_and_saveexec_b64 s[4:5], vcc
	s_cbranch_execz .LBB187_69
; %bb.60:
	s_sub_u32 s4, s0, s22
	s_subb_u32 s5, s1, 0
	s_and_b32 s10, s8, 7
	s_sub_i32 s0, s0, s2
	s_cmp_lt_u32 s0, -7
	s_cselect_b64 s[0:1], -1, 0
	s_and_b32 s11, s8, -8
	s_cmp_lg_u32 s10, 0
	v_cndmask_b32_e64 v1, 0, 1, s[0:1]
	s_cselect_b64 s[2:3], -1, 0
	v_cmp_ne_u32_e64 s[0:1], 1, v1
	v_cndmask_b32_e64 v1, 0, 1, s[2:3]
	s_mov_b32 s9, 0
	s_mov_b64 s[6:7], 0
	v_cmp_ne_u32_e64 s[2:3], 1, v1
	s_branch .LBB187_62
.LBB187_61:                             ;   in Loop: Header=BB187_62 Depth=1
	v_add_u32_e32 v0, 0x200, v0
	v_cmp_le_i32_e32 vcc, s8, v0
	v_lshl_add_u64 v[4:5], v[4:5], 3, s[34:35]
	s_or_b64 s[6:7], vcc, s[6:7]
	s_waitcnt lgkmcnt(0)
	global_store_dwordx2 v[4:5], v[2:3], off
	s_andn2_b64 exec, exec, s[6:7]
	s_cbranch_execz .LBB187_69
.LBB187_62:                             ; =>This Loop Header: Depth=1
                                        ;     Child Loop BB187_64 Depth 2
                                        ;     Child Loop BB187_68 Depth 2
	v_lshlrev_b32_e32 v1, 2, v0
	v_add_u32_e32 v2, 0, v1
	v_add_u32_e32 v3, v2, v1
	ds_read_b32 v1, v2
	ds_read_b64 v[2:3], v3 offset:4096
	s_and_b64 vcc, exec, s[0:1]
	v_mov_b64_e32 v[4:5], s[4:5]
	s_mov_b32 s12, 0
	s_cbranch_vccnz .LBB187_66
; %bb.63:                               ;   in Loop: Header=BB187_62 Depth=1
	s_mov_b32 s13, 0
	v_mov_b64_e32 v[4:5], s[4:5]
.LBB187_64:                             ;   Parent Loop BB187_62 Depth=1
                                        ; =>  This Inner Loop Header: Depth=2
	v_mov_b32_e32 v6, s13
	ds_read2_b32 v[22:23], v6 offset1:1
	ds_read2_b32 v[24:25], v6 offset0:2 offset1:3
	ds_read2_b32 v[26:27], v6 offset0:4 offset1:5
	;; [unrolled: 1-line block ×3, first 2 shown]
	v_mov_b32_e32 v7, s9
	s_waitcnt lgkmcnt(3)
	v_cmp_gt_i32_e32 vcc, v1, v22
	v_mov_b32_e32 v9, s9
	v_mov_b32_e32 v11, s9
	v_cndmask_b32_e64 v6, 0, 1, vcc
	v_cmp_gt_i32_e32 vcc, v1, v23
	v_lshl_add_u64 v[4:5], v[4:5], 0, v[6:7]
	v_mov_b32_e32 v13, s9
	v_cndmask_b32_e64 v8, 0, 1, vcc
	s_waitcnt lgkmcnt(2)
	v_cmp_gt_i32_e32 vcc, v1, v24
	v_lshl_add_u64 v[4:5], v[4:5], 0, v[8:9]
	v_mov_b32_e32 v15, s9
	v_cndmask_b32_e64 v10, 0, 1, vcc
	v_cmp_gt_i32_e32 vcc, v1, v25
	v_lshl_add_u64 v[4:5], v[4:5], 0, v[10:11]
	v_mov_b32_e32 v17, s9
	v_cndmask_b32_e64 v12, 0, 1, vcc
	s_waitcnt lgkmcnt(1)
	v_cmp_gt_i32_e32 vcc, v1, v26
	v_lshl_add_u64 v[4:5], v[4:5], 0, v[12:13]
	;; [unrolled: 9-line block ×3, first 2 shown]
	s_add_i32 s12, s12, 8
	v_cndmask_b32_e64 v18, 0, 1, vcc
	v_cmp_gt_i32_e32 vcc, v1, v29
	s_add_i32 s13, s13, 32
	v_lshl_add_u64 v[4:5], v[4:5], 0, v[18:19]
	v_cndmask_b32_e64 v20, 0, 1, vcc
	s_cmp_eq_u32 s11, s12
	v_lshl_add_u64 v[4:5], v[4:5], 0, v[20:21]
	s_cbranch_scc0 .LBB187_64
; %bb.65:                               ;   in Loop: Header=BB187_62 Depth=1
	s_mov_b32 s12, s11
.LBB187_66:                             ;   in Loop: Header=BB187_62 Depth=1
	s_and_b64 vcc, exec, s[2:3]
	s_cbranch_vccnz .LBB187_61
; %bb.67:                               ;   in Loop: Header=BB187_62 Depth=1
	s_lshl_b32 s12, s12, 2
	s_add_i32 s12, s12, 0
	s_mov_b32 s13, s10
.LBB187_68:                             ;   Parent Loop BB187_62 Depth=1
                                        ; =>  This Inner Loop Header: Depth=2
	v_mov_b32_e32 v6, s12
	ds_read_b32 v6, v6
	v_mov_b32_e32 v7, s9
	s_add_i32 s12, s12, 4
	s_add_i32 s13, s13, -1
	s_cmp_lg_u32 s13, 0
	s_waitcnt lgkmcnt(0)
	v_cmp_gt_i32_e32 vcc, v1, v6
	s_nop 1
	v_cndmask_b32_e64 v6, 0, 1, vcc
	v_lshl_add_u64 v[4:5], v[4:5], 0, v[6:7]
	s_cbranch_scc1 .LBB187_68
	s_branch .LBB187_61
.LBB187_69:
	s_endpgm
	.section	.rodata,"a",@progbits
	.p2align	6, 0x0
	.amdhsa_kernel _ZN9rocsparseL41csrgemm_numeric_fill_block_per_row_kernelILj512ELj32ELj1024ELj137ELj64ElidEEvT5_PKS1_S3_NS_24const_host_device_scalarIT6_EEPKT4_S3_PKS5_S9_S3_SB_S6_S9_S3_SB_S9_S3_PS5_21rocsparse_index_base_SD_SD_SD_bbb
		.amdhsa_group_segment_fixed_size 0
		.amdhsa_private_segment_fixed_size 0
		.amdhsa_kernarg_size 156
		.amdhsa_user_sgpr_count 2
		.amdhsa_user_sgpr_dispatch_ptr 0
		.amdhsa_user_sgpr_queue_ptr 0
		.amdhsa_user_sgpr_kernarg_segment_ptr 1
		.amdhsa_user_sgpr_dispatch_id 0
		.amdhsa_user_sgpr_kernarg_preload_length 0
		.amdhsa_user_sgpr_kernarg_preload_offset 0
		.amdhsa_user_sgpr_private_segment_size 0
		.amdhsa_uses_dynamic_stack 0
		.amdhsa_enable_private_segment 0
		.amdhsa_system_sgpr_workgroup_id_x 1
		.amdhsa_system_sgpr_workgroup_id_y 0
		.amdhsa_system_sgpr_workgroup_id_z 0
		.amdhsa_system_sgpr_workgroup_info 0
		.amdhsa_system_vgpr_workitem_id 0
		.amdhsa_next_free_vgpr 30
		.amdhsa_next_free_sgpr 51
		.amdhsa_accum_offset 32
		.amdhsa_reserve_vcc 1
		.amdhsa_float_round_mode_32 0
		.amdhsa_float_round_mode_16_64 0
		.amdhsa_float_denorm_mode_32 3
		.amdhsa_float_denorm_mode_16_64 3
		.amdhsa_dx10_clamp 1
		.amdhsa_ieee_mode 1
		.amdhsa_fp16_overflow 0
		.amdhsa_tg_split 0
		.amdhsa_exception_fp_ieee_invalid_op 0
		.amdhsa_exception_fp_denorm_src 0
		.amdhsa_exception_fp_ieee_div_zero 0
		.amdhsa_exception_fp_ieee_overflow 0
		.amdhsa_exception_fp_ieee_underflow 0
		.amdhsa_exception_fp_ieee_inexact 0
		.amdhsa_exception_int_div_zero 0
	.end_amdhsa_kernel
	.section	.text._ZN9rocsparseL41csrgemm_numeric_fill_block_per_row_kernelILj512ELj32ELj1024ELj137ELj64ElidEEvT5_PKS1_S3_NS_24const_host_device_scalarIT6_EEPKT4_S3_PKS5_S9_S3_SB_S6_S9_S3_SB_S9_S3_PS5_21rocsparse_index_base_SD_SD_SD_bbb,"axG",@progbits,_ZN9rocsparseL41csrgemm_numeric_fill_block_per_row_kernelILj512ELj32ELj1024ELj137ELj64ElidEEvT5_PKS1_S3_NS_24const_host_device_scalarIT6_EEPKT4_S3_PKS5_S9_S3_SB_S6_S9_S3_SB_S9_S3_PS5_21rocsparse_index_base_SD_SD_SD_bbb,comdat
.Lfunc_end187:
	.size	_ZN9rocsparseL41csrgemm_numeric_fill_block_per_row_kernelILj512ELj32ELj1024ELj137ELj64ElidEEvT5_PKS1_S3_NS_24const_host_device_scalarIT6_EEPKT4_S3_PKS5_S9_S3_SB_S6_S9_S3_SB_S9_S3_PS5_21rocsparse_index_base_SD_SD_SD_bbb, .Lfunc_end187-_ZN9rocsparseL41csrgemm_numeric_fill_block_per_row_kernelILj512ELj32ELj1024ELj137ELj64ElidEEvT5_PKS1_S3_NS_24const_host_device_scalarIT6_EEPKT4_S3_PKS5_S9_S3_SB_S6_S9_S3_SB_S9_S3_PS5_21rocsparse_index_base_SD_SD_SD_bbb
                                        ; -- End function
	.set _ZN9rocsparseL41csrgemm_numeric_fill_block_per_row_kernelILj512ELj32ELj1024ELj137ELj64ElidEEvT5_PKS1_S3_NS_24const_host_device_scalarIT6_EEPKT4_S3_PKS5_S9_S3_SB_S6_S9_S3_SB_S9_S3_PS5_21rocsparse_index_base_SD_SD_SD_bbb.num_vgpr, 30
	.set _ZN9rocsparseL41csrgemm_numeric_fill_block_per_row_kernelILj512ELj32ELj1024ELj137ELj64ElidEEvT5_PKS1_S3_NS_24const_host_device_scalarIT6_EEPKT4_S3_PKS5_S9_S3_SB_S6_S9_S3_SB_S9_S3_PS5_21rocsparse_index_base_SD_SD_SD_bbb.num_agpr, 0
	.set _ZN9rocsparseL41csrgemm_numeric_fill_block_per_row_kernelILj512ELj32ELj1024ELj137ELj64ElidEEvT5_PKS1_S3_NS_24const_host_device_scalarIT6_EEPKT4_S3_PKS5_S9_S3_SB_S6_S9_S3_SB_S9_S3_PS5_21rocsparse_index_base_SD_SD_SD_bbb.numbered_sgpr, 51
	.set _ZN9rocsparseL41csrgemm_numeric_fill_block_per_row_kernelILj512ELj32ELj1024ELj137ELj64ElidEEvT5_PKS1_S3_NS_24const_host_device_scalarIT6_EEPKT4_S3_PKS5_S9_S3_SB_S6_S9_S3_SB_S9_S3_PS5_21rocsparse_index_base_SD_SD_SD_bbb.num_named_barrier, 0
	.set _ZN9rocsparseL41csrgemm_numeric_fill_block_per_row_kernelILj512ELj32ELj1024ELj137ELj64ElidEEvT5_PKS1_S3_NS_24const_host_device_scalarIT6_EEPKT4_S3_PKS5_S9_S3_SB_S6_S9_S3_SB_S9_S3_PS5_21rocsparse_index_base_SD_SD_SD_bbb.private_seg_size, 0
	.set _ZN9rocsparseL41csrgemm_numeric_fill_block_per_row_kernelILj512ELj32ELj1024ELj137ELj64ElidEEvT5_PKS1_S3_NS_24const_host_device_scalarIT6_EEPKT4_S3_PKS5_S9_S3_SB_S6_S9_S3_SB_S9_S3_PS5_21rocsparse_index_base_SD_SD_SD_bbb.uses_vcc, 1
	.set _ZN9rocsparseL41csrgemm_numeric_fill_block_per_row_kernelILj512ELj32ELj1024ELj137ELj64ElidEEvT5_PKS1_S3_NS_24const_host_device_scalarIT6_EEPKT4_S3_PKS5_S9_S3_SB_S6_S9_S3_SB_S9_S3_PS5_21rocsparse_index_base_SD_SD_SD_bbb.uses_flat_scratch, 0
	.set _ZN9rocsparseL41csrgemm_numeric_fill_block_per_row_kernelILj512ELj32ELj1024ELj137ELj64ElidEEvT5_PKS1_S3_NS_24const_host_device_scalarIT6_EEPKT4_S3_PKS5_S9_S3_SB_S6_S9_S3_SB_S9_S3_PS5_21rocsparse_index_base_SD_SD_SD_bbb.has_dyn_sized_stack, 0
	.set _ZN9rocsparseL41csrgemm_numeric_fill_block_per_row_kernelILj512ELj32ELj1024ELj137ELj64ElidEEvT5_PKS1_S3_NS_24const_host_device_scalarIT6_EEPKT4_S3_PKS5_S9_S3_SB_S6_S9_S3_SB_S9_S3_PS5_21rocsparse_index_base_SD_SD_SD_bbb.has_recursion, 0
	.set _ZN9rocsparseL41csrgemm_numeric_fill_block_per_row_kernelILj512ELj32ELj1024ELj137ELj64ElidEEvT5_PKS1_S3_NS_24const_host_device_scalarIT6_EEPKT4_S3_PKS5_S9_S3_SB_S6_S9_S3_SB_S9_S3_PS5_21rocsparse_index_base_SD_SD_SD_bbb.has_indirect_call, 0
	.section	.AMDGPU.csdata,"",@progbits
; Kernel info:
; codeLenInByte = 2636
; TotalNumSgprs: 57
; NumVgprs: 30
; NumAgprs: 0
; TotalNumVgprs: 30
; ScratchSize: 0
; MemoryBound: 0
; FloatMode: 240
; IeeeMode: 1
; LDSByteSize: 0 bytes/workgroup (compile time only)
; SGPRBlocks: 7
; VGPRBlocks: 3
; NumSGPRsForWavesPerEU: 57
; NumVGPRsForWavesPerEU: 30
; AccumOffset: 32
; Occupancy: 8
; WaveLimiterHint : 1
; COMPUTE_PGM_RSRC2:SCRATCH_EN: 0
; COMPUTE_PGM_RSRC2:USER_SGPR: 2
; COMPUTE_PGM_RSRC2:TRAP_HANDLER: 0
; COMPUTE_PGM_RSRC2:TGID_X_EN: 1
; COMPUTE_PGM_RSRC2:TGID_Y_EN: 0
; COMPUTE_PGM_RSRC2:TGID_Z_EN: 0
; COMPUTE_PGM_RSRC2:TIDIG_COMP_CNT: 0
; COMPUTE_PGM_RSRC3_GFX90A:ACCUM_OFFSET: 7
; COMPUTE_PGM_RSRC3_GFX90A:TG_SPLIT: 0
	.section	.text._ZN9rocsparseL41csrgemm_numeric_fill_block_per_row_kernelILj1024ELj32ELj2048ELj137ELj32ElidEEvT5_PKS1_S3_NS_24const_host_device_scalarIT6_EEPKT4_S3_PKS5_S9_S3_SB_S6_S9_S3_SB_S9_S3_PS5_21rocsparse_index_base_SD_SD_SD_bbb,"axG",@progbits,_ZN9rocsparseL41csrgemm_numeric_fill_block_per_row_kernelILj1024ELj32ELj2048ELj137ELj32ElidEEvT5_PKS1_S3_NS_24const_host_device_scalarIT6_EEPKT4_S3_PKS5_S9_S3_SB_S6_S9_S3_SB_S9_S3_PS5_21rocsparse_index_base_SD_SD_SD_bbb,comdat
	.globl	_ZN9rocsparseL41csrgemm_numeric_fill_block_per_row_kernelILj1024ELj32ELj2048ELj137ELj32ElidEEvT5_PKS1_S3_NS_24const_host_device_scalarIT6_EEPKT4_S3_PKS5_S9_S3_SB_S6_S9_S3_SB_S9_S3_PS5_21rocsparse_index_base_SD_SD_SD_bbb ; -- Begin function _ZN9rocsparseL41csrgemm_numeric_fill_block_per_row_kernelILj1024ELj32ELj2048ELj137ELj32ElidEEvT5_PKS1_S3_NS_24const_host_device_scalarIT6_EEPKT4_S3_PKS5_S9_S3_SB_S6_S9_S3_SB_S9_S3_PS5_21rocsparse_index_base_SD_SD_SD_bbb
	.p2align	8
	.type	_ZN9rocsparseL41csrgemm_numeric_fill_block_per_row_kernelILj1024ELj32ELj2048ELj137ELj32ElidEEvT5_PKS1_S3_NS_24const_host_device_scalarIT6_EEPKT4_S3_PKS5_S9_S3_SB_S6_S9_S3_SB_S9_S3_PS5_21rocsparse_index_base_SD_SD_SD_bbb,@function
_ZN9rocsparseL41csrgemm_numeric_fill_block_per_row_kernelILj1024ELj32ELj2048ELj137ELj32ElidEEvT5_PKS1_S3_NS_24const_host_device_scalarIT6_EEPKT4_S3_PKS5_S9_S3_SB_S6_S9_S3_SB_S9_S3_PS5_21rocsparse_index_base_SD_SD_SD_bbb: ; @_ZN9rocsparseL41csrgemm_numeric_fill_block_per_row_kernelILj1024ELj32ELj2048ELj137ELj32ElidEEvT5_PKS1_S3_NS_24const_host_device_scalarIT6_EEPKT4_S3_PKS5_S9_S3_SB_S6_S9_S3_SB_S9_S3_PS5_21rocsparse_index_base_SD_SD_SD_bbb
; %bb.0:
	s_load_dword s3, s[0:1], 0x98
	s_load_dwordx4 s[68:71], s[0:1], 0x88
	s_load_dwordx2 s[4:5], s[0:1], 0x18
	s_load_dwordx2 s[24:25], s[0:1], 0x50
	s_waitcnt lgkmcnt(0)
	s_bitcmp1_b32 s3, 0
	s_cselect_b64 s[22:23], -1, 0
	s_bitcmp1_b32 s3, 16
	s_cselect_b64 s[26:27], -1, 0
	s_xor_b64 s[6:7], s[22:23], -1
	s_or_b64 s[6:7], s[26:27], s[6:7]
	s_and_b64 s[8:9], s[22:23], exec
	s_cselect_b32 s9, s5, 0
	s_cselect_b32 s8, s4, 0
	s_and_b64 vcc, exec, s[6:7]
	v_mov_b64_e32 v[4:5], s[8:9]
	s_cbranch_vccnz .LBB188_2
; %bb.1:
	v_mov_b64_e32 v[2:3], s[4:5]
	flat_load_dwordx2 v[4:5], v[2:3]
.LBB188_2:
	s_load_dwordx2 s[72:73], s[0:1], 0x80
	s_load_dwordx8 s[60:67], s[0:1], 0x58
	s_load_dwordx4 s[12:15], s[0:1], 0x40
	s_load_dwordx4 s[16:19], s[0:1], 0x8
	s_load_dwordx8 s[4:11], s[0:1], 0x20
	s_bitcmp1_b32 s3, 8
	s_cselect_b64 s[20:21], -1, 0
	s_xor_b64 s[28:29], s[20:21], -1
	s_or_b64 s[26:27], s[26:27], s[28:29]
	s_and_b64 s[28:29], s[20:21], exec
	s_cselect_b32 s29, s25, 0
	s_cselect_b32 s28, s24, 0
	s_and_b64 vcc, exec, s[26:27]
	v_mov_b64_e32 v[2:3], s[28:29]
	s_cbranch_vccnz .LBB188_4
; %bb.3:
	v_mov_b64_e32 v[2:3], s[24:25]
	flat_load_dwordx2 v[2:3], v[2:3]
.LBB188_4:
	s_load_dword s33, s[0:1], 0x0
	v_lshl_add_u32 v1, v0, 3, 0
	v_mov_b32_e32 v6, 0
	v_add_u32_e32 v1, 0x2000, v1
	v_or_b32_e32 v18, 0xfffffc00, v0
	v_lshl_add_u32 v19, v0, 2, 0
	s_mov_b64 s[0:1], 0
	s_waitcnt lgkmcnt(0)
	v_mov_b32_e32 v11, s33
	v_mov_b32_e32 v7, v6
	;; [unrolled: 1-line block ×5, first 2 shown]
.LBB188_5:                              ; =>This Inner Loop Header: Depth=1
	v_add_co_u32_e32 v9, vcc, 0x400, v9
	s_xor_b64 s[24:25], vcc, -1
	s_and_b64 s[24:25], exec, s[24:25]
	ds_write_b32 v8, v11
	ds_write_b64 v10, v[6:7]
	v_add_u32_e32 v10, 0x2000, v10
	s_or_b64 s[0:1], s[24:25], s[0:1]
	v_add_u32_e32 v8, 0x1000, v8
	s_andn2_b64 exec, exec, s[0:1]
	s_cbranch_execnz .LBB188_5
; %bb.6:
	s_or_b64 exec, exec, s[0:1]
	s_waitcnt lgkmcnt(0)
	s_barrier
	s_load_dword s0, s[16:17], 0x0
	s_mov_b32 s1, 0
	v_lshrrev_b32_e32 v20, 5, v0
	s_waitcnt lgkmcnt(0)
	s_add_i32 s0, s0, s2
	s_lshl_b64 s[0:1], s[0:1], 2
	s_add_u32 s0, s18, s0
	s_addc_u32 s1, s19, s1
	s_load_dword s74, s[0:1], 0x0
	s_and_b64 vcc, exec, s[22:23]
	s_cbranch_vccz .LBB188_24
; %bb.7:
	s_waitcnt lgkmcnt(0)
	s_ashr_i32 s75, s74, 31
	s_lshl_b64 s[0:1], s[74:75], 3
	s_add_u32 s0, s4, s0
	s_addc_u32 s1, s5, s1
	s_load_dwordx4 s[16:19], s[0:1], 0x0
	v_subrev_co_u32_e32 v6, vcc, s68, v20
	s_nop 1
	v_subb_co_u32_e64 v7, s[0:1], 0, 0, vcc
	s_waitcnt lgkmcnt(0)
	s_sub_u32 s0, s18, s68
	s_subb_u32 s1, s19, 0
	v_lshl_add_u64 v[6:7], s[16:17], 0, v[6:7]
	v_cmp_gt_i64_e32 vcc, s[0:1], v[6:7]
	s_and_saveexec_b64 s[2:3], vcc
	s_cbranch_execz .LBB188_23
; %bb.8:
	v_and_b32_e32 v8, 31, v0
	v_subrev_co_u32_e32 v8, vcc, s69, v8
	s_mov_b32 s34, s69
	s_nop 0
	v_subb_co_u32_e64 v9, s[4:5], 0, 0, vcc
	s_mov_b64 s[4:5], 0
	s_movk_i32 s35, 0x89
	s_branch .LBB188_10
.LBB188_9:                              ;   in Loop: Header=BB188_10 Depth=1
	s_or_b64 exec, exec, s[16:17]
	v_lshl_add_u64 v[6:7], v[6:7], 0, 32
	v_cmp_le_i64_e32 vcc, s[0:1], v[6:7]
	s_or_b64 s[4:5], vcc, s[4:5]
	s_andn2_b64 exec, exec, s[4:5]
	s_cbranch_execz .LBB188_23
.LBB188_10:                             ; =>This Loop Header: Depth=1
                                        ;     Child Loop BB188_14 Depth 2
                                        ;       Child Loop BB188_17 Depth 3
	v_lshl_add_u64 v[10:11], v[6:7], 2, s[6:7]
	global_load_dword v10, v[10:11], off
	s_waitcnt vmcnt(0)
	v_subrev_u32_e32 v10, s68, v10
	v_ashrrev_i32_e32 v11, 31, v10
	v_lshl_add_u64 v[10:11], v[10:11], 3, s[10:11]
	global_load_dwordx4 v[12:15], v[10:11], off
	s_waitcnt vmcnt(0)
	v_subrev_co_u32_e32 v10, vcc, s34, v14
	s_nop 1
	v_subbrev_co_u32_e32 v11, vcc, 0, v15, vcc
	v_lshl_add_u64 v[12:13], v[12:13], 0, v[8:9]
	v_cmp_lt_i64_e32 vcc, v[12:13], v[10:11]
	s_and_saveexec_b64 s[16:17], vcc
	s_cbranch_execz .LBB188_9
; %bb.11:                               ;   in Loop: Header=BB188_10 Depth=1
	v_lshl_add_u64 v[14:15], v[6:7], 3, s[8:9]
	global_load_dwordx2 v[14:15], v[14:15], off
	s_mov_b64 s[18:19], 0
	s_waitcnt vmcnt(0)
	v_mul_f64 v[14:15], v[4:5], v[14:15]
	s_branch .LBB188_14
.LBB188_12:                             ;   in Loop: Header=BB188_14 Depth=2
	s_or_b64 exec, exec, s[24:25]
.LBB188_13:                             ;   in Loop: Header=BB188_14 Depth=2
	s_or_b64 exec, exec, s[22:23]
	s_waitcnt vmcnt(0)
	v_mul_f64 v[16:17], v[14:15], v[16:17]
	v_lshl_add_u32 v21, v21, 3, 0
	ds_add_f64 v21, v[16:17] offset:8192
	v_lshl_add_u64 v[12:13], v[12:13], 0, 32
	v_cmp_ge_i64_e32 vcc, v[12:13], v[10:11]
	s_or_b64 s[18:19], vcc, s[18:19]
	s_andn2_b64 exec, exec, s[18:19]
	s_cbranch_execz .LBB188_9
.LBB188_14:                             ;   Parent Loop BB188_10 Depth=1
                                        ; =>  This Loop Header: Depth=2
                                        ;       Child Loop BB188_17 Depth 3
	v_lshl_add_u64 v[16:17], v[12:13], 2, s[12:13]
	global_load_dword v21, v[16:17], off
	v_lshl_add_u64 v[16:17], v[12:13], 3, s[14:15]
	global_load_dwordx2 v[16:17], v[16:17], off
	s_waitcnt vmcnt(1)
	v_subrev_u32_e32 v22, s69, v21
	v_mul_lo_u32 v21, v22, s35
	v_and_b32_e32 v21, 0x7ff, v21
	v_lshl_add_u32 v23, v21, 2, 0
	ds_read_b32 v24, v23
	s_waitcnt lgkmcnt(0)
	v_cmp_ne_u32_e32 vcc, v24, v22
	s_and_saveexec_b64 s[22:23], vcc
	s_cbranch_execz .LBB188_13
; %bb.15:                               ;   in Loop: Header=BB188_14 Depth=2
	s_mov_b64 s[24:25], 0
	s_branch .LBB188_17
.LBB188_16:                             ;   in Loop: Header=BB188_17 Depth=3
	s_or_b64 exec, exec, s[30:31]
	s_and_b64 s[26:27], exec, s[28:29]
	s_or_b64 s[24:25], s[26:27], s[24:25]
	s_andn2_b64 exec, exec, s[24:25]
	s_cbranch_execz .LBB188_12
.LBB188_17:                             ;   Parent Loop BB188_10 Depth=1
                                        ;     Parent Loop BB188_14 Depth=2
                                        ; =>    This Inner Loop Header: Depth=3
	v_cmp_ne_u32_e32 vcc, s33, v24
	s_mov_b64 s[26:27], 0
	s_and_saveexec_b64 s[28:29], vcc
	s_xor_b64 s[28:29], exec, s[28:29]
	s_cbranch_execz .LBB188_19
; %bb.18:                               ;   in Loop: Header=BB188_17 Depth=3
	v_add_u32_e32 v21, 1, v21
	s_mov_b64 s[26:27], exec
	v_and_b32_e32 v21, 0x7ff, v21
                                        ; implicit-def: $vgpr23
	s_andn2_saveexec_b64 s[28:29], s[28:29]
	s_cbranch_execz .LBB188_21
	s_branch .LBB188_20
.LBB188_19:                             ;   in Loop: Header=BB188_17 Depth=3
	s_andn2_saveexec_b64 s[28:29], s[28:29]
	s_cbranch_execz .LBB188_21
.LBB188_20:                             ;   in Loop: Header=BB188_17 Depth=3
	v_mov_b32_e32 v24, s33
	ds_cmpst_rtn_b32 v23, v23, v24, v22
	s_andn2_b64 s[26:27], s[26:27], exec
	s_waitcnt lgkmcnt(0)
	v_cmp_ne_u32_e32 vcc, s33, v23
	s_and_b64 s[30:31], vcc, exec
	s_or_b64 s[26:27], s[26:27], s[30:31]
.LBB188_21:                             ;   in Loop: Header=BB188_17 Depth=3
	s_or_b64 exec, exec, s[28:29]
	s_mov_b64 s[28:29], -1
                                        ; implicit-def: $vgpr23
                                        ; implicit-def: $vgpr24
	s_and_saveexec_b64 s[30:31], s[26:27]
	s_cbranch_execz .LBB188_16
; %bb.22:                               ;   in Loop: Header=BB188_17 Depth=3
	v_lshl_add_u32 v23, v21, 2, 0
	ds_read_b32 v24, v23
	s_waitcnt lgkmcnt(0)
	v_cmp_eq_u32_e32 vcc, v24, v22
	s_orn2_b64 s[28:29], vcc, exec
	s_branch .LBB188_16
.LBB188_23:
	s_or_b64 exec, exec, s[2:3]
.LBB188_24:
	s_andn2_b64 vcc, exec, s[20:21]
	s_cbranch_vccnz .LBB188_39
; %bb.25:
	s_waitcnt lgkmcnt(0)
	s_ashr_i32 s75, s74, 31
	s_lshl_b64 s[0:1], s[74:75], 3
	s_add_u32 s0, s60, s0
	s_addc_u32 s1, s61, s1
	s_load_dwordx4 s[4:7], s[0:1], 0x0
	s_waitcnt vmcnt(0)
	v_subrev_co_u32_e32 v4, vcc, s71, v0
	s_nop 1
	v_subb_co_u32_e64 v5, s[0:1], 0, 0, vcc
	s_waitcnt lgkmcnt(0)
	s_sub_u32 s0, s6, s71
	s_subb_u32 s1, s7, 0
	v_lshl_add_u64 v[4:5], s[4:5], 0, v[4:5]
	v_cmp_gt_i64_e32 vcc, s[0:1], v[4:5]
	s_and_saveexec_b64 s[2:3], vcc
	s_cbranch_execz .LBB188_38
; %bb.26:
	s_mov_b64 s[4:5], 0
	s_movk_i32 s18, 0x89
	s_mov_b64 s[6:7], 0x400
	s_branch .LBB188_29
.LBB188_27:                             ;   in Loop: Header=BB188_29 Depth=1
	s_or_b64 exec, exec, s[10:11]
.LBB188_28:                             ;   in Loop: Header=BB188_29 Depth=1
	s_or_b64 exec, exec, s[8:9]
	s_waitcnt vmcnt(0)
	v_mul_f64 v[6:7], v[2:3], v[6:7]
	v_lshl_add_u32 v8, v8, 3, 0
	ds_add_f64 v8, v[6:7] offset:8192
	v_lshl_add_u64 v[4:5], v[4:5], 0, s[6:7]
	v_cmp_le_i64_e32 vcc, s[0:1], v[4:5]
	s_or_b64 s[4:5], vcc, s[4:5]
	s_andn2_b64 exec, exec, s[4:5]
	s_cbranch_execz .LBB188_38
.LBB188_29:                             ; =>This Loop Header: Depth=1
                                        ;     Child Loop BB188_32 Depth 2
	v_lshl_add_u64 v[6:7], v[4:5], 2, s[62:63]
	global_load_dword v8, v[6:7], off
	v_lshl_add_u64 v[6:7], v[4:5], 3, s[64:65]
	global_load_dwordx2 v[6:7], v[6:7], off
	s_waitcnt vmcnt(1)
	v_subrev_u32_e32 v9, s71, v8
	v_mul_lo_u32 v8, v9, s18
	v_and_b32_e32 v8, 0x7ff, v8
	v_lshl_add_u32 v10, v8, 2, 0
	ds_read_b32 v11, v10
	s_waitcnt lgkmcnt(0)
	v_cmp_ne_u32_e32 vcc, v11, v9
	s_and_saveexec_b64 s[8:9], vcc
	s_cbranch_execz .LBB188_28
; %bb.30:                               ;   in Loop: Header=BB188_29 Depth=1
	s_mov_b64 s[10:11], 0
	s_branch .LBB188_32
.LBB188_31:                             ;   in Loop: Header=BB188_32 Depth=2
	s_or_b64 exec, exec, s[16:17]
	s_and_b64 s[12:13], exec, s[14:15]
	s_or_b64 s[10:11], s[12:13], s[10:11]
	s_andn2_b64 exec, exec, s[10:11]
	s_cbranch_execz .LBB188_27
.LBB188_32:                             ;   Parent Loop BB188_29 Depth=1
                                        ; =>  This Inner Loop Header: Depth=2
	v_cmp_ne_u32_e32 vcc, s33, v11
	s_mov_b64 s[12:13], 0
	s_and_saveexec_b64 s[14:15], vcc
	s_xor_b64 s[14:15], exec, s[14:15]
	s_cbranch_execz .LBB188_34
; %bb.33:                               ;   in Loop: Header=BB188_32 Depth=2
	v_add_u32_e32 v8, 1, v8
	s_mov_b64 s[12:13], exec
	v_and_b32_e32 v8, 0x7ff, v8
                                        ; implicit-def: $vgpr10
	s_andn2_saveexec_b64 s[14:15], s[14:15]
	s_cbranch_execz .LBB188_36
	s_branch .LBB188_35
.LBB188_34:                             ;   in Loop: Header=BB188_32 Depth=2
	s_andn2_saveexec_b64 s[14:15], s[14:15]
	s_cbranch_execz .LBB188_36
.LBB188_35:                             ;   in Loop: Header=BB188_32 Depth=2
	v_mov_b32_e32 v11, s33
	ds_cmpst_rtn_b32 v10, v10, v11, v9
	s_andn2_b64 s[12:13], s[12:13], exec
	s_waitcnt lgkmcnt(0)
	v_cmp_ne_u32_e32 vcc, s33, v10
	s_and_b64 s[16:17], vcc, exec
	s_or_b64 s[12:13], s[12:13], s[16:17]
.LBB188_36:                             ;   in Loop: Header=BB188_32 Depth=2
	s_or_b64 exec, exec, s[14:15]
	s_mov_b64 s[14:15], -1
                                        ; implicit-def: $vgpr10
                                        ; implicit-def: $vgpr11
	s_and_saveexec_b64 s[16:17], s[12:13]
	s_cbranch_execz .LBB188_31
; %bb.37:                               ;   in Loop: Header=BB188_32 Depth=2
	v_lshl_add_u32 v10, v8, 2, 0
	ds_read_b32 v11, v10
	s_waitcnt lgkmcnt(0)
	v_cmp_eq_u32_e32 vcc, v11, v9
	s_orn2_b64 s[14:15], vcc, exec
	s_branch .LBB188_31
.LBB188_38:
	s_or_b64 exec, exec, s[2:3]
.LBB188_39:
	s_waitcnt vmcnt(0)
	v_mbcnt_lo_u32_b32 v2, -1, 0
	v_mbcnt_hi_u32_b32 v2, -1, v2
	v_sub_u32_e32 v2, 63, v2
	s_movk_i32 s0, 0x3ff
	s_movk_i32 s6, 0x5f
	;; [unrolled: 1-line block ×30, first 2 shown]
	v_mov_b32_e32 v6, 0
	v_lshrrev_b64 v[2:3], v2, -1
	v_lshl_add_u32 v7, v20, 2, 0
	v_cmp_eq_u32_e64 s[0:1], s0, v0
	v_cmp_lt_u32_e64 s[2:3], 31, v0
	v_cmp_lt_u32_e64 s[4:5], 63, v0
	;; [unrolled: 1-line block ×31, first 2 shown]
	s_mov_b64 s[68:69], 0
	v_mov_b32_e32 v8, 0
	s_waitcnt lgkmcnt(0)
	s_barrier
	s_branch .LBB188_41
.LBB188_40:                             ;   in Loop: Header=BB188_41 Depth=1
	s_or_b64 exec, exec, s[76:77]
	s_waitcnt lgkmcnt(0)
	s_barrier
	ds_read_b32 v4, v6 offset:24700
	v_add_co_u32_e32 v18, vcc, 0x400, v18
	s_xor_b64 s[76:77], vcc, -1
	s_and_b64 s[76:77], exec, s[76:77]
	v_add_u32_e32 v1, 0x2000, v1
	s_waitcnt lgkmcnt(0)
	v_add_u32_e32 v8, v4, v8
	s_or_b64 s[68:69], s[76:77], s[68:69]
	v_add_u32_e32 v19, 0x1000, v19
	s_andn2_b64 exec, exec, s[68:69]
	s_cbranch_execz .LBB188_107
.LBB188_41:                             ; =>This Inner Loop Header: Depth=1
	ds_read_b32 v9, v19
	ds_read_b64 v[4:5], v1
	s_waitcnt lgkmcnt(0)
	s_barrier
	v_cmp_gt_i32_e32 vcc, s33, v9
	s_bcnt1_i32_b64 s71, vcc
	s_nop 0
	v_and_b32_e32 v11, vcc_lo, v2
	v_and_b32_e32 v10, vcc_hi, v3
	v_bcnt_u32_b32 v11, v11, 0
	v_bcnt_u32_b32 v10, v10, v11
	v_mov_b32_e32 v11, s71
	ds_write_b32 v7, v11 offset:24576
	s_waitcnt lgkmcnt(0)
	s_barrier
	s_and_saveexec_b64 s[76:77], s[2:3]
	s_cbranch_execz .LBB188_74
; %bb.42:                               ;   in Loop: Header=BB188_41 Depth=1
	ds_read_b32 v11, v6 offset:24576
	s_waitcnt lgkmcnt(0)
	v_add_u32_e32 v10, v11, v10
	s_or_b64 exec, exec, s[76:77]
	s_and_saveexec_b64 s[76:77], s[4:5]
	s_cbranch_execnz .LBB188_75
.LBB188_43:                             ;   in Loop: Header=BB188_41 Depth=1
	s_or_b64 exec, exec, s[76:77]
	s_and_saveexec_b64 s[76:77], s[6:7]
	s_cbranch_execz .LBB188_76
.LBB188_44:                             ;   in Loop: Header=BB188_41 Depth=1
	ds_read_b32 v11, v6 offset:24584
	s_waitcnt lgkmcnt(0)
	v_add_u32_e32 v10, v11, v10
	s_or_b64 exec, exec, s[76:77]
	s_and_saveexec_b64 s[76:77], s[8:9]
	s_cbranch_execnz .LBB188_77
.LBB188_45:                             ;   in Loop: Header=BB188_41 Depth=1
	s_or_b64 exec, exec, s[76:77]
	s_and_saveexec_b64 s[76:77], s[10:11]
	s_cbranch_execz .LBB188_78
.LBB188_46:                             ;   in Loop: Header=BB188_41 Depth=1
	ds_read_b32 v11, v6 offset:24592
	s_waitcnt lgkmcnt(0)
	v_add_u32_e32 v10, v11, v10
	s_or_b64 exec, exec, s[76:77]
	s_and_saveexec_b64 s[76:77], s[12:13]
	s_cbranch_execnz .LBB188_79
.LBB188_47:                             ;   in Loop: Header=BB188_41 Depth=1
	s_or_b64 exec, exec, s[76:77]
	s_and_saveexec_b64 s[76:77], s[14:15]
	s_cbranch_execz .LBB188_80
.LBB188_48:                             ;   in Loop: Header=BB188_41 Depth=1
	ds_read_b32 v11, v6 offset:24600
	s_waitcnt lgkmcnt(0)
	v_add_u32_e32 v10, v11, v10
	s_or_b64 exec, exec, s[76:77]
	s_and_saveexec_b64 s[76:77], s[16:17]
	s_cbranch_execnz .LBB188_81
.LBB188_49:                             ;   in Loop: Header=BB188_41 Depth=1
	s_or_b64 exec, exec, s[76:77]
	s_and_saveexec_b64 s[76:77], s[18:19]
	s_cbranch_execz .LBB188_82
.LBB188_50:                             ;   in Loop: Header=BB188_41 Depth=1
	ds_read_b32 v11, v6 offset:24608
	s_waitcnt lgkmcnt(0)
	v_add_u32_e32 v10, v11, v10
	s_or_b64 exec, exec, s[76:77]
	s_and_saveexec_b64 s[76:77], s[20:21]
	s_cbranch_execnz .LBB188_83
.LBB188_51:                             ;   in Loop: Header=BB188_41 Depth=1
	s_or_b64 exec, exec, s[76:77]
	s_and_saveexec_b64 s[76:77], s[22:23]
	s_cbranch_execz .LBB188_84
.LBB188_52:                             ;   in Loop: Header=BB188_41 Depth=1
	ds_read_b32 v11, v6 offset:24616
	s_waitcnt lgkmcnt(0)
	v_add_u32_e32 v10, v11, v10
	s_or_b64 exec, exec, s[76:77]
	s_and_saveexec_b64 s[76:77], s[24:25]
	s_cbranch_execnz .LBB188_85
.LBB188_53:                             ;   in Loop: Header=BB188_41 Depth=1
	s_or_b64 exec, exec, s[76:77]
	s_and_saveexec_b64 s[76:77], s[26:27]
	s_cbranch_execz .LBB188_86
.LBB188_54:                             ;   in Loop: Header=BB188_41 Depth=1
	ds_read_b32 v11, v6 offset:24624
	s_waitcnt lgkmcnt(0)
	v_add_u32_e32 v10, v11, v10
	s_or_b64 exec, exec, s[76:77]
	s_and_saveexec_b64 s[76:77], s[28:29]
	s_cbranch_execnz .LBB188_87
.LBB188_55:                             ;   in Loop: Header=BB188_41 Depth=1
	s_or_b64 exec, exec, s[76:77]
	s_and_saveexec_b64 s[76:77], s[30:31]
	s_cbranch_execz .LBB188_88
.LBB188_56:                             ;   in Loop: Header=BB188_41 Depth=1
	ds_read_b32 v11, v6 offset:24632
	s_waitcnt lgkmcnt(0)
	v_add_u32_e32 v10, v11, v10
	s_or_b64 exec, exec, s[76:77]
	s_and_saveexec_b64 s[76:77], s[34:35]
	s_cbranch_execnz .LBB188_89
.LBB188_57:                             ;   in Loop: Header=BB188_41 Depth=1
	s_or_b64 exec, exec, s[76:77]
	s_and_saveexec_b64 s[76:77], s[36:37]
	s_cbranch_execz .LBB188_90
.LBB188_58:                             ;   in Loop: Header=BB188_41 Depth=1
	ds_read_b32 v11, v6 offset:24640
	s_waitcnt lgkmcnt(0)
	v_add_u32_e32 v10, v11, v10
	s_or_b64 exec, exec, s[76:77]
	s_and_saveexec_b64 s[76:77], s[38:39]
	s_cbranch_execnz .LBB188_91
.LBB188_59:                             ;   in Loop: Header=BB188_41 Depth=1
	s_or_b64 exec, exec, s[76:77]
	s_and_saveexec_b64 s[76:77], s[40:41]
	s_cbranch_execz .LBB188_92
.LBB188_60:                             ;   in Loop: Header=BB188_41 Depth=1
	ds_read_b32 v11, v6 offset:24648
	s_waitcnt lgkmcnt(0)
	v_add_u32_e32 v10, v11, v10
	s_or_b64 exec, exec, s[76:77]
	s_and_saveexec_b64 s[76:77], s[42:43]
	s_cbranch_execnz .LBB188_93
.LBB188_61:                             ;   in Loop: Header=BB188_41 Depth=1
	s_or_b64 exec, exec, s[76:77]
	s_and_saveexec_b64 s[76:77], s[44:45]
	s_cbranch_execz .LBB188_94
.LBB188_62:                             ;   in Loop: Header=BB188_41 Depth=1
	ds_read_b32 v11, v6 offset:24656
	s_waitcnt lgkmcnt(0)
	v_add_u32_e32 v10, v11, v10
	s_or_b64 exec, exec, s[76:77]
	s_and_saveexec_b64 s[76:77], s[46:47]
	s_cbranch_execnz .LBB188_95
.LBB188_63:                             ;   in Loop: Header=BB188_41 Depth=1
	s_or_b64 exec, exec, s[76:77]
	s_and_saveexec_b64 s[76:77], s[48:49]
	s_cbranch_execz .LBB188_96
.LBB188_64:                             ;   in Loop: Header=BB188_41 Depth=1
	ds_read_b32 v11, v6 offset:24664
	s_waitcnt lgkmcnt(0)
	v_add_u32_e32 v10, v11, v10
	s_or_b64 exec, exec, s[76:77]
	s_and_saveexec_b64 s[76:77], s[50:51]
	s_cbranch_execnz .LBB188_97
.LBB188_65:                             ;   in Loop: Header=BB188_41 Depth=1
	s_or_b64 exec, exec, s[76:77]
	s_and_saveexec_b64 s[76:77], s[52:53]
	s_cbranch_execz .LBB188_98
.LBB188_66:                             ;   in Loop: Header=BB188_41 Depth=1
	ds_read_b32 v11, v6 offset:24672
	s_waitcnt lgkmcnt(0)
	v_add_u32_e32 v10, v11, v10
	s_or_b64 exec, exec, s[76:77]
	s_and_saveexec_b64 s[76:77], s[54:55]
	s_cbranch_execnz .LBB188_99
.LBB188_67:                             ;   in Loop: Header=BB188_41 Depth=1
	s_or_b64 exec, exec, s[76:77]
	s_and_saveexec_b64 s[76:77], s[56:57]
	s_cbranch_execz .LBB188_100
.LBB188_68:                             ;   in Loop: Header=BB188_41 Depth=1
	ds_read_b32 v11, v6 offset:24680
	s_waitcnt lgkmcnt(0)
	v_add_u32_e32 v10, v11, v10
	s_or_b64 exec, exec, s[76:77]
	s_and_saveexec_b64 s[76:77], s[58:59]
	s_cbranch_execnz .LBB188_101
.LBB188_69:                             ;   in Loop: Header=BB188_41 Depth=1
	s_or_b64 exec, exec, s[76:77]
	s_and_saveexec_b64 s[76:77], s[60:61]
	s_cbranch_execz .LBB188_102
.LBB188_70:                             ;   in Loop: Header=BB188_41 Depth=1
	ds_read_b32 v11, v6 offset:24688
	s_waitcnt lgkmcnt(0)
	v_add_u32_e32 v10, v11, v10
	s_or_b64 exec, exec, s[76:77]
	s_and_saveexec_b64 s[76:77], s[62:63]
	s_cbranch_execnz .LBB188_103
.LBB188_71:                             ;   in Loop: Header=BB188_41 Depth=1
	s_or_b64 exec, exec, s[76:77]
	s_and_saveexec_b64 s[76:77], s[64:65]
	s_cbranch_execz .LBB188_104
.LBB188_72:                             ;   in Loop: Header=BB188_41 Depth=1
	ds_read_b32 v11, v6 offset:24696
	s_waitcnt lgkmcnt(0)
	v_add_u32_e32 v10, v11, v10
	s_or_b64 exec, exec, s[76:77]
	s_and_saveexec_b64 s[76:77], vcc
	s_cbranch_execnz .LBB188_105
.LBB188_73:                             ;   in Loop: Header=BB188_41 Depth=1
	s_or_b64 exec, exec, s[76:77]
	s_and_saveexec_b64 s[76:77], s[0:1]
	s_cbranch_execz .LBB188_40
	s_branch .LBB188_106
.LBB188_74:                             ;   in Loop: Header=BB188_41 Depth=1
	s_or_b64 exec, exec, s[76:77]
	s_and_saveexec_b64 s[76:77], s[4:5]
	s_cbranch_execz .LBB188_43
.LBB188_75:                             ;   in Loop: Header=BB188_41 Depth=1
	ds_read_b32 v11, v6 offset:24580
	s_waitcnt lgkmcnt(0)
	v_add_u32_e32 v10, v11, v10
	s_or_b64 exec, exec, s[76:77]
	s_and_saveexec_b64 s[76:77], s[6:7]
	s_cbranch_execnz .LBB188_44
.LBB188_76:                             ;   in Loop: Header=BB188_41 Depth=1
	s_or_b64 exec, exec, s[76:77]
	s_and_saveexec_b64 s[76:77], s[8:9]
	s_cbranch_execz .LBB188_45
.LBB188_77:                             ;   in Loop: Header=BB188_41 Depth=1
	ds_read_b32 v11, v6 offset:24588
	s_waitcnt lgkmcnt(0)
	v_add_u32_e32 v10, v11, v10
	s_or_b64 exec, exec, s[76:77]
	s_and_saveexec_b64 s[76:77], s[10:11]
	s_cbranch_execnz .LBB188_46
.LBB188_78:                             ;   in Loop: Header=BB188_41 Depth=1
	s_or_b64 exec, exec, s[76:77]
	s_and_saveexec_b64 s[76:77], s[12:13]
	s_cbranch_execz .LBB188_47
.LBB188_79:                             ;   in Loop: Header=BB188_41 Depth=1
	ds_read_b32 v11, v6 offset:24596
	s_waitcnt lgkmcnt(0)
	v_add_u32_e32 v10, v11, v10
	s_or_b64 exec, exec, s[76:77]
	s_and_saveexec_b64 s[76:77], s[14:15]
	s_cbranch_execnz .LBB188_48
.LBB188_80:                             ;   in Loop: Header=BB188_41 Depth=1
	s_or_b64 exec, exec, s[76:77]
	s_and_saveexec_b64 s[76:77], s[16:17]
	s_cbranch_execz .LBB188_49
.LBB188_81:                             ;   in Loop: Header=BB188_41 Depth=1
	ds_read_b32 v11, v6 offset:24604
	s_waitcnt lgkmcnt(0)
	v_add_u32_e32 v10, v11, v10
	s_or_b64 exec, exec, s[76:77]
	s_and_saveexec_b64 s[76:77], s[18:19]
	s_cbranch_execnz .LBB188_50
.LBB188_82:                             ;   in Loop: Header=BB188_41 Depth=1
	s_or_b64 exec, exec, s[76:77]
	s_and_saveexec_b64 s[76:77], s[20:21]
	s_cbranch_execz .LBB188_51
.LBB188_83:                             ;   in Loop: Header=BB188_41 Depth=1
	ds_read_b32 v11, v6 offset:24612
	s_waitcnt lgkmcnt(0)
	v_add_u32_e32 v10, v11, v10
	s_or_b64 exec, exec, s[76:77]
	s_and_saveexec_b64 s[76:77], s[22:23]
	s_cbranch_execnz .LBB188_52
.LBB188_84:                             ;   in Loop: Header=BB188_41 Depth=1
	s_or_b64 exec, exec, s[76:77]
	s_and_saveexec_b64 s[76:77], s[24:25]
	s_cbranch_execz .LBB188_53
.LBB188_85:                             ;   in Loop: Header=BB188_41 Depth=1
	ds_read_b32 v11, v6 offset:24620
	s_waitcnt lgkmcnt(0)
	v_add_u32_e32 v10, v11, v10
	s_or_b64 exec, exec, s[76:77]
	s_and_saveexec_b64 s[76:77], s[26:27]
	s_cbranch_execnz .LBB188_54
.LBB188_86:                             ;   in Loop: Header=BB188_41 Depth=1
	s_or_b64 exec, exec, s[76:77]
	s_and_saveexec_b64 s[76:77], s[28:29]
	s_cbranch_execz .LBB188_55
.LBB188_87:                             ;   in Loop: Header=BB188_41 Depth=1
	ds_read_b32 v11, v6 offset:24628
	s_waitcnt lgkmcnt(0)
	v_add_u32_e32 v10, v11, v10
	s_or_b64 exec, exec, s[76:77]
	s_and_saveexec_b64 s[76:77], s[30:31]
	s_cbranch_execnz .LBB188_56
.LBB188_88:                             ;   in Loop: Header=BB188_41 Depth=1
	s_or_b64 exec, exec, s[76:77]
	s_and_saveexec_b64 s[76:77], s[34:35]
	s_cbranch_execz .LBB188_57
.LBB188_89:                             ;   in Loop: Header=BB188_41 Depth=1
	ds_read_b32 v11, v6 offset:24636
	s_waitcnt lgkmcnt(0)
	v_add_u32_e32 v10, v11, v10
	s_or_b64 exec, exec, s[76:77]
	s_and_saveexec_b64 s[76:77], s[36:37]
	s_cbranch_execnz .LBB188_58
.LBB188_90:                             ;   in Loop: Header=BB188_41 Depth=1
	s_or_b64 exec, exec, s[76:77]
	s_and_saveexec_b64 s[76:77], s[38:39]
	s_cbranch_execz .LBB188_59
.LBB188_91:                             ;   in Loop: Header=BB188_41 Depth=1
	ds_read_b32 v11, v6 offset:24644
	s_waitcnt lgkmcnt(0)
	v_add_u32_e32 v10, v11, v10
	s_or_b64 exec, exec, s[76:77]
	s_and_saveexec_b64 s[76:77], s[40:41]
	s_cbranch_execnz .LBB188_60
.LBB188_92:                             ;   in Loop: Header=BB188_41 Depth=1
	s_or_b64 exec, exec, s[76:77]
	s_and_saveexec_b64 s[76:77], s[42:43]
	s_cbranch_execz .LBB188_61
.LBB188_93:                             ;   in Loop: Header=BB188_41 Depth=1
	ds_read_b32 v11, v6 offset:24652
	s_waitcnt lgkmcnt(0)
	v_add_u32_e32 v10, v11, v10
	s_or_b64 exec, exec, s[76:77]
	s_and_saveexec_b64 s[76:77], s[44:45]
	s_cbranch_execnz .LBB188_62
.LBB188_94:                             ;   in Loop: Header=BB188_41 Depth=1
	s_or_b64 exec, exec, s[76:77]
	s_and_saveexec_b64 s[76:77], s[46:47]
	s_cbranch_execz .LBB188_63
.LBB188_95:                             ;   in Loop: Header=BB188_41 Depth=1
	ds_read_b32 v11, v6 offset:24660
	s_waitcnt lgkmcnt(0)
	v_add_u32_e32 v10, v11, v10
	s_or_b64 exec, exec, s[76:77]
	s_and_saveexec_b64 s[76:77], s[48:49]
	s_cbranch_execnz .LBB188_64
.LBB188_96:                             ;   in Loop: Header=BB188_41 Depth=1
	s_or_b64 exec, exec, s[76:77]
	s_and_saveexec_b64 s[76:77], s[50:51]
	s_cbranch_execz .LBB188_65
.LBB188_97:                             ;   in Loop: Header=BB188_41 Depth=1
	ds_read_b32 v11, v6 offset:24668
	s_waitcnt lgkmcnt(0)
	v_add_u32_e32 v10, v11, v10
	s_or_b64 exec, exec, s[76:77]
	s_and_saveexec_b64 s[76:77], s[52:53]
	s_cbranch_execnz .LBB188_66
.LBB188_98:                             ;   in Loop: Header=BB188_41 Depth=1
	s_or_b64 exec, exec, s[76:77]
	s_and_saveexec_b64 s[76:77], s[54:55]
	s_cbranch_execz .LBB188_67
.LBB188_99:                             ;   in Loop: Header=BB188_41 Depth=1
	ds_read_b32 v11, v6 offset:24676
	s_waitcnt lgkmcnt(0)
	v_add_u32_e32 v10, v11, v10
	s_or_b64 exec, exec, s[76:77]
	s_and_saveexec_b64 s[76:77], s[56:57]
	s_cbranch_execnz .LBB188_68
.LBB188_100:                            ;   in Loop: Header=BB188_41 Depth=1
	s_or_b64 exec, exec, s[76:77]
	s_and_saveexec_b64 s[76:77], s[58:59]
	s_cbranch_execz .LBB188_69
.LBB188_101:                            ;   in Loop: Header=BB188_41 Depth=1
	ds_read_b32 v11, v6 offset:24684
	s_waitcnt lgkmcnt(0)
	v_add_u32_e32 v10, v11, v10
	s_or_b64 exec, exec, s[76:77]
	s_and_saveexec_b64 s[76:77], s[60:61]
	s_cbranch_execnz .LBB188_70
.LBB188_102:                            ;   in Loop: Header=BB188_41 Depth=1
	s_or_b64 exec, exec, s[76:77]
	s_and_saveexec_b64 s[76:77], s[62:63]
	s_cbranch_execz .LBB188_71
.LBB188_103:                            ;   in Loop: Header=BB188_41 Depth=1
	ds_read_b32 v11, v6 offset:24692
	s_waitcnt lgkmcnt(0)
	v_add_u32_e32 v10, v11, v10
	s_or_b64 exec, exec, s[76:77]
	s_and_saveexec_b64 s[76:77], s[64:65]
	s_cbranch_execnz .LBB188_72
.LBB188_104:                            ;   in Loop: Header=BB188_41 Depth=1
	s_or_b64 exec, exec, s[76:77]
	s_and_saveexec_b64 s[76:77], vcc
	s_cbranch_execz .LBB188_73
.LBB188_105:                            ;   in Loop: Header=BB188_41 Depth=1
	v_add3_u32 v11, v8, -1, v10
	v_lshl_add_u32 v11, v11, 2, 0
	v_add_u32_e32 v12, v8, v10
	v_lshl_add_u32 v12, v12, 3, 0
	ds_write_b32 v11, v9
	ds_write_b64 v12, v[4:5] offset:8184
	s_or_b64 exec, exec, s[76:77]
	s_and_saveexec_b64 s[76:77], s[0:1]
	s_cbranch_execz .LBB188_40
.LBB188_106:                            ;   in Loop: Header=BB188_41 Depth=1
	ds_write_b32 v6, v10 offset:24700
	s_branch .LBB188_40
.LBB188_107:
	s_or_b64 exec, exec, s[68:69]
	s_ashr_i32 s75, s74, 31
	s_lshl_b64 s[0:1], s[74:75], 3
	s_add_u32 s4, s66, s0
	s_addc_u32 s5, s67, s1
	s_load_dwordx4 s[0:3], s[4:5], 0x0
	s_waitcnt lgkmcnt(0)
	s_sub_i32 s8, s2, s0
	v_cmp_gt_i32_e32 vcc, s8, v0
	s_and_saveexec_b64 s[4:5], vcc
	s_cbranch_execz .LBB188_117
; %bb.108:
	s_sub_u32 s4, s0, s70
	s_subb_u32 s5, s1, 0
	s_and_b32 s10, s8, 7
	s_sub_i32 s0, s0, s2
	s_cmp_lt_u32 s0, -7
	s_cselect_b64 s[0:1], -1, 0
	s_and_b32 s11, s8, -8
	s_cmp_lg_u32 s10, 0
	v_cndmask_b32_e64 v1, 0, 1, s[0:1]
	s_cselect_b64 s[2:3], -1, 0
	v_cmp_ne_u32_e64 s[0:1], 1, v1
	v_cndmask_b32_e64 v1, 0, 1, s[2:3]
	s_mov_b32 s9, 0
	s_mov_b64 s[6:7], 0
	v_cmp_ne_u32_e64 s[2:3], 1, v1
	s_branch .LBB188_110
.LBB188_109:                            ;   in Loop: Header=BB188_110 Depth=1
	v_add_u32_e32 v0, 0x400, v0
	v_cmp_le_i32_e32 vcc, s8, v0
	v_lshl_add_u64 v[4:5], v[4:5], 3, s[72:73]
	s_or_b64 s[6:7], vcc, s[6:7]
	s_waitcnt lgkmcnt(0)
	global_store_dwordx2 v[4:5], v[2:3], off
	s_andn2_b64 exec, exec, s[6:7]
	s_cbranch_execz .LBB188_117
.LBB188_110:                            ; =>This Loop Header: Depth=1
                                        ;     Child Loop BB188_112 Depth 2
                                        ;     Child Loop BB188_116 Depth 2
	v_lshlrev_b32_e32 v1, 2, v0
	v_add_u32_e32 v2, 0, v1
	v_add_u32_e32 v3, v2, v1
	ds_read_b32 v1, v2
	ds_read_b64 v[2:3], v3 offset:8192
	s_and_b64 vcc, exec, s[0:1]
	v_mov_b64_e32 v[4:5], s[4:5]
	s_mov_b32 s12, 0
	s_cbranch_vccnz .LBB188_114
; %bb.111:                              ;   in Loop: Header=BB188_110 Depth=1
	s_mov_b32 s13, 0
	v_mov_b64_e32 v[4:5], s[4:5]
.LBB188_112:                            ;   Parent Loop BB188_110 Depth=1
                                        ; =>  This Inner Loop Header: Depth=2
	v_mov_b32_e32 v6, s13
	ds_read2_b32 v[22:23], v6 offset1:1
	ds_read2_b32 v[24:25], v6 offset0:2 offset1:3
	ds_read2_b32 v[26:27], v6 offset0:4 offset1:5
	;; [unrolled: 1-line block ×3, first 2 shown]
	v_mov_b32_e32 v7, s9
	s_waitcnt lgkmcnt(3)
	v_cmp_gt_i32_e32 vcc, v1, v22
	v_mov_b32_e32 v9, s9
	v_mov_b32_e32 v11, s9
	v_cndmask_b32_e64 v6, 0, 1, vcc
	v_cmp_gt_i32_e32 vcc, v1, v23
	v_lshl_add_u64 v[4:5], v[4:5], 0, v[6:7]
	v_mov_b32_e32 v13, s9
	v_cndmask_b32_e64 v8, 0, 1, vcc
	s_waitcnt lgkmcnt(2)
	v_cmp_gt_i32_e32 vcc, v1, v24
	v_lshl_add_u64 v[4:5], v[4:5], 0, v[8:9]
	v_mov_b32_e32 v15, s9
	v_cndmask_b32_e64 v10, 0, 1, vcc
	v_cmp_gt_i32_e32 vcc, v1, v25
	v_lshl_add_u64 v[4:5], v[4:5], 0, v[10:11]
	v_mov_b32_e32 v17, s9
	v_cndmask_b32_e64 v12, 0, 1, vcc
	s_waitcnt lgkmcnt(1)
	v_cmp_gt_i32_e32 vcc, v1, v26
	v_lshl_add_u64 v[4:5], v[4:5], 0, v[12:13]
	;; [unrolled: 9-line block ×3, first 2 shown]
	s_add_i32 s12, s12, 8
	v_cndmask_b32_e64 v18, 0, 1, vcc
	v_cmp_gt_i32_e32 vcc, v1, v29
	s_add_i32 s13, s13, 32
	v_lshl_add_u64 v[4:5], v[4:5], 0, v[18:19]
	v_cndmask_b32_e64 v20, 0, 1, vcc
	s_cmp_eq_u32 s11, s12
	v_lshl_add_u64 v[4:5], v[4:5], 0, v[20:21]
	s_cbranch_scc0 .LBB188_112
; %bb.113:                              ;   in Loop: Header=BB188_110 Depth=1
	s_mov_b32 s12, s11
.LBB188_114:                            ;   in Loop: Header=BB188_110 Depth=1
	s_and_b64 vcc, exec, s[2:3]
	s_cbranch_vccnz .LBB188_109
; %bb.115:                              ;   in Loop: Header=BB188_110 Depth=1
	s_lshl_b32 s12, s12, 2
	s_add_i32 s12, s12, 0
	s_mov_b32 s13, s10
.LBB188_116:                            ;   Parent Loop BB188_110 Depth=1
                                        ; =>  This Inner Loop Header: Depth=2
	v_mov_b32_e32 v6, s12
	ds_read_b32 v6, v6
	v_mov_b32_e32 v7, s9
	s_add_i32 s12, s12, 4
	s_add_i32 s13, s13, -1
	s_cmp_lg_u32 s13, 0
	s_waitcnt lgkmcnt(0)
	v_cmp_gt_i32_e32 vcc, v1, v6
	s_nop 1
	v_cndmask_b32_e64 v6, 0, 1, vcc
	v_lshl_add_u64 v[4:5], v[4:5], 0, v[6:7]
	s_cbranch_scc1 .LBB188_116
	s_branch .LBB188_109
.LBB188_117:
	s_endpgm
	.section	.rodata,"a",@progbits
	.p2align	6, 0x0
	.amdhsa_kernel _ZN9rocsparseL41csrgemm_numeric_fill_block_per_row_kernelILj1024ELj32ELj2048ELj137ELj32ElidEEvT5_PKS1_S3_NS_24const_host_device_scalarIT6_EEPKT4_S3_PKS5_S9_S3_SB_S6_S9_S3_SB_S9_S3_PS5_21rocsparse_index_base_SD_SD_SD_bbb
		.amdhsa_group_segment_fixed_size 0
		.amdhsa_private_segment_fixed_size 0
		.amdhsa_kernarg_size 156
		.amdhsa_user_sgpr_count 2
		.amdhsa_user_sgpr_dispatch_ptr 0
		.amdhsa_user_sgpr_queue_ptr 0
		.amdhsa_user_sgpr_kernarg_segment_ptr 1
		.amdhsa_user_sgpr_dispatch_id 0
		.amdhsa_user_sgpr_kernarg_preload_length 0
		.amdhsa_user_sgpr_kernarg_preload_offset 0
		.amdhsa_user_sgpr_private_segment_size 0
		.amdhsa_uses_dynamic_stack 0
		.amdhsa_enable_private_segment 0
		.amdhsa_system_sgpr_workgroup_id_x 1
		.amdhsa_system_sgpr_workgroup_id_y 0
		.amdhsa_system_sgpr_workgroup_id_z 0
		.amdhsa_system_sgpr_workgroup_info 0
		.amdhsa_system_vgpr_workitem_id 0
		.amdhsa_next_free_vgpr 30
		.amdhsa_next_free_sgpr 78
		.amdhsa_accum_offset 32
		.amdhsa_reserve_vcc 1
		.amdhsa_float_round_mode_32 0
		.amdhsa_float_round_mode_16_64 0
		.amdhsa_float_denorm_mode_32 3
		.amdhsa_float_denorm_mode_16_64 3
		.amdhsa_dx10_clamp 1
		.amdhsa_ieee_mode 1
		.amdhsa_fp16_overflow 0
		.amdhsa_tg_split 0
		.amdhsa_exception_fp_ieee_invalid_op 0
		.amdhsa_exception_fp_denorm_src 0
		.amdhsa_exception_fp_ieee_div_zero 0
		.amdhsa_exception_fp_ieee_overflow 0
		.amdhsa_exception_fp_ieee_underflow 0
		.amdhsa_exception_fp_ieee_inexact 0
		.amdhsa_exception_int_div_zero 0
	.end_amdhsa_kernel
	.section	.text._ZN9rocsparseL41csrgemm_numeric_fill_block_per_row_kernelILj1024ELj32ELj2048ELj137ELj32ElidEEvT5_PKS1_S3_NS_24const_host_device_scalarIT6_EEPKT4_S3_PKS5_S9_S3_SB_S6_S9_S3_SB_S9_S3_PS5_21rocsparse_index_base_SD_SD_SD_bbb,"axG",@progbits,_ZN9rocsparseL41csrgemm_numeric_fill_block_per_row_kernelILj1024ELj32ELj2048ELj137ELj32ElidEEvT5_PKS1_S3_NS_24const_host_device_scalarIT6_EEPKT4_S3_PKS5_S9_S3_SB_S6_S9_S3_SB_S9_S3_PS5_21rocsparse_index_base_SD_SD_SD_bbb,comdat
.Lfunc_end188:
	.size	_ZN9rocsparseL41csrgemm_numeric_fill_block_per_row_kernelILj1024ELj32ELj2048ELj137ELj32ElidEEvT5_PKS1_S3_NS_24const_host_device_scalarIT6_EEPKT4_S3_PKS5_S9_S3_SB_S6_S9_S3_SB_S9_S3_PS5_21rocsparse_index_base_SD_SD_SD_bbb, .Lfunc_end188-_ZN9rocsparseL41csrgemm_numeric_fill_block_per_row_kernelILj1024ELj32ELj2048ELj137ELj32ElidEEvT5_PKS1_S3_NS_24const_host_device_scalarIT6_EEPKT4_S3_PKS5_S9_S3_SB_S6_S9_S3_SB_S9_S3_PS5_21rocsparse_index_base_SD_SD_SD_bbb
                                        ; -- End function
	.set _ZN9rocsparseL41csrgemm_numeric_fill_block_per_row_kernelILj1024ELj32ELj2048ELj137ELj32ElidEEvT5_PKS1_S3_NS_24const_host_device_scalarIT6_EEPKT4_S3_PKS5_S9_S3_SB_S6_S9_S3_SB_S9_S3_PS5_21rocsparse_index_base_SD_SD_SD_bbb.num_vgpr, 30
	.set _ZN9rocsparseL41csrgemm_numeric_fill_block_per_row_kernelILj1024ELj32ELj2048ELj137ELj32ElidEEvT5_PKS1_S3_NS_24const_host_device_scalarIT6_EEPKT4_S3_PKS5_S9_S3_SB_S6_S9_S3_SB_S9_S3_PS5_21rocsparse_index_base_SD_SD_SD_bbb.num_agpr, 0
	.set _ZN9rocsparseL41csrgemm_numeric_fill_block_per_row_kernelILj1024ELj32ELj2048ELj137ELj32ElidEEvT5_PKS1_S3_NS_24const_host_device_scalarIT6_EEPKT4_S3_PKS5_S9_S3_SB_S6_S9_S3_SB_S9_S3_PS5_21rocsparse_index_base_SD_SD_SD_bbb.numbered_sgpr, 78
	.set _ZN9rocsparseL41csrgemm_numeric_fill_block_per_row_kernelILj1024ELj32ELj2048ELj137ELj32ElidEEvT5_PKS1_S3_NS_24const_host_device_scalarIT6_EEPKT4_S3_PKS5_S9_S3_SB_S6_S9_S3_SB_S9_S3_PS5_21rocsparse_index_base_SD_SD_SD_bbb.num_named_barrier, 0
	.set _ZN9rocsparseL41csrgemm_numeric_fill_block_per_row_kernelILj1024ELj32ELj2048ELj137ELj32ElidEEvT5_PKS1_S3_NS_24const_host_device_scalarIT6_EEPKT4_S3_PKS5_S9_S3_SB_S6_S9_S3_SB_S9_S3_PS5_21rocsparse_index_base_SD_SD_SD_bbb.private_seg_size, 0
	.set _ZN9rocsparseL41csrgemm_numeric_fill_block_per_row_kernelILj1024ELj32ELj2048ELj137ELj32ElidEEvT5_PKS1_S3_NS_24const_host_device_scalarIT6_EEPKT4_S3_PKS5_S9_S3_SB_S6_S9_S3_SB_S9_S3_PS5_21rocsparse_index_base_SD_SD_SD_bbb.uses_vcc, 1
	.set _ZN9rocsparseL41csrgemm_numeric_fill_block_per_row_kernelILj1024ELj32ELj2048ELj137ELj32ElidEEvT5_PKS1_S3_NS_24const_host_device_scalarIT6_EEPKT4_S3_PKS5_S9_S3_SB_S6_S9_S3_SB_S9_S3_PS5_21rocsparse_index_base_SD_SD_SD_bbb.uses_flat_scratch, 0
	.set _ZN9rocsparseL41csrgemm_numeric_fill_block_per_row_kernelILj1024ELj32ELj2048ELj137ELj32ElidEEvT5_PKS1_S3_NS_24const_host_device_scalarIT6_EEPKT4_S3_PKS5_S9_S3_SB_S6_S9_S3_SB_S9_S3_PS5_21rocsparse_index_base_SD_SD_SD_bbb.has_dyn_sized_stack, 0
	.set _ZN9rocsparseL41csrgemm_numeric_fill_block_per_row_kernelILj1024ELj32ELj2048ELj137ELj32ElidEEvT5_PKS1_S3_NS_24const_host_device_scalarIT6_EEPKT4_S3_PKS5_S9_S3_SB_S6_S9_S3_SB_S9_S3_PS5_21rocsparse_index_base_SD_SD_SD_bbb.has_recursion, 0
	.set _ZN9rocsparseL41csrgemm_numeric_fill_block_per_row_kernelILj1024ELj32ELj2048ELj137ELj32ElidEEvT5_PKS1_S3_NS_24const_host_device_scalarIT6_EEPKT4_S3_PKS5_S9_S3_SB_S6_S9_S3_SB_S9_S3_PS5_21rocsparse_index_base_SD_SD_SD_bbb.has_indirect_call, 0
	.section	.AMDGPU.csdata,"",@progbits
; Kernel info:
; codeLenInByte = 3880
; TotalNumSgprs: 84
; NumVgprs: 30
; NumAgprs: 0
; TotalNumVgprs: 30
; ScratchSize: 0
; MemoryBound: 0
; FloatMode: 240
; IeeeMode: 1
; LDSByteSize: 0 bytes/workgroup (compile time only)
; SGPRBlocks: 10
; VGPRBlocks: 3
; NumSGPRsForWavesPerEU: 84
; NumVGPRsForWavesPerEU: 30
; AccumOffset: 32
; Occupancy: 8
; WaveLimiterHint : 1
; COMPUTE_PGM_RSRC2:SCRATCH_EN: 0
; COMPUTE_PGM_RSRC2:USER_SGPR: 2
; COMPUTE_PGM_RSRC2:TRAP_HANDLER: 0
; COMPUTE_PGM_RSRC2:TGID_X_EN: 1
; COMPUTE_PGM_RSRC2:TGID_Y_EN: 0
; COMPUTE_PGM_RSRC2:TGID_Z_EN: 0
; COMPUTE_PGM_RSRC2:TIDIG_COMP_CNT: 0
; COMPUTE_PGM_RSRC3_GFX90A:ACCUM_OFFSET: 7
; COMPUTE_PGM_RSRC3_GFX90A:TG_SPLIT: 0
	.section	.text._ZN9rocsparseL41csrgemm_numeric_fill_block_per_row_kernelILj1024ELj32ELj2048ELj137ELj64ElidEEvT5_PKS1_S3_NS_24const_host_device_scalarIT6_EEPKT4_S3_PKS5_S9_S3_SB_S6_S9_S3_SB_S9_S3_PS5_21rocsparse_index_base_SD_SD_SD_bbb,"axG",@progbits,_ZN9rocsparseL41csrgemm_numeric_fill_block_per_row_kernelILj1024ELj32ELj2048ELj137ELj64ElidEEvT5_PKS1_S3_NS_24const_host_device_scalarIT6_EEPKT4_S3_PKS5_S9_S3_SB_S6_S9_S3_SB_S9_S3_PS5_21rocsparse_index_base_SD_SD_SD_bbb,comdat
	.globl	_ZN9rocsparseL41csrgemm_numeric_fill_block_per_row_kernelILj1024ELj32ELj2048ELj137ELj64ElidEEvT5_PKS1_S3_NS_24const_host_device_scalarIT6_EEPKT4_S3_PKS5_S9_S3_SB_S6_S9_S3_SB_S9_S3_PS5_21rocsparse_index_base_SD_SD_SD_bbb ; -- Begin function _ZN9rocsparseL41csrgemm_numeric_fill_block_per_row_kernelILj1024ELj32ELj2048ELj137ELj64ElidEEvT5_PKS1_S3_NS_24const_host_device_scalarIT6_EEPKT4_S3_PKS5_S9_S3_SB_S6_S9_S3_SB_S9_S3_PS5_21rocsparse_index_base_SD_SD_SD_bbb
	.p2align	8
	.type	_ZN9rocsparseL41csrgemm_numeric_fill_block_per_row_kernelILj1024ELj32ELj2048ELj137ELj64ElidEEvT5_PKS1_S3_NS_24const_host_device_scalarIT6_EEPKT4_S3_PKS5_S9_S3_SB_S6_S9_S3_SB_S9_S3_PS5_21rocsparse_index_base_SD_SD_SD_bbb,@function
_ZN9rocsparseL41csrgemm_numeric_fill_block_per_row_kernelILj1024ELj32ELj2048ELj137ELj64ElidEEvT5_PKS1_S3_NS_24const_host_device_scalarIT6_EEPKT4_S3_PKS5_S9_S3_SB_S6_S9_S3_SB_S9_S3_PS5_21rocsparse_index_base_SD_SD_SD_bbb: ; @_ZN9rocsparseL41csrgemm_numeric_fill_block_per_row_kernelILj1024ELj32ELj2048ELj137ELj64ElidEEvT5_PKS1_S3_NS_24const_host_device_scalarIT6_EEPKT4_S3_PKS5_S9_S3_SB_S6_S9_S3_SB_S9_S3_PS5_21rocsparse_index_base_SD_SD_SD_bbb
; %bb.0:
	s_load_dword s3, s[0:1], 0x98
	s_load_dwordx4 s[44:47], s[0:1], 0x88
	s_load_dwordx2 s[4:5], s[0:1], 0x18
	s_load_dwordx2 s[24:25], s[0:1], 0x50
	s_waitcnt lgkmcnt(0)
	s_bitcmp1_b32 s3, 0
	s_cselect_b64 s[22:23], -1, 0
	s_bitcmp1_b32 s3, 16
	s_cselect_b64 s[26:27], -1, 0
	s_xor_b64 s[6:7], s[22:23], -1
	s_or_b64 s[6:7], s[26:27], s[6:7]
	s_and_b64 s[8:9], s[22:23], exec
	s_cselect_b32 s9, s5, 0
	s_cselect_b32 s8, s4, 0
	s_and_b64 vcc, exec, s[6:7]
	v_mov_b64_e32 v[4:5], s[8:9]
	s_cbranch_vccnz .LBB189_2
; %bb.1:
	v_mov_b64_e32 v[2:3], s[4:5]
	flat_load_dwordx2 v[4:5], v[2:3]
.LBB189_2:
	s_load_dwordx2 s[34:35], s[0:1], 0x80
	s_load_dwordx8 s[36:43], s[0:1], 0x58
	s_load_dwordx4 s[12:15], s[0:1], 0x40
	s_load_dwordx4 s[16:19], s[0:1], 0x8
	s_load_dwordx8 s[4:11], s[0:1], 0x20
	s_bitcmp1_b32 s3, 8
	s_cselect_b64 s[20:21], -1, 0
	s_xor_b64 s[28:29], s[20:21], -1
	s_or_b64 s[26:27], s[26:27], s[28:29]
	s_and_b64 s[28:29], s[20:21], exec
	s_cselect_b32 s29, s25, 0
	s_cselect_b32 s28, s24, 0
	s_and_b64 vcc, exec, s[26:27]
	v_mov_b64_e32 v[2:3], s[28:29]
	s_cbranch_vccnz .LBB189_4
; %bb.3:
	v_mov_b64_e32 v[2:3], s[24:25]
	flat_load_dwordx2 v[2:3], v[2:3]
.LBB189_4:
	s_load_dword s33, s[0:1], 0x0
	v_lshl_add_u32 v1, v0, 3, 0
	v_mov_b32_e32 v6, 0
	v_add_u32_e32 v1, 0x2000, v1
	v_or_b32_e32 v18, 0xfffffc00, v0
	v_lshl_add_u32 v19, v0, 2, 0
	s_mov_b64 s[0:1], 0
	s_waitcnt lgkmcnt(0)
	v_mov_b32_e32 v11, s33
	v_mov_b32_e32 v7, v6
	;; [unrolled: 1-line block ×5, first 2 shown]
.LBB189_5:                              ; =>This Inner Loop Header: Depth=1
	v_add_co_u32_e32 v9, vcc, 0x400, v9
	s_xor_b64 s[24:25], vcc, -1
	s_and_b64 s[24:25], exec, s[24:25]
	ds_write_b32 v8, v11
	ds_write_b64 v10, v[6:7]
	v_add_u32_e32 v10, 0x2000, v10
	s_or_b64 s[0:1], s[24:25], s[0:1]
	v_add_u32_e32 v8, 0x1000, v8
	s_andn2_b64 exec, exec, s[0:1]
	s_cbranch_execnz .LBB189_5
; %bb.6:
	s_or_b64 exec, exec, s[0:1]
	s_waitcnt lgkmcnt(0)
	s_barrier
	s_load_dword s0, s[16:17], 0x0
	s_mov_b32 s1, 0
	s_waitcnt lgkmcnt(0)
	s_add_i32 s0, s0, s2
	s_lshl_b64 s[0:1], s[0:1], 2
	s_add_u32 s0, s18, s0
	s_addc_u32 s1, s19, s1
	s_load_dword s48, s[0:1], 0x0
	s_and_b64 vcc, exec, s[22:23]
	s_cbranch_vccz .LBB189_24
; %bb.7:
	s_waitcnt lgkmcnt(0)
	s_ashr_i32 s49, s48, 31
	s_lshl_b64 s[0:1], s[48:49], 3
	s_add_u32 s0, s4, s0
	s_addc_u32 s1, s5, s1
	s_load_dwordx4 s[16:19], s[0:1], 0x0
	v_lshrrev_b32_e32 v6, 5, v0
	v_subrev_co_u32_e32 v6, vcc, s44, v6
	s_waitcnt lgkmcnt(0)
	s_sub_u32 s0, s18, s44
	v_subb_co_u32_e64 v7, s[2:3], 0, 0, vcc
	s_subb_u32 s1, s19, 0
	v_lshl_add_u64 v[6:7], s[16:17], 0, v[6:7]
	v_cmp_gt_i64_e32 vcc, s[0:1], v[6:7]
	s_and_saveexec_b64 s[2:3], vcc
	s_cbranch_execz .LBB189_23
; %bb.8:
	v_and_b32_e32 v8, 31, v0
	v_subrev_co_u32_e32 v8, vcc, s45, v8
	s_mov_b32 s49, s45
	s_nop 0
	v_subb_co_u32_e64 v9, s[4:5], 0, 0, vcc
	s_mov_b64 s[4:5], 0
	s_movk_i32 s50, 0x89
	s_branch .LBB189_10
.LBB189_9:                              ;   in Loop: Header=BB189_10 Depth=1
	s_or_b64 exec, exec, s[16:17]
	v_lshl_add_u64 v[6:7], v[6:7], 0, 32
	v_cmp_le_i64_e32 vcc, s[0:1], v[6:7]
	s_or_b64 s[4:5], vcc, s[4:5]
	s_andn2_b64 exec, exec, s[4:5]
	s_cbranch_execz .LBB189_23
.LBB189_10:                             ; =>This Loop Header: Depth=1
                                        ;     Child Loop BB189_14 Depth 2
                                        ;       Child Loop BB189_17 Depth 3
	v_lshl_add_u64 v[10:11], v[6:7], 2, s[6:7]
	global_load_dword v10, v[10:11], off
	s_waitcnt vmcnt(0)
	v_subrev_u32_e32 v10, s44, v10
	v_ashrrev_i32_e32 v11, 31, v10
	v_lshl_add_u64 v[10:11], v[10:11], 3, s[10:11]
	global_load_dwordx4 v[12:15], v[10:11], off
	s_waitcnt vmcnt(0)
	v_subrev_co_u32_e32 v10, vcc, s49, v14
	s_nop 1
	v_subbrev_co_u32_e32 v11, vcc, 0, v15, vcc
	v_lshl_add_u64 v[12:13], v[12:13], 0, v[8:9]
	v_cmp_lt_i64_e32 vcc, v[12:13], v[10:11]
	s_and_saveexec_b64 s[16:17], vcc
	s_cbranch_execz .LBB189_9
; %bb.11:                               ;   in Loop: Header=BB189_10 Depth=1
	v_lshl_add_u64 v[14:15], v[6:7], 3, s[8:9]
	global_load_dwordx2 v[14:15], v[14:15], off
	s_mov_b64 s[18:19], 0
	s_waitcnt vmcnt(0)
	v_mul_f64 v[14:15], v[4:5], v[14:15]
	s_branch .LBB189_14
.LBB189_12:                             ;   in Loop: Header=BB189_14 Depth=2
	s_or_b64 exec, exec, s[24:25]
.LBB189_13:                             ;   in Loop: Header=BB189_14 Depth=2
	s_or_b64 exec, exec, s[22:23]
	s_waitcnt vmcnt(0)
	v_mul_f64 v[16:17], v[14:15], v[16:17]
	v_lshl_add_u32 v20, v20, 3, 0
	ds_add_f64 v20, v[16:17] offset:8192
	v_lshl_add_u64 v[12:13], v[12:13], 0, 32
	v_cmp_ge_i64_e32 vcc, v[12:13], v[10:11]
	s_or_b64 s[18:19], vcc, s[18:19]
	s_andn2_b64 exec, exec, s[18:19]
	s_cbranch_execz .LBB189_9
.LBB189_14:                             ;   Parent Loop BB189_10 Depth=1
                                        ; =>  This Loop Header: Depth=2
                                        ;       Child Loop BB189_17 Depth 3
	v_lshl_add_u64 v[16:17], v[12:13], 2, s[12:13]
	global_load_dword v20, v[16:17], off
	v_lshl_add_u64 v[16:17], v[12:13], 3, s[14:15]
	global_load_dwordx2 v[16:17], v[16:17], off
	s_waitcnt vmcnt(1)
	v_subrev_u32_e32 v21, s45, v20
	v_mul_lo_u32 v20, v21, s50
	v_and_b32_e32 v20, 0x7ff, v20
	v_lshl_add_u32 v22, v20, 2, 0
	ds_read_b32 v23, v22
	s_waitcnt lgkmcnt(0)
	v_cmp_ne_u32_e32 vcc, v23, v21
	s_and_saveexec_b64 s[22:23], vcc
	s_cbranch_execz .LBB189_13
; %bb.15:                               ;   in Loop: Header=BB189_14 Depth=2
	s_mov_b64 s[24:25], 0
	s_branch .LBB189_17
.LBB189_16:                             ;   in Loop: Header=BB189_17 Depth=3
	s_or_b64 exec, exec, s[30:31]
	s_and_b64 s[26:27], exec, s[28:29]
	s_or_b64 s[24:25], s[26:27], s[24:25]
	s_andn2_b64 exec, exec, s[24:25]
	s_cbranch_execz .LBB189_12
.LBB189_17:                             ;   Parent Loop BB189_10 Depth=1
                                        ;     Parent Loop BB189_14 Depth=2
                                        ; =>    This Inner Loop Header: Depth=3
	v_cmp_ne_u32_e32 vcc, s33, v23
	s_mov_b64 s[26:27], 0
	s_and_saveexec_b64 s[28:29], vcc
	s_xor_b64 s[28:29], exec, s[28:29]
	s_cbranch_execz .LBB189_19
; %bb.18:                               ;   in Loop: Header=BB189_17 Depth=3
	v_add_u32_e32 v20, 1, v20
	s_mov_b64 s[26:27], exec
	v_and_b32_e32 v20, 0x7ff, v20
                                        ; implicit-def: $vgpr22
	s_andn2_saveexec_b64 s[28:29], s[28:29]
	s_cbranch_execz .LBB189_21
	s_branch .LBB189_20
.LBB189_19:                             ;   in Loop: Header=BB189_17 Depth=3
	s_andn2_saveexec_b64 s[28:29], s[28:29]
	s_cbranch_execz .LBB189_21
.LBB189_20:                             ;   in Loop: Header=BB189_17 Depth=3
	v_mov_b32_e32 v23, s33
	ds_cmpst_rtn_b32 v22, v22, v23, v21
	s_andn2_b64 s[26:27], s[26:27], exec
	s_waitcnt lgkmcnt(0)
	v_cmp_ne_u32_e32 vcc, s33, v22
	s_and_b64 s[30:31], vcc, exec
	s_or_b64 s[26:27], s[26:27], s[30:31]
.LBB189_21:                             ;   in Loop: Header=BB189_17 Depth=3
	s_or_b64 exec, exec, s[28:29]
	s_mov_b64 s[28:29], -1
                                        ; implicit-def: $vgpr22
                                        ; implicit-def: $vgpr23
	s_and_saveexec_b64 s[30:31], s[26:27]
	s_cbranch_execz .LBB189_16
; %bb.22:                               ;   in Loop: Header=BB189_17 Depth=3
	v_lshl_add_u32 v22, v20, 2, 0
	ds_read_b32 v23, v22
	s_waitcnt lgkmcnt(0)
	v_cmp_eq_u32_e32 vcc, v23, v21
	s_orn2_b64 s[28:29], vcc, exec
	s_branch .LBB189_16
.LBB189_23:
	s_or_b64 exec, exec, s[2:3]
.LBB189_24:
	s_andn2_b64 vcc, exec, s[20:21]
	s_cbranch_vccnz .LBB189_39
; %bb.25:
	s_waitcnt lgkmcnt(0)
	s_ashr_i32 s49, s48, 31
	s_lshl_b64 s[0:1], s[48:49], 3
	s_add_u32 s0, s36, s0
	s_addc_u32 s1, s37, s1
	s_load_dwordx4 s[4:7], s[0:1], 0x0
	s_waitcnt vmcnt(0)
	v_subrev_co_u32_e32 v4, vcc, s47, v0
	s_nop 1
	v_subb_co_u32_e64 v5, s[0:1], 0, 0, vcc
	s_waitcnt lgkmcnt(0)
	s_sub_u32 s0, s6, s47
	s_subb_u32 s1, s7, 0
	v_lshl_add_u64 v[4:5], s[4:5], 0, v[4:5]
	v_cmp_gt_i64_e32 vcc, s[0:1], v[4:5]
	s_and_saveexec_b64 s[2:3], vcc
	s_cbranch_execz .LBB189_38
; %bb.26:
	s_mov_b64 s[4:5], 0
	s_movk_i32 s18, 0x89
	s_mov_b64 s[6:7], 0x400
	s_branch .LBB189_29
.LBB189_27:                             ;   in Loop: Header=BB189_29 Depth=1
	s_or_b64 exec, exec, s[10:11]
.LBB189_28:                             ;   in Loop: Header=BB189_29 Depth=1
	s_or_b64 exec, exec, s[8:9]
	s_waitcnt vmcnt(0)
	v_mul_f64 v[6:7], v[2:3], v[6:7]
	v_lshl_add_u32 v8, v8, 3, 0
	ds_add_f64 v8, v[6:7] offset:8192
	v_lshl_add_u64 v[4:5], v[4:5], 0, s[6:7]
	v_cmp_le_i64_e32 vcc, s[0:1], v[4:5]
	s_or_b64 s[4:5], vcc, s[4:5]
	s_andn2_b64 exec, exec, s[4:5]
	s_cbranch_execz .LBB189_38
.LBB189_29:                             ; =>This Loop Header: Depth=1
                                        ;     Child Loop BB189_32 Depth 2
	v_lshl_add_u64 v[6:7], v[4:5], 2, s[38:39]
	global_load_dword v8, v[6:7], off
	v_lshl_add_u64 v[6:7], v[4:5], 3, s[40:41]
	global_load_dwordx2 v[6:7], v[6:7], off
	s_waitcnt vmcnt(1)
	v_subrev_u32_e32 v9, s47, v8
	v_mul_lo_u32 v8, v9, s18
	v_and_b32_e32 v8, 0x7ff, v8
	v_lshl_add_u32 v10, v8, 2, 0
	ds_read_b32 v11, v10
	s_waitcnt lgkmcnt(0)
	v_cmp_ne_u32_e32 vcc, v11, v9
	s_and_saveexec_b64 s[8:9], vcc
	s_cbranch_execz .LBB189_28
; %bb.30:                               ;   in Loop: Header=BB189_29 Depth=1
	s_mov_b64 s[10:11], 0
	s_branch .LBB189_32
.LBB189_31:                             ;   in Loop: Header=BB189_32 Depth=2
	s_or_b64 exec, exec, s[16:17]
	s_and_b64 s[12:13], exec, s[14:15]
	s_or_b64 s[10:11], s[12:13], s[10:11]
	s_andn2_b64 exec, exec, s[10:11]
	s_cbranch_execz .LBB189_27
.LBB189_32:                             ;   Parent Loop BB189_29 Depth=1
                                        ; =>  This Inner Loop Header: Depth=2
	v_cmp_ne_u32_e32 vcc, s33, v11
	s_mov_b64 s[12:13], 0
	s_and_saveexec_b64 s[14:15], vcc
	s_xor_b64 s[14:15], exec, s[14:15]
	s_cbranch_execz .LBB189_34
; %bb.33:                               ;   in Loop: Header=BB189_32 Depth=2
	v_add_u32_e32 v8, 1, v8
	s_mov_b64 s[12:13], exec
	v_and_b32_e32 v8, 0x7ff, v8
                                        ; implicit-def: $vgpr10
	s_andn2_saveexec_b64 s[14:15], s[14:15]
	s_cbranch_execz .LBB189_36
	s_branch .LBB189_35
.LBB189_34:                             ;   in Loop: Header=BB189_32 Depth=2
	s_andn2_saveexec_b64 s[14:15], s[14:15]
	s_cbranch_execz .LBB189_36
.LBB189_35:                             ;   in Loop: Header=BB189_32 Depth=2
	v_mov_b32_e32 v11, s33
	ds_cmpst_rtn_b32 v10, v10, v11, v9
	s_andn2_b64 s[12:13], s[12:13], exec
	s_waitcnt lgkmcnt(0)
	v_cmp_ne_u32_e32 vcc, s33, v10
	s_and_b64 s[16:17], vcc, exec
	s_or_b64 s[12:13], s[12:13], s[16:17]
.LBB189_36:                             ;   in Loop: Header=BB189_32 Depth=2
	s_or_b64 exec, exec, s[14:15]
	s_mov_b64 s[14:15], -1
                                        ; implicit-def: $vgpr10
                                        ; implicit-def: $vgpr11
	s_and_saveexec_b64 s[16:17], s[12:13]
	s_cbranch_execz .LBB189_31
; %bb.37:                               ;   in Loop: Header=BB189_32 Depth=2
	v_lshl_add_u32 v10, v8, 2, 0
	ds_read_b32 v11, v10
	s_waitcnt lgkmcnt(0)
	v_cmp_eq_u32_e32 vcc, v11, v9
	s_orn2_b64 s[14:15], vcc, exec
	s_branch .LBB189_31
.LBB189_38:
	s_or_b64 exec, exec, s[2:3]
.LBB189_39:
	s_waitcnt vmcnt(0)
	v_mbcnt_lo_u32_b32 v2, -1, 0
	v_mbcnt_hi_u32_b32 v2, -1, v2
	v_lshrrev_b32_e32 v4, 4, v0
	v_sub_u32_e32 v2, 63, v2
	v_and_b32_e32 v4, 60, v4
	s_movk_i32 s0, 0x3ff
	s_movk_i32 s4, 0x7f
	;; [unrolled: 1-line block ×15, first 2 shown]
	v_mov_b32_e32 v6, 0
	v_lshrrev_b64 v[2:3], v2, -1
	v_add_u32_e32 v7, 0, v4
	v_cmp_eq_u32_e64 s[0:1], s0, v0
	v_cmp_lt_u32_e64 s[2:3], 63, v0
	v_cmp_lt_u32_e64 s[4:5], s4, v0
	;; [unrolled: 1-line block ×15, first 2 shown]
	s_mov_b64 s[36:37], 0
	v_mov_b32_e32 v8, 0
	s_waitcnt lgkmcnt(0)
	s_barrier
	s_branch .LBB189_41
.LBB189_40:                             ;   in Loop: Header=BB189_41 Depth=1
	s_or_b64 exec, exec, s[38:39]
	s_waitcnt lgkmcnt(0)
	s_barrier
	ds_read_b32 v4, v6 offset:24636
	v_add_co_u32_e32 v18, vcc, 0x400, v18
	s_xor_b64 s[38:39], vcc, -1
	s_and_b64 s[38:39], exec, s[38:39]
	v_add_u32_e32 v1, 0x2000, v1
	s_waitcnt lgkmcnt(0)
	v_add_u32_e32 v8, v4, v8
	s_or_b64 s[36:37], s[38:39], s[36:37]
	v_add_u32_e32 v19, 0x1000, v19
	s_andn2_b64 exec, exec, s[36:37]
	s_cbranch_execz .LBB189_75
.LBB189_41:                             ; =>This Inner Loop Header: Depth=1
	ds_read_b32 v9, v19
	ds_read_b64 v[4:5], v1
	s_waitcnt lgkmcnt(0)
	s_barrier
	v_cmp_gt_i32_e32 vcc, s33, v9
	s_bcnt1_i32_b64 s38, vcc
	s_nop 0
	v_and_b32_e32 v11, vcc_lo, v2
	v_and_b32_e32 v10, vcc_hi, v3
	v_bcnt_u32_b32 v11, v11, 0
	v_bcnt_u32_b32 v10, v10, v11
	v_mov_b32_e32 v11, s38
	ds_write_b32 v7, v11 offset:24576
	s_waitcnt lgkmcnt(0)
	s_barrier
	s_and_saveexec_b64 s[38:39], s[2:3]
	s_cbranch_execz .LBB189_58
; %bb.42:                               ;   in Loop: Header=BB189_41 Depth=1
	ds_read_b32 v11, v6 offset:24576
	s_waitcnt lgkmcnt(0)
	v_add_u32_e32 v10, v11, v10
	s_or_b64 exec, exec, s[38:39]
	s_and_saveexec_b64 s[38:39], s[4:5]
	s_cbranch_execnz .LBB189_59
.LBB189_43:                             ;   in Loop: Header=BB189_41 Depth=1
	s_or_b64 exec, exec, s[38:39]
	s_and_saveexec_b64 s[38:39], s[6:7]
	s_cbranch_execz .LBB189_60
.LBB189_44:                             ;   in Loop: Header=BB189_41 Depth=1
	ds_read_b32 v11, v6 offset:24584
	s_waitcnt lgkmcnt(0)
	v_add_u32_e32 v10, v11, v10
	s_or_b64 exec, exec, s[38:39]
	s_and_saveexec_b64 s[38:39], s[8:9]
	s_cbranch_execnz .LBB189_61
.LBB189_45:                             ;   in Loop: Header=BB189_41 Depth=1
	s_or_b64 exec, exec, s[38:39]
	s_and_saveexec_b64 s[38:39], s[10:11]
	s_cbranch_execz .LBB189_62
.LBB189_46:                             ;   in Loop: Header=BB189_41 Depth=1
	ds_read_b32 v11, v6 offset:24592
	s_waitcnt lgkmcnt(0)
	v_add_u32_e32 v10, v11, v10
	s_or_b64 exec, exec, s[38:39]
	s_and_saveexec_b64 s[38:39], s[12:13]
	s_cbranch_execnz .LBB189_63
.LBB189_47:                             ;   in Loop: Header=BB189_41 Depth=1
	s_or_b64 exec, exec, s[38:39]
	s_and_saveexec_b64 s[38:39], s[14:15]
	s_cbranch_execz .LBB189_64
.LBB189_48:                             ;   in Loop: Header=BB189_41 Depth=1
	ds_read_b32 v11, v6 offset:24600
	s_waitcnt lgkmcnt(0)
	v_add_u32_e32 v10, v11, v10
	s_or_b64 exec, exec, s[38:39]
	s_and_saveexec_b64 s[38:39], s[16:17]
	s_cbranch_execnz .LBB189_65
.LBB189_49:                             ;   in Loop: Header=BB189_41 Depth=1
	s_or_b64 exec, exec, s[38:39]
	s_and_saveexec_b64 s[38:39], s[18:19]
	s_cbranch_execz .LBB189_66
.LBB189_50:                             ;   in Loop: Header=BB189_41 Depth=1
	ds_read_b32 v11, v6 offset:24608
	s_waitcnt lgkmcnt(0)
	v_add_u32_e32 v10, v11, v10
	s_or_b64 exec, exec, s[38:39]
	s_and_saveexec_b64 s[38:39], s[20:21]
	s_cbranch_execnz .LBB189_67
.LBB189_51:                             ;   in Loop: Header=BB189_41 Depth=1
	s_or_b64 exec, exec, s[38:39]
	s_and_saveexec_b64 s[38:39], s[22:23]
	s_cbranch_execz .LBB189_68
.LBB189_52:                             ;   in Loop: Header=BB189_41 Depth=1
	ds_read_b32 v11, v6 offset:24616
	s_waitcnt lgkmcnt(0)
	v_add_u32_e32 v10, v11, v10
	s_or_b64 exec, exec, s[38:39]
	s_and_saveexec_b64 s[38:39], s[24:25]
	s_cbranch_execnz .LBB189_69
.LBB189_53:                             ;   in Loop: Header=BB189_41 Depth=1
	s_or_b64 exec, exec, s[38:39]
	s_and_saveexec_b64 s[38:39], s[26:27]
	s_cbranch_execz .LBB189_70
.LBB189_54:                             ;   in Loop: Header=BB189_41 Depth=1
	ds_read_b32 v11, v6 offset:24624
	s_waitcnt lgkmcnt(0)
	v_add_u32_e32 v10, v11, v10
	s_or_b64 exec, exec, s[38:39]
	s_and_saveexec_b64 s[38:39], s[28:29]
	s_cbranch_execnz .LBB189_71
.LBB189_55:                             ;   in Loop: Header=BB189_41 Depth=1
	s_or_b64 exec, exec, s[38:39]
	s_and_saveexec_b64 s[38:39], s[30:31]
	s_cbranch_execz .LBB189_72
.LBB189_56:                             ;   in Loop: Header=BB189_41 Depth=1
	ds_read_b32 v11, v6 offset:24632
	s_waitcnt lgkmcnt(0)
	v_add_u32_e32 v10, v11, v10
	s_or_b64 exec, exec, s[38:39]
	s_and_saveexec_b64 s[38:39], vcc
	s_cbranch_execnz .LBB189_73
.LBB189_57:                             ;   in Loop: Header=BB189_41 Depth=1
	s_or_b64 exec, exec, s[38:39]
	s_and_saveexec_b64 s[38:39], s[0:1]
	s_cbranch_execz .LBB189_40
	s_branch .LBB189_74
.LBB189_58:                             ;   in Loop: Header=BB189_41 Depth=1
	s_or_b64 exec, exec, s[38:39]
	s_and_saveexec_b64 s[38:39], s[4:5]
	s_cbranch_execz .LBB189_43
.LBB189_59:                             ;   in Loop: Header=BB189_41 Depth=1
	ds_read_b32 v11, v6 offset:24580
	s_waitcnt lgkmcnt(0)
	v_add_u32_e32 v10, v11, v10
	s_or_b64 exec, exec, s[38:39]
	s_and_saveexec_b64 s[38:39], s[6:7]
	s_cbranch_execnz .LBB189_44
.LBB189_60:                             ;   in Loop: Header=BB189_41 Depth=1
	s_or_b64 exec, exec, s[38:39]
	s_and_saveexec_b64 s[38:39], s[8:9]
	s_cbranch_execz .LBB189_45
.LBB189_61:                             ;   in Loop: Header=BB189_41 Depth=1
	ds_read_b32 v11, v6 offset:24588
	s_waitcnt lgkmcnt(0)
	v_add_u32_e32 v10, v11, v10
	s_or_b64 exec, exec, s[38:39]
	s_and_saveexec_b64 s[38:39], s[10:11]
	s_cbranch_execnz .LBB189_46
.LBB189_62:                             ;   in Loop: Header=BB189_41 Depth=1
	s_or_b64 exec, exec, s[38:39]
	s_and_saveexec_b64 s[38:39], s[12:13]
	s_cbranch_execz .LBB189_47
.LBB189_63:                             ;   in Loop: Header=BB189_41 Depth=1
	ds_read_b32 v11, v6 offset:24596
	s_waitcnt lgkmcnt(0)
	v_add_u32_e32 v10, v11, v10
	s_or_b64 exec, exec, s[38:39]
	s_and_saveexec_b64 s[38:39], s[14:15]
	s_cbranch_execnz .LBB189_48
.LBB189_64:                             ;   in Loop: Header=BB189_41 Depth=1
	s_or_b64 exec, exec, s[38:39]
	s_and_saveexec_b64 s[38:39], s[16:17]
	s_cbranch_execz .LBB189_49
.LBB189_65:                             ;   in Loop: Header=BB189_41 Depth=1
	ds_read_b32 v11, v6 offset:24604
	s_waitcnt lgkmcnt(0)
	v_add_u32_e32 v10, v11, v10
	s_or_b64 exec, exec, s[38:39]
	s_and_saveexec_b64 s[38:39], s[18:19]
	s_cbranch_execnz .LBB189_50
.LBB189_66:                             ;   in Loop: Header=BB189_41 Depth=1
	s_or_b64 exec, exec, s[38:39]
	s_and_saveexec_b64 s[38:39], s[20:21]
	s_cbranch_execz .LBB189_51
.LBB189_67:                             ;   in Loop: Header=BB189_41 Depth=1
	ds_read_b32 v11, v6 offset:24612
	s_waitcnt lgkmcnt(0)
	v_add_u32_e32 v10, v11, v10
	s_or_b64 exec, exec, s[38:39]
	s_and_saveexec_b64 s[38:39], s[22:23]
	s_cbranch_execnz .LBB189_52
.LBB189_68:                             ;   in Loop: Header=BB189_41 Depth=1
	s_or_b64 exec, exec, s[38:39]
	s_and_saveexec_b64 s[38:39], s[24:25]
	s_cbranch_execz .LBB189_53
.LBB189_69:                             ;   in Loop: Header=BB189_41 Depth=1
	ds_read_b32 v11, v6 offset:24620
	s_waitcnt lgkmcnt(0)
	v_add_u32_e32 v10, v11, v10
	s_or_b64 exec, exec, s[38:39]
	s_and_saveexec_b64 s[38:39], s[26:27]
	s_cbranch_execnz .LBB189_54
.LBB189_70:                             ;   in Loop: Header=BB189_41 Depth=1
	s_or_b64 exec, exec, s[38:39]
	s_and_saveexec_b64 s[38:39], s[28:29]
	s_cbranch_execz .LBB189_55
.LBB189_71:                             ;   in Loop: Header=BB189_41 Depth=1
	ds_read_b32 v11, v6 offset:24628
	s_waitcnt lgkmcnt(0)
	v_add_u32_e32 v10, v11, v10
	s_or_b64 exec, exec, s[38:39]
	s_and_saveexec_b64 s[38:39], s[30:31]
	s_cbranch_execnz .LBB189_56
.LBB189_72:                             ;   in Loop: Header=BB189_41 Depth=1
	s_or_b64 exec, exec, s[38:39]
	s_and_saveexec_b64 s[38:39], vcc
	s_cbranch_execz .LBB189_57
.LBB189_73:                             ;   in Loop: Header=BB189_41 Depth=1
	v_add3_u32 v11, v8, -1, v10
	v_lshl_add_u32 v11, v11, 2, 0
	v_add_u32_e32 v12, v8, v10
	v_lshl_add_u32 v12, v12, 3, 0
	ds_write_b32 v11, v9
	ds_write_b64 v12, v[4:5] offset:8184
	s_or_b64 exec, exec, s[38:39]
	s_and_saveexec_b64 s[38:39], s[0:1]
	s_cbranch_execz .LBB189_40
.LBB189_74:                             ;   in Loop: Header=BB189_41 Depth=1
	ds_write_b32 v6, v10 offset:24636
	s_branch .LBB189_40
.LBB189_75:
	s_or_b64 exec, exec, s[36:37]
	s_ashr_i32 s49, s48, 31
	s_lshl_b64 s[0:1], s[48:49], 3
	s_add_u32 s4, s42, s0
	s_addc_u32 s5, s43, s1
	s_load_dwordx4 s[0:3], s[4:5], 0x0
	s_waitcnt lgkmcnt(0)
	s_sub_i32 s8, s2, s0
	v_cmp_gt_i32_e32 vcc, s8, v0
	s_and_saveexec_b64 s[4:5], vcc
	s_cbranch_execz .LBB189_85
; %bb.76:
	s_sub_u32 s4, s0, s46
	s_subb_u32 s5, s1, 0
	s_and_b32 s10, s8, 7
	s_sub_i32 s0, s0, s2
	s_cmp_lt_u32 s0, -7
	s_cselect_b64 s[0:1], -1, 0
	s_and_b32 s11, s8, -8
	s_cmp_lg_u32 s10, 0
	v_cndmask_b32_e64 v1, 0, 1, s[0:1]
	s_cselect_b64 s[2:3], -1, 0
	v_cmp_ne_u32_e64 s[0:1], 1, v1
	v_cndmask_b32_e64 v1, 0, 1, s[2:3]
	s_mov_b32 s9, 0
	s_mov_b64 s[6:7], 0
	v_cmp_ne_u32_e64 s[2:3], 1, v1
	s_branch .LBB189_78
.LBB189_77:                             ;   in Loop: Header=BB189_78 Depth=1
	v_add_u32_e32 v0, 0x400, v0
	v_cmp_le_i32_e32 vcc, s8, v0
	v_lshl_add_u64 v[4:5], v[4:5], 3, s[34:35]
	s_or_b64 s[6:7], vcc, s[6:7]
	s_waitcnt lgkmcnt(0)
	global_store_dwordx2 v[4:5], v[2:3], off
	s_andn2_b64 exec, exec, s[6:7]
	s_cbranch_execz .LBB189_85
.LBB189_78:                             ; =>This Loop Header: Depth=1
                                        ;     Child Loop BB189_80 Depth 2
                                        ;     Child Loop BB189_84 Depth 2
	v_lshlrev_b32_e32 v1, 2, v0
	v_add_u32_e32 v2, 0, v1
	v_add_u32_e32 v3, v2, v1
	ds_read_b32 v1, v2
	ds_read_b64 v[2:3], v3 offset:8192
	s_and_b64 vcc, exec, s[0:1]
	v_mov_b64_e32 v[4:5], s[4:5]
	s_mov_b32 s12, 0
	s_cbranch_vccnz .LBB189_82
; %bb.79:                               ;   in Loop: Header=BB189_78 Depth=1
	s_mov_b32 s13, 0
	v_mov_b64_e32 v[4:5], s[4:5]
.LBB189_80:                             ;   Parent Loop BB189_78 Depth=1
                                        ; =>  This Inner Loop Header: Depth=2
	v_mov_b32_e32 v6, s13
	ds_read2_b32 v[22:23], v6 offset1:1
	ds_read2_b32 v[24:25], v6 offset0:2 offset1:3
	ds_read2_b32 v[26:27], v6 offset0:4 offset1:5
	;; [unrolled: 1-line block ×3, first 2 shown]
	v_mov_b32_e32 v7, s9
	s_waitcnt lgkmcnt(3)
	v_cmp_gt_i32_e32 vcc, v1, v22
	v_mov_b32_e32 v9, s9
	v_mov_b32_e32 v11, s9
	v_cndmask_b32_e64 v6, 0, 1, vcc
	v_cmp_gt_i32_e32 vcc, v1, v23
	v_lshl_add_u64 v[4:5], v[4:5], 0, v[6:7]
	v_mov_b32_e32 v13, s9
	v_cndmask_b32_e64 v8, 0, 1, vcc
	s_waitcnt lgkmcnt(2)
	v_cmp_gt_i32_e32 vcc, v1, v24
	v_lshl_add_u64 v[4:5], v[4:5], 0, v[8:9]
	v_mov_b32_e32 v15, s9
	v_cndmask_b32_e64 v10, 0, 1, vcc
	v_cmp_gt_i32_e32 vcc, v1, v25
	v_lshl_add_u64 v[4:5], v[4:5], 0, v[10:11]
	v_mov_b32_e32 v17, s9
	v_cndmask_b32_e64 v12, 0, 1, vcc
	s_waitcnt lgkmcnt(1)
	v_cmp_gt_i32_e32 vcc, v1, v26
	v_lshl_add_u64 v[4:5], v[4:5], 0, v[12:13]
	;; [unrolled: 9-line block ×3, first 2 shown]
	s_add_i32 s12, s12, 8
	v_cndmask_b32_e64 v18, 0, 1, vcc
	v_cmp_gt_i32_e32 vcc, v1, v29
	s_add_i32 s13, s13, 32
	v_lshl_add_u64 v[4:5], v[4:5], 0, v[18:19]
	v_cndmask_b32_e64 v20, 0, 1, vcc
	s_cmp_eq_u32 s11, s12
	v_lshl_add_u64 v[4:5], v[4:5], 0, v[20:21]
	s_cbranch_scc0 .LBB189_80
; %bb.81:                               ;   in Loop: Header=BB189_78 Depth=1
	s_mov_b32 s12, s11
.LBB189_82:                             ;   in Loop: Header=BB189_78 Depth=1
	s_and_b64 vcc, exec, s[2:3]
	s_cbranch_vccnz .LBB189_77
; %bb.83:                               ;   in Loop: Header=BB189_78 Depth=1
	s_lshl_b32 s12, s12, 2
	s_add_i32 s12, s12, 0
	s_mov_b32 s13, s10
.LBB189_84:                             ;   Parent Loop BB189_78 Depth=1
                                        ; =>  This Inner Loop Header: Depth=2
	v_mov_b32_e32 v6, s12
	ds_read_b32 v6, v6
	v_mov_b32_e32 v7, s9
	s_add_i32 s12, s12, 4
	s_add_i32 s13, s13, -1
	s_cmp_lg_u32 s13, 0
	s_waitcnt lgkmcnt(0)
	v_cmp_gt_i32_e32 vcc, v1, v6
	s_nop 1
	v_cndmask_b32_e64 v6, 0, 1, vcc
	v_lshl_add_u64 v[4:5], v[4:5], 0, v[6:7]
	s_cbranch_scc1 .LBB189_84
	s_branch .LBB189_77
.LBB189_85:
	s_endpgm
	.section	.rodata,"a",@progbits
	.p2align	6, 0x0
	.amdhsa_kernel _ZN9rocsparseL41csrgemm_numeric_fill_block_per_row_kernelILj1024ELj32ELj2048ELj137ELj64ElidEEvT5_PKS1_S3_NS_24const_host_device_scalarIT6_EEPKT4_S3_PKS5_S9_S3_SB_S6_S9_S3_SB_S9_S3_PS5_21rocsparse_index_base_SD_SD_SD_bbb
		.amdhsa_group_segment_fixed_size 0
		.amdhsa_private_segment_fixed_size 0
		.amdhsa_kernarg_size 156
		.amdhsa_user_sgpr_count 2
		.amdhsa_user_sgpr_dispatch_ptr 0
		.amdhsa_user_sgpr_queue_ptr 0
		.amdhsa_user_sgpr_kernarg_segment_ptr 1
		.amdhsa_user_sgpr_dispatch_id 0
		.amdhsa_user_sgpr_kernarg_preload_length 0
		.amdhsa_user_sgpr_kernarg_preload_offset 0
		.amdhsa_user_sgpr_private_segment_size 0
		.amdhsa_uses_dynamic_stack 0
		.amdhsa_enable_private_segment 0
		.amdhsa_system_sgpr_workgroup_id_x 1
		.amdhsa_system_sgpr_workgroup_id_y 0
		.amdhsa_system_sgpr_workgroup_id_z 0
		.amdhsa_system_sgpr_workgroup_info 0
		.amdhsa_system_vgpr_workitem_id 0
		.amdhsa_next_free_vgpr 30
		.amdhsa_next_free_sgpr 51
		.amdhsa_accum_offset 32
		.amdhsa_reserve_vcc 1
		.amdhsa_float_round_mode_32 0
		.amdhsa_float_round_mode_16_64 0
		.amdhsa_float_denorm_mode_32 3
		.amdhsa_float_denorm_mode_16_64 3
		.amdhsa_dx10_clamp 1
		.amdhsa_ieee_mode 1
		.amdhsa_fp16_overflow 0
		.amdhsa_tg_split 0
		.amdhsa_exception_fp_ieee_invalid_op 0
		.amdhsa_exception_fp_denorm_src 0
		.amdhsa_exception_fp_ieee_div_zero 0
		.amdhsa_exception_fp_ieee_overflow 0
		.amdhsa_exception_fp_ieee_underflow 0
		.amdhsa_exception_fp_ieee_inexact 0
		.amdhsa_exception_int_div_zero 0
	.end_amdhsa_kernel
	.section	.text._ZN9rocsparseL41csrgemm_numeric_fill_block_per_row_kernelILj1024ELj32ELj2048ELj137ELj64ElidEEvT5_PKS1_S3_NS_24const_host_device_scalarIT6_EEPKT4_S3_PKS5_S9_S3_SB_S6_S9_S3_SB_S9_S3_PS5_21rocsparse_index_base_SD_SD_SD_bbb,"axG",@progbits,_ZN9rocsparseL41csrgemm_numeric_fill_block_per_row_kernelILj1024ELj32ELj2048ELj137ELj64ElidEEvT5_PKS1_S3_NS_24const_host_device_scalarIT6_EEPKT4_S3_PKS5_S9_S3_SB_S6_S9_S3_SB_S9_S3_PS5_21rocsparse_index_base_SD_SD_SD_bbb,comdat
.Lfunc_end189:
	.size	_ZN9rocsparseL41csrgemm_numeric_fill_block_per_row_kernelILj1024ELj32ELj2048ELj137ELj64ElidEEvT5_PKS1_S3_NS_24const_host_device_scalarIT6_EEPKT4_S3_PKS5_S9_S3_SB_S6_S9_S3_SB_S9_S3_PS5_21rocsparse_index_base_SD_SD_SD_bbb, .Lfunc_end189-_ZN9rocsparseL41csrgemm_numeric_fill_block_per_row_kernelILj1024ELj32ELj2048ELj137ELj64ElidEEvT5_PKS1_S3_NS_24const_host_device_scalarIT6_EEPKT4_S3_PKS5_S9_S3_SB_S6_S9_S3_SB_S9_S3_PS5_21rocsparse_index_base_SD_SD_SD_bbb
                                        ; -- End function
	.set _ZN9rocsparseL41csrgemm_numeric_fill_block_per_row_kernelILj1024ELj32ELj2048ELj137ELj64ElidEEvT5_PKS1_S3_NS_24const_host_device_scalarIT6_EEPKT4_S3_PKS5_S9_S3_SB_S6_S9_S3_SB_S9_S3_PS5_21rocsparse_index_base_SD_SD_SD_bbb.num_vgpr, 30
	.set _ZN9rocsparseL41csrgemm_numeric_fill_block_per_row_kernelILj1024ELj32ELj2048ELj137ELj64ElidEEvT5_PKS1_S3_NS_24const_host_device_scalarIT6_EEPKT4_S3_PKS5_S9_S3_SB_S6_S9_S3_SB_S9_S3_PS5_21rocsparse_index_base_SD_SD_SD_bbb.num_agpr, 0
	.set _ZN9rocsparseL41csrgemm_numeric_fill_block_per_row_kernelILj1024ELj32ELj2048ELj137ELj64ElidEEvT5_PKS1_S3_NS_24const_host_device_scalarIT6_EEPKT4_S3_PKS5_S9_S3_SB_S6_S9_S3_SB_S9_S3_PS5_21rocsparse_index_base_SD_SD_SD_bbb.numbered_sgpr, 51
	.set _ZN9rocsparseL41csrgemm_numeric_fill_block_per_row_kernelILj1024ELj32ELj2048ELj137ELj64ElidEEvT5_PKS1_S3_NS_24const_host_device_scalarIT6_EEPKT4_S3_PKS5_S9_S3_SB_S6_S9_S3_SB_S9_S3_PS5_21rocsparse_index_base_SD_SD_SD_bbb.num_named_barrier, 0
	.set _ZN9rocsparseL41csrgemm_numeric_fill_block_per_row_kernelILj1024ELj32ELj2048ELj137ELj64ElidEEvT5_PKS1_S3_NS_24const_host_device_scalarIT6_EEPKT4_S3_PKS5_S9_S3_SB_S6_S9_S3_SB_S9_S3_PS5_21rocsparse_index_base_SD_SD_SD_bbb.private_seg_size, 0
	.set _ZN9rocsparseL41csrgemm_numeric_fill_block_per_row_kernelILj1024ELj32ELj2048ELj137ELj64ElidEEvT5_PKS1_S3_NS_24const_host_device_scalarIT6_EEPKT4_S3_PKS5_S9_S3_SB_S6_S9_S3_SB_S9_S3_PS5_21rocsparse_index_base_SD_SD_SD_bbb.uses_vcc, 1
	.set _ZN9rocsparseL41csrgemm_numeric_fill_block_per_row_kernelILj1024ELj32ELj2048ELj137ELj64ElidEEvT5_PKS1_S3_NS_24const_host_device_scalarIT6_EEPKT4_S3_PKS5_S9_S3_SB_S6_S9_S3_SB_S9_S3_PS5_21rocsparse_index_base_SD_SD_SD_bbb.uses_flat_scratch, 0
	.set _ZN9rocsparseL41csrgemm_numeric_fill_block_per_row_kernelILj1024ELj32ELj2048ELj137ELj64ElidEEvT5_PKS1_S3_NS_24const_host_device_scalarIT6_EEPKT4_S3_PKS5_S9_S3_SB_S6_S9_S3_SB_S9_S3_PS5_21rocsparse_index_base_SD_SD_SD_bbb.has_dyn_sized_stack, 0
	.set _ZN9rocsparseL41csrgemm_numeric_fill_block_per_row_kernelILj1024ELj32ELj2048ELj137ELj64ElidEEvT5_PKS1_S3_NS_24const_host_device_scalarIT6_EEPKT4_S3_PKS5_S9_S3_SB_S6_S9_S3_SB_S9_S3_PS5_21rocsparse_index_base_SD_SD_SD_bbb.has_recursion, 0
	.set _ZN9rocsparseL41csrgemm_numeric_fill_block_per_row_kernelILj1024ELj32ELj2048ELj137ELj64ElidEEvT5_PKS1_S3_NS_24const_host_device_scalarIT6_EEPKT4_S3_PKS5_S9_S3_SB_S6_S9_S3_SB_S9_S3_PS5_21rocsparse_index_base_SD_SD_SD_bbb.has_indirect_call, 0
	.section	.AMDGPU.csdata,"",@progbits
; Kernel info:
; codeLenInByte = 3052
; TotalNumSgprs: 57
; NumVgprs: 30
; NumAgprs: 0
; TotalNumVgprs: 30
; ScratchSize: 0
; MemoryBound: 0
; FloatMode: 240
; IeeeMode: 1
; LDSByteSize: 0 bytes/workgroup (compile time only)
; SGPRBlocks: 7
; VGPRBlocks: 3
; NumSGPRsForWavesPerEU: 57
; NumVGPRsForWavesPerEU: 30
; AccumOffset: 32
; Occupancy: 8
; WaveLimiterHint : 1
; COMPUTE_PGM_RSRC2:SCRATCH_EN: 0
; COMPUTE_PGM_RSRC2:USER_SGPR: 2
; COMPUTE_PGM_RSRC2:TRAP_HANDLER: 0
; COMPUTE_PGM_RSRC2:TGID_X_EN: 1
; COMPUTE_PGM_RSRC2:TGID_Y_EN: 0
; COMPUTE_PGM_RSRC2:TGID_Z_EN: 0
; COMPUTE_PGM_RSRC2:TIDIG_COMP_CNT: 0
; COMPUTE_PGM_RSRC3_GFX90A:ACCUM_OFFSET: 7
; COMPUTE_PGM_RSRC3_GFX90A:TG_SPLIT: 0
	.section	.text._ZN9rocsparseL41csrgemm_numeric_fill_block_per_row_kernelILj1024ELj64ELj4096ELj137ELj32ElidEEvT5_PKS1_S3_NS_24const_host_device_scalarIT6_EEPKT4_S3_PKS5_S9_S3_SB_S6_S9_S3_SB_S9_S3_PS5_21rocsparse_index_base_SD_SD_SD_bbb,"axG",@progbits,_ZN9rocsparseL41csrgemm_numeric_fill_block_per_row_kernelILj1024ELj64ELj4096ELj137ELj32ElidEEvT5_PKS1_S3_NS_24const_host_device_scalarIT6_EEPKT4_S3_PKS5_S9_S3_SB_S6_S9_S3_SB_S9_S3_PS5_21rocsparse_index_base_SD_SD_SD_bbb,comdat
	.globl	_ZN9rocsparseL41csrgemm_numeric_fill_block_per_row_kernelILj1024ELj64ELj4096ELj137ELj32ElidEEvT5_PKS1_S3_NS_24const_host_device_scalarIT6_EEPKT4_S3_PKS5_S9_S3_SB_S6_S9_S3_SB_S9_S3_PS5_21rocsparse_index_base_SD_SD_SD_bbb ; -- Begin function _ZN9rocsparseL41csrgemm_numeric_fill_block_per_row_kernelILj1024ELj64ELj4096ELj137ELj32ElidEEvT5_PKS1_S3_NS_24const_host_device_scalarIT6_EEPKT4_S3_PKS5_S9_S3_SB_S6_S9_S3_SB_S9_S3_PS5_21rocsparse_index_base_SD_SD_SD_bbb
	.p2align	8
	.type	_ZN9rocsparseL41csrgemm_numeric_fill_block_per_row_kernelILj1024ELj64ELj4096ELj137ELj32ElidEEvT5_PKS1_S3_NS_24const_host_device_scalarIT6_EEPKT4_S3_PKS5_S9_S3_SB_S6_S9_S3_SB_S9_S3_PS5_21rocsparse_index_base_SD_SD_SD_bbb,@function
_ZN9rocsparseL41csrgemm_numeric_fill_block_per_row_kernelILj1024ELj64ELj4096ELj137ELj32ElidEEvT5_PKS1_S3_NS_24const_host_device_scalarIT6_EEPKT4_S3_PKS5_S9_S3_SB_S6_S9_S3_SB_S9_S3_PS5_21rocsparse_index_base_SD_SD_SD_bbb: ; @_ZN9rocsparseL41csrgemm_numeric_fill_block_per_row_kernelILj1024ELj64ELj4096ELj137ELj32ElidEEvT5_PKS1_S3_NS_24const_host_device_scalarIT6_EEPKT4_S3_PKS5_S9_S3_SB_S6_S9_S3_SB_S9_S3_PS5_21rocsparse_index_base_SD_SD_SD_bbb
; %bb.0:
	s_load_dword s3, s[0:1], 0x98
	s_load_dwordx4 s[68:71], s[0:1], 0x88
	s_load_dwordx2 s[4:5], s[0:1], 0x18
	s_load_dwordx2 s[24:25], s[0:1], 0x50
	s_waitcnt lgkmcnt(0)
	s_bitcmp1_b32 s3, 0
	s_cselect_b64 s[22:23], -1, 0
	s_bitcmp1_b32 s3, 16
	s_cselect_b64 s[26:27], -1, 0
	s_xor_b64 s[6:7], s[22:23], -1
	s_or_b64 s[6:7], s[26:27], s[6:7]
	s_and_b64 s[8:9], s[22:23], exec
	s_cselect_b32 s9, s5, 0
	s_cselect_b32 s8, s4, 0
	s_and_b64 vcc, exec, s[6:7]
	v_mov_b64_e32 v[4:5], s[8:9]
	s_cbranch_vccnz .LBB190_2
; %bb.1:
	v_mov_b64_e32 v[2:3], s[4:5]
	flat_load_dwordx2 v[4:5], v[2:3]
.LBB190_2:
	s_load_dwordx2 s[72:73], s[0:1], 0x80
	s_load_dwordx8 s[60:67], s[0:1], 0x58
	s_load_dwordx4 s[12:15], s[0:1], 0x40
	s_load_dwordx4 s[16:19], s[0:1], 0x8
	s_load_dwordx8 s[4:11], s[0:1], 0x20
	s_bitcmp1_b32 s3, 8
	s_cselect_b64 s[20:21], -1, 0
	s_xor_b64 s[28:29], s[20:21], -1
	s_or_b64 s[26:27], s[26:27], s[28:29]
	s_and_b64 s[28:29], s[20:21], exec
	s_cselect_b32 s29, s25, 0
	s_cselect_b32 s28, s24, 0
	s_and_b64 vcc, exec, s[26:27]
	v_mov_b64_e32 v[2:3], s[28:29]
	s_cbranch_vccnz .LBB190_4
; %bb.3:
	v_mov_b64_e32 v[2:3], s[24:25]
	flat_load_dwordx2 v[2:3], v[2:3]
.LBB190_4:
	s_load_dword s33, s[0:1], 0x0
	v_lshl_add_u32 v1, v0, 3, 0
	v_mov_b32_e32 v6, 0
	v_add_u32_e32 v1, 0x4000, v1
	v_or_b32_e32 v18, 0xfffffc00, v0
	v_lshl_add_u32 v19, v0, 2, 0
	s_mov_b64 s[0:1], 0
	s_waitcnt lgkmcnt(0)
	v_mov_b32_e32 v11, s33
	v_mov_b32_e32 v7, v6
	s_movk_i32 s3, 0xbff
	v_mov_b32_e32 v8, v19
	v_mov_b32_e32 v9, v18
	;; [unrolled: 1-line block ×3, first 2 shown]
.LBB190_5:                              ; =>This Inner Loop Header: Depth=1
	v_add_u32_e32 v9, 0x400, v9
	v_cmp_lt_u32_e32 vcc, s3, v9
	ds_write_b32 v8, v11
	ds_write_b64 v10, v[6:7]
	v_add_u32_e32 v10, 0x2000, v10
	s_or_b64 s[0:1], vcc, s[0:1]
	v_add_u32_e32 v8, 0x1000, v8
	s_andn2_b64 exec, exec, s[0:1]
	s_cbranch_execnz .LBB190_5
; %bb.6:
	s_or_b64 exec, exec, s[0:1]
	s_waitcnt lgkmcnt(0)
	s_barrier
	s_load_dword s0, s[16:17], 0x0
	s_mov_b32 s1, 0
	s_waitcnt lgkmcnt(0)
	s_add_i32 s0, s0, s2
	s_lshl_b64 s[0:1], s[0:1], 2
	s_add_u32 s0, s18, s0
	s_addc_u32 s1, s19, s1
	s_load_dword s74, s[0:1], 0x0
	s_and_b64 vcc, exec, s[22:23]
	s_cbranch_vccz .LBB190_24
; %bb.7:
	s_waitcnt lgkmcnt(0)
	s_ashr_i32 s75, s74, 31
	s_lshl_b64 s[0:1], s[74:75], 3
	s_add_u32 s0, s4, s0
	s_addc_u32 s1, s5, s1
	s_load_dwordx4 s[16:19], s[0:1], 0x0
	v_lshrrev_b32_e32 v6, 6, v0
	v_subrev_co_u32_e32 v6, vcc, s68, v6
	s_waitcnt lgkmcnt(0)
	s_sub_u32 s0, s18, s68
	v_subb_co_u32_e64 v7, s[2:3], 0, 0, vcc
	s_subb_u32 s1, s19, 0
	v_lshl_add_u64 v[6:7], s[16:17], 0, v[6:7]
	v_cmp_gt_i64_e32 vcc, s[0:1], v[6:7]
	s_and_saveexec_b64 s[2:3], vcc
	s_cbranch_execz .LBB190_23
; %bb.8:
	v_and_b32_e32 v8, 63, v0
	v_subrev_co_u32_e32 v8, vcc, s69, v8
	s_mov_b32 s34, s69
	s_nop 0
	v_subb_co_u32_e64 v9, s[4:5], 0, 0, vcc
	s_mov_b64 s[4:5], 0
	s_movk_i32 s35, 0x89
	s_branch .LBB190_10
.LBB190_9:                              ;   in Loop: Header=BB190_10 Depth=1
	s_or_b64 exec, exec, s[16:17]
	v_lshl_add_u64 v[6:7], v[6:7], 0, 16
	v_cmp_le_i64_e32 vcc, s[0:1], v[6:7]
	s_or_b64 s[4:5], vcc, s[4:5]
	s_andn2_b64 exec, exec, s[4:5]
	s_cbranch_execz .LBB190_23
.LBB190_10:                             ; =>This Loop Header: Depth=1
                                        ;     Child Loop BB190_14 Depth 2
                                        ;       Child Loop BB190_17 Depth 3
	v_lshl_add_u64 v[10:11], v[6:7], 2, s[6:7]
	global_load_dword v10, v[10:11], off
	s_waitcnt vmcnt(0)
	v_subrev_u32_e32 v10, s68, v10
	v_ashrrev_i32_e32 v11, 31, v10
	v_lshl_add_u64 v[10:11], v[10:11], 3, s[10:11]
	global_load_dwordx4 v[12:15], v[10:11], off
	s_waitcnt vmcnt(0)
	v_subrev_co_u32_e32 v10, vcc, s34, v14
	s_nop 1
	v_subbrev_co_u32_e32 v11, vcc, 0, v15, vcc
	v_lshl_add_u64 v[12:13], v[12:13], 0, v[8:9]
	v_cmp_lt_i64_e32 vcc, v[12:13], v[10:11]
	s_and_saveexec_b64 s[16:17], vcc
	s_cbranch_execz .LBB190_9
; %bb.11:                               ;   in Loop: Header=BB190_10 Depth=1
	v_lshl_add_u64 v[14:15], v[6:7], 3, s[8:9]
	global_load_dwordx2 v[14:15], v[14:15], off
	s_mov_b64 s[18:19], 0
	s_waitcnt vmcnt(0)
	v_mul_f64 v[14:15], v[4:5], v[14:15]
	s_branch .LBB190_14
.LBB190_12:                             ;   in Loop: Header=BB190_14 Depth=2
	s_or_b64 exec, exec, s[24:25]
.LBB190_13:                             ;   in Loop: Header=BB190_14 Depth=2
	s_or_b64 exec, exec, s[22:23]
	s_waitcnt vmcnt(0)
	v_mul_f64 v[16:17], v[14:15], v[16:17]
	v_lshl_add_u32 v20, v20, 3, 0
	ds_add_f64 v20, v[16:17] offset:16384
	v_lshl_add_u64 v[12:13], v[12:13], 0, 64
	v_cmp_ge_i64_e32 vcc, v[12:13], v[10:11]
	s_or_b64 s[18:19], vcc, s[18:19]
	s_andn2_b64 exec, exec, s[18:19]
	s_cbranch_execz .LBB190_9
.LBB190_14:                             ;   Parent Loop BB190_10 Depth=1
                                        ; =>  This Loop Header: Depth=2
                                        ;       Child Loop BB190_17 Depth 3
	v_lshl_add_u64 v[16:17], v[12:13], 2, s[12:13]
	global_load_dword v20, v[16:17], off
	v_lshl_add_u64 v[16:17], v[12:13], 3, s[14:15]
	global_load_dwordx2 v[16:17], v[16:17], off
	s_waitcnt vmcnt(1)
	v_subrev_u32_e32 v21, s69, v20
	v_mul_lo_u32 v20, v21, s35
	v_and_b32_e32 v20, 0xfff, v20
	v_lshl_add_u32 v22, v20, 2, 0
	ds_read_b32 v23, v22
	s_waitcnt lgkmcnt(0)
	v_cmp_ne_u32_e32 vcc, v23, v21
	s_and_saveexec_b64 s[22:23], vcc
	s_cbranch_execz .LBB190_13
; %bb.15:                               ;   in Loop: Header=BB190_14 Depth=2
	s_mov_b64 s[24:25], 0
	s_branch .LBB190_17
.LBB190_16:                             ;   in Loop: Header=BB190_17 Depth=3
	s_or_b64 exec, exec, s[30:31]
	s_and_b64 s[26:27], exec, s[28:29]
	s_or_b64 s[24:25], s[26:27], s[24:25]
	s_andn2_b64 exec, exec, s[24:25]
	s_cbranch_execz .LBB190_12
.LBB190_17:                             ;   Parent Loop BB190_10 Depth=1
                                        ;     Parent Loop BB190_14 Depth=2
                                        ; =>    This Inner Loop Header: Depth=3
	v_cmp_ne_u32_e32 vcc, s33, v23
	s_mov_b64 s[26:27], 0
	s_and_saveexec_b64 s[28:29], vcc
	s_xor_b64 s[28:29], exec, s[28:29]
	s_cbranch_execz .LBB190_19
; %bb.18:                               ;   in Loop: Header=BB190_17 Depth=3
	v_add_u32_e32 v20, 1, v20
	s_mov_b64 s[26:27], exec
	v_and_b32_e32 v20, 0xfff, v20
                                        ; implicit-def: $vgpr22
	s_andn2_saveexec_b64 s[28:29], s[28:29]
	s_cbranch_execz .LBB190_21
	s_branch .LBB190_20
.LBB190_19:                             ;   in Loop: Header=BB190_17 Depth=3
	s_andn2_saveexec_b64 s[28:29], s[28:29]
	s_cbranch_execz .LBB190_21
.LBB190_20:                             ;   in Loop: Header=BB190_17 Depth=3
	v_mov_b32_e32 v23, s33
	ds_cmpst_rtn_b32 v22, v22, v23, v21
	s_andn2_b64 s[26:27], s[26:27], exec
	s_waitcnt lgkmcnt(0)
	v_cmp_ne_u32_e32 vcc, s33, v22
	s_and_b64 s[30:31], vcc, exec
	s_or_b64 s[26:27], s[26:27], s[30:31]
.LBB190_21:                             ;   in Loop: Header=BB190_17 Depth=3
	s_or_b64 exec, exec, s[28:29]
	s_mov_b64 s[28:29], -1
                                        ; implicit-def: $vgpr22
                                        ; implicit-def: $vgpr23
	s_and_saveexec_b64 s[30:31], s[26:27]
	s_cbranch_execz .LBB190_16
; %bb.22:                               ;   in Loop: Header=BB190_17 Depth=3
	v_lshl_add_u32 v22, v20, 2, 0
	ds_read_b32 v23, v22
	s_waitcnt lgkmcnt(0)
	v_cmp_eq_u32_e32 vcc, v23, v21
	s_orn2_b64 s[28:29], vcc, exec
	s_branch .LBB190_16
.LBB190_23:
	s_or_b64 exec, exec, s[2:3]
.LBB190_24:
	s_andn2_b64 vcc, exec, s[20:21]
	s_cbranch_vccnz .LBB190_39
; %bb.25:
	s_waitcnt lgkmcnt(0)
	s_ashr_i32 s75, s74, 31
	s_lshl_b64 s[0:1], s[74:75], 3
	s_add_u32 s0, s60, s0
	s_addc_u32 s1, s61, s1
	s_load_dwordx4 s[4:7], s[0:1], 0x0
	s_waitcnt vmcnt(0)
	v_subrev_co_u32_e32 v4, vcc, s71, v0
	s_nop 1
	v_subb_co_u32_e64 v5, s[0:1], 0, 0, vcc
	s_waitcnt lgkmcnt(0)
	s_sub_u32 s0, s6, s71
	s_subb_u32 s1, s7, 0
	v_lshl_add_u64 v[4:5], s[4:5], 0, v[4:5]
	v_cmp_gt_i64_e32 vcc, s[0:1], v[4:5]
	s_and_saveexec_b64 s[2:3], vcc
	s_cbranch_execz .LBB190_38
; %bb.26:
	s_mov_b64 s[4:5], 0
	s_movk_i32 s18, 0x89
	s_mov_b64 s[6:7], 0x400
	s_branch .LBB190_29
.LBB190_27:                             ;   in Loop: Header=BB190_29 Depth=1
	s_or_b64 exec, exec, s[10:11]
.LBB190_28:                             ;   in Loop: Header=BB190_29 Depth=1
	s_or_b64 exec, exec, s[8:9]
	s_waitcnt vmcnt(0)
	v_mul_f64 v[6:7], v[2:3], v[6:7]
	v_lshl_add_u32 v8, v8, 3, 0
	ds_add_f64 v8, v[6:7] offset:16384
	v_lshl_add_u64 v[4:5], v[4:5], 0, s[6:7]
	v_cmp_le_i64_e32 vcc, s[0:1], v[4:5]
	s_or_b64 s[4:5], vcc, s[4:5]
	s_andn2_b64 exec, exec, s[4:5]
	s_cbranch_execz .LBB190_38
.LBB190_29:                             ; =>This Loop Header: Depth=1
                                        ;     Child Loop BB190_32 Depth 2
	v_lshl_add_u64 v[6:7], v[4:5], 2, s[62:63]
	global_load_dword v8, v[6:7], off
	v_lshl_add_u64 v[6:7], v[4:5], 3, s[64:65]
	global_load_dwordx2 v[6:7], v[6:7], off
	s_waitcnt vmcnt(1)
	v_subrev_u32_e32 v9, s71, v8
	v_mul_lo_u32 v8, v9, s18
	v_and_b32_e32 v8, 0xfff, v8
	v_lshl_add_u32 v10, v8, 2, 0
	ds_read_b32 v11, v10
	s_waitcnt lgkmcnt(0)
	v_cmp_ne_u32_e32 vcc, v11, v9
	s_and_saveexec_b64 s[8:9], vcc
	s_cbranch_execz .LBB190_28
; %bb.30:                               ;   in Loop: Header=BB190_29 Depth=1
	s_mov_b64 s[10:11], 0
	s_branch .LBB190_32
.LBB190_31:                             ;   in Loop: Header=BB190_32 Depth=2
	s_or_b64 exec, exec, s[16:17]
	s_and_b64 s[12:13], exec, s[14:15]
	s_or_b64 s[10:11], s[12:13], s[10:11]
	s_andn2_b64 exec, exec, s[10:11]
	s_cbranch_execz .LBB190_27
.LBB190_32:                             ;   Parent Loop BB190_29 Depth=1
                                        ; =>  This Inner Loop Header: Depth=2
	v_cmp_ne_u32_e32 vcc, s33, v11
	s_mov_b64 s[12:13], 0
	s_and_saveexec_b64 s[14:15], vcc
	s_xor_b64 s[14:15], exec, s[14:15]
	s_cbranch_execz .LBB190_34
; %bb.33:                               ;   in Loop: Header=BB190_32 Depth=2
	v_add_u32_e32 v8, 1, v8
	s_mov_b64 s[12:13], exec
	v_and_b32_e32 v8, 0xfff, v8
                                        ; implicit-def: $vgpr10
	s_andn2_saveexec_b64 s[14:15], s[14:15]
	s_cbranch_execz .LBB190_36
	s_branch .LBB190_35
.LBB190_34:                             ;   in Loop: Header=BB190_32 Depth=2
	s_andn2_saveexec_b64 s[14:15], s[14:15]
	s_cbranch_execz .LBB190_36
.LBB190_35:                             ;   in Loop: Header=BB190_32 Depth=2
	v_mov_b32_e32 v11, s33
	ds_cmpst_rtn_b32 v10, v10, v11, v9
	s_andn2_b64 s[12:13], s[12:13], exec
	s_waitcnt lgkmcnt(0)
	v_cmp_ne_u32_e32 vcc, s33, v10
	s_and_b64 s[16:17], vcc, exec
	s_or_b64 s[12:13], s[12:13], s[16:17]
.LBB190_36:                             ;   in Loop: Header=BB190_32 Depth=2
	s_or_b64 exec, exec, s[14:15]
	s_mov_b64 s[14:15], -1
                                        ; implicit-def: $vgpr10
                                        ; implicit-def: $vgpr11
	s_and_saveexec_b64 s[16:17], s[12:13]
	s_cbranch_execz .LBB190_31
; %bb.37:                               ;   in Loop: Header=BB190_32 Depth=2
	v_lshl_add_u32 v10, v8, 2, 0
	ds_read_b32 v11, v10
	s_waitcnt lgkmcnt(0)
	v_cmp_eq_u32_e32 vcc, v11, v9
	s_orn2_b64 s[14:15], vcc, exec
	s_branch .LBB190_31
.LBB190_38:
	s_or_b64 exec, exec, s[2:3]
.LBB190_39:
	s_waitcnt vmcnt(0)
	v_mbcnt_lo_u32_b32 v2, -1, 0
	v_mbcnt_hi_u32_b32 v2, -1, v2
	v_lshrrev_b32_e32 v4, 3, v0
	v_sub_u32_e32 v2, 63, v2
	v_and_b32_e32 v4, 0x7c, v4
	s_movk_i32 s0, 0x3ff
	s_movk_i32 s4, 0x5f
	;; [unrolled: 1-line block ×30, first 2 shown]
	v_mov_b32_e32 v6, 0
	v_lshrrev_b64 v[2:3], v2, -1
	v_add_u32_e32 v7, 0, v4
	v_cmp_eq_u32_e32 vcc, s0, v0
	v_cmp_lt_u32_e64 s[0:1], 31, v0
	v_cmp_lt_u32_e64 s[2:3], 63, v0
	;; [unrolled: 1-line block ×31, first 2 shown]
	s_mov_b64 s[68:69], 0
	s_movk_i32 s71, 0xbff
	v_mov_b32_e32 v8, 0
	s_waitcnt lgkmcnt(0)
	s_barrier
	s_branch .LBB190_41
.LBB190_40:                             ;   in Loop: Header=BB190_41 Depth=1
	s_or_b64 exec, exec, s[64:65]
	s_waitcnt lgkmcnt(0)
	s_barrier
	ds_read_b32 v4, v6 offset:49276
	v_add_u32_e32 v18, 0x400, v18
	v_cmp_lt_u32_e64 s[64:65], s71, v18
	v_add_u32_e32 v1, 0x2000, v1
	s_or_b64 s[68:69], s[64:65], s[68:69]
	s_waitcnt lgkmcnt(0)
	v_add_u32_e32 v8, v4, v8
	v_add_u32_e32 v19, 0x1000, v19
	s_andn2_b64 exec, exec, s[68:69]
	s_cbranch_execz .LBB190_107
.LBB190_41:                             ; =>This Inner Loop Header: Depth=1
	ds_read_b32 v9, v19
	ds_read_b64 v[4:5], v1
	s_waitcnt lgkmcnt(0)
	s_barrier
	v_cmp_gt_i32_e64 s[64:65], s33, v9
	s_bcnt1_i32_b64 s75, s[64:65]
	s_nop 0
	v_and_b32_e32 v11, s64, v2
	v_and_b32_e32 v10, s65, v3
	v_bcnt_u32_b32 v11, v11, 0
	v_bcnt_u32_b32 v10, v10, v11
	v_mov_b32_e32 v11, s75
	ds_write_b32 v7, v11 offset:49152
	s_waitcnt lgkmcnt(0)
	s_barrier
	s_and_saveexec_b64 s[76:77], s[0:1]
	s_cbranch_execz .LBB190_74
; %bb.42:                               ;   in Loop: Header=BB190_41 Depth=1
	ds_read_b32 v11, v6 offset:49152
	s_waitcnt lgkmcnt(0)
	v_add_u32_e32 v10, v11, v10
	s_or_b64 exec, exec, s[76:77]
	s_and_saveexec_b64 s[76:77], s[2:3]
	s_cbranch_execnz .LBB190_75
.LBB190_43:                             ;   in Loop: Header=BB190_41 Depth=1
	s_or_b64 exec, exec, s[76:77]
	s_and_saveexec_b64 s[76:77], s[4:5]
	s_cbranch_execz .LBB190_76
.LBB190_44:                             ;   in Loop: Header=BB190_41 Depth=1
	ds_read_b32 v11, v6 offset:49160
	s_waitcnt lgkmcnt(0)
	v_add_u32_e32 v10, v11, v10
	s_or_b64 exec, exec, s[76:77]
	s_and_saveexec_b64 s[76:77], s[6:7]
	s_cbranch_execnz .LBB190_77
.LBB190_45:                             ;   in Loop: Header=BB190_41 Depth=1
	s_or_b64 exec, exec, s[76:77]
	s_and_saveexec_b64 s[76:77], s[8:9]
	s_cbranch_execz .LBB190_78
.LBB190_46:                             ;   in Loop: Header=BB190_41 Depth=1
	ds_read_b32 v11, v6 offset:49168
	s_waitcnt lgkmcnt(0)
	v_add_u32_e32 v10, v11, v10
	s_or_b64 exec, exec, s[76:77]
	s_and_saveexec_b64 s[76:77], s[10:11]
	s_cbranch_execnz .LBB190_79
.LBB190_47:                             ;   in Loop: Header=BB190_41 Depth=1
	s_or_b64 exec, exec, s[76:77]
	s_and_saveexec_b64 s[76:77], s[12:13]
	s_cbranch_execz .LBB190_80
.LBB190_48:                             ;   in Loop: Header=BB190_41 Depth=1
	ds_read_b32 v11, v6 offset:49176
	s_waitcnt lgkmcnt(0)
	v_add_u32_e32 v10, v11, v10
	s_or_b64 exec, exec, s[76:77]
	s_and_saveexec_b64 s[76:77], s[14:15]
	s_cbranch_execnz .LBB190_81
.LBB190_49:                             ;   in Loop: Header=BB190_41 Depth=1
	s_or_b64 exec, exec, s[76:77]
	s_and_saveexec_b64 s[76:77], s[16:17]
	s_cbranch_execz .LBB190_82
.LBB190_50:                             ;   in Loop: Header=BB190_41 Depth=1
	ds_read_b32 v11, v6 offset:49184
	s_waitcnt lgkmcnt(0)
	v_add_u32_e32 v10, v11, v10
	s_or_b64 exec, exec, s[76:77]
	s_and_saveexec_b64 s[76:77], s[18:19]
	s_cbranch_execnz .LBB190_83
.LBB190_51:                             ;   in Loop: Header=BB190_41 Depth=1
	s_or_b64 exec, exec, s[76:77]
	s_and_saveexec_b64 s[76:77], s[20:21]
	s_cbranch_execz .LBB190_84
.LBB190_52:                             ;   in Loop: Header=BB190_41 Depth=1
	ds_read_b32 v11, v6 offset:49192
	s_waitcnt lgkmcnt(0)
	v_add_u32_e32 v10, v11, v10
	s_or_b64 exec, exec, s[76:77]
	s_and_saveexec_b64 s[76:77], s[22:23]
	s_cbranch_execnz .LBB190_85
.LBB190_53:                             ;   in Loop: Header=BB190_41 Depth=1
	s_or_b64 exec, exec, s[76:77]
	s_and_saveexec_b64 s[76:77], s[24:25]
	s_cbranch_execz .LBB190_86
.LBB190_54:                             ;   in Loop: Header=BB190_41 Depth=1
	ds_read_b32 v11, v6 offset:49200
	s_waitcnt lgkmcnt(0)
	v_add_u32_e32 v10, v11, v10
	s_or_b64 exec, exec, s[76:77]
	s_and_saveexec_b64 s[76:77], s[26:27]
	s_cbranch_execnz .LBB190_87
.LBB190_55:                             ;   in Loop: Header=BB190_41 Depth=1
	s_or_b64 exec, exec, s[76:77]
	s_and_saveexec_b64 s[76:77], s[28:29]
	s_cbranch_execz .LBB190_88
.LBB190_56:                             ;   in Loop: Header=BB190_41 Depth=1
	ds_read_b32 v11, v6 offset:49208
	s_waitcnt lgkmcnt(0)
	v_add_u32_e32 v10, v11, v10
	s_or_b64 exec, exec, s[76:77]
	s_and_saveexec_b64 s[76:77], s[30:31]
	s_cbranch_execnz .LBB190_89
.LBB190_57:                             ;   in Loop: Header=BB190_41 Depth=1
	s_or_b64 exec, exec, s[76:77]
	s_and_saveexec_b64 s[76:77], s[34:35]
	s_cbranch_execz .LBB190_90
.LBB190_58:                             ;   in Loop: Header=BB190_41 Depth=1
	ds_read_b32 v11, v6 offset:49216
	s_waitcnt lgkmcnt(0)
	v_add_u32_e32 v10, v11, v10
	s_or_b64 exec, exec, s[76:77]
	s_and_saveexec_b64 s[76:77], s[36:37]
	s_cbranch_execnz .LBB190_91
.LBB190_59:                             ;   in Loop: Header=BB190_41 Depth=1
	s_or_b64 exec, exec, s[76:77]
	s_and_saveexec_b64 s[76:77], s[38:39]
	s_cbranch_execz .LBB190_92
.LBB190_60:                             ;   in Loop: Header=BB190_41 Depth=1
	ds_read_b32 v11, v6 offset:49224
	s_waitcnt lgkmcnt(0)
	v_add_u32_e32 v10, v11, v10
	s_or_b64 exec, exec, s[76:77]
	s_and_saveexec_b64 s[76:77], s[40:41]
	s_cbranch_execnz .LBB190_93
.LBB190_61:                             ;   in Loop: Header=BB190_41 Depth=1
	s_or_b64 exec, exec, s[76:77]
	s_and_saveexec_b64 s[76:77], s[42:43]
	s_cbranch_execz .LBB190_94
.LBB190_62:                             ;   in Loop: Header=BB190_41 Depth=1
	ds_read_b32 v11, v6 offset:49232
	s_waitcnt lgkmcnt(0)
	v_add_u32_e32 v10, v11, v10
	s_or_b64 exec, exec, s[76:77]
	s_and_saveexec_b64 s[76:77], s[44:45]
	s_cbranch_execnz .LBB190_95
.LBB190_63:                             ;   in Loop: Header=BB190_41 Depth=1
	s_or_b64 exec, exec, s[76:77]
	s_and_saveexec_b64 s[76:77], s[46:47]
	s_cbranch_execz .LBB190_96
.LBB190_64:                             ;   in Loop: Header=BB190_41 Depth=1
	ds_read_b32 v11, v6 offset:49240
	s_waitcnt lgkmcnt(0)
	v_add_u32_e32 v10, v11, v10
	s_or_b64 exec, exec, s[76:77]
	s_and_saveexec_b64 s[76:77], s[48:49]
	s_cbranch_execnz .LBB190_97
.LBB190_65:                             ;   in Loop: Header=BB190_41 Depth=1
	s_or_b64 exec, exec, s[76:77]
	s_and_saveexec_b64 s[76:77], s[50:51]
	s_cbranch_execz .LBB190_98
.LBB190_66:                             ;   in Loop: Header=BB190_41 Depth=1
	ds_read_b32 v11, v6 offset:49248
	s_waitcnt lgkmcnt(0)
	v_add_u32_e32 v10, v11, v10
	s_or_b64 exec, exec, s[76:77]
	s_and_saveexec_b64 s[76:77], s[52:53]
	s_cbranch_execnz .LBB190_99
.LBB190_67:                             ;   in Loop: Header=BB190_41 Depth=1
	s_or_b64 exec, exec, s[76:77]
	s_and_saveexec_b64 s[76:77], s[54:55]
	s_cbranch_execz .LBB190_100
.LBB190_68:                             ;   in Loop: Header=BB190_41 Depth=1
	ds_read_b32 v11, v6 offset:49256
	s_waitcnt lgkmcnt(0)
	v_add_u32_e32 v10, v11, v10
	s_or_b64 exec, exec, s[76:77]
	s_and_saveexec_b64 s[76:77], s[56:57]
	s_cbranch_execnz .LBB190_101
.LBB190_69:                             ;   in Loop: Header=BB190_41 Depth=1
	s_or_b64 exec, exec, s[76:77]
	s_and_saveexec_b64 s[76:77], s[58:59]
	s_cbranch_execz .LBB190_102
.LBB190_70:                             ;   in Loop: Header=BB190_41 Depth=1
	ds_read_b32 v11, v6 offset:49264
	s_waitcnt lgkmcnt(0)
	v_add_u32_e32 v10, v11, v10
	s_or_b64 exec, exec, s[76:77]
	s_and_saveexec_b64 s[76:77], s[60:61]
	s_cbranch_execnz .LBB190_103
.LBB190_71:                             ;   in Loop: Header=BB190_41 Depth=1
	s_or_b64 exec, exec, s[76:77]
	s_and_saveexec_b64 s[76:77], s[62:63]
	s_cbranch_execz .LBB190_104
.LBB190_72:                             ;   in Loop: Header=BB190_41 Depth=1
	ds_read_b32 v11, v6 offset:49272
	s_waitcnt lgkmcnt(0)
	v_add_u32_e32 v10, v11, v10
	s_or_b64 exec, exec, s[76:77]
	s_and_saveexec_b64 s[76:77], s[64:65]
	s_cbranch_execnz .LBB190_105
.LBB190_73:                             ;   in Loop: Header=BB190_41 Depth=1
	s_or_b64 exec, exec, s[76:77]
	s_and_saveexec_b64 s[64:65], vcc
	s_cbranch_execz .LBB190_40
	s_branch .LBB190_106
.LBB190_74:                             ;   in Loop: Header=BB190_41 Depth=1
	s_or_b64 exec, exec, s[76:77]
	s_and_saveexec_b64 s[76:77], s[2:3]
	s_cbranch_execz .LBB190_43
.LBB190_75:                             ;   in Loop: Header=BB190_41 Depth=1
	ds_read_b32 v11, v6 offset:49156
	s_waitcnt lgkmcnt(0)
	v_add_u32_e32 v10, v11, v10
	s_or_b64 exec, exec, s[76:77]
	s_and_saveexec_b64 s[76:77], s[4:5]
	s_cbranch_execnz .LBB190_44
.LBB190_76:                             ;   in Loop: Header=BB190_41 Depth=1
	s_or_b64 exec, exec, s[76:77]
	s_and_saveexec_b64 s[76:77], s[6:7]
	s_cbranch_execz .LBB190_45
.LBB190_77:                             ;   in Loop: Header=BB190_41 Depth=1
	ds_read_b32 v11, v6 offset:49164
	s_waitcnt lgkmcnt(0)
	v_add_u32_e32 v10, v11, v10
	s_or_b64 exec, exec, s[76:77]
	s_and_saveexec_b64 s[76:77], s[8:9]
	s_cbranch_execnz .LBB190_46
.LBB190_78:                             ;   in Loop: Header=BB190_41 Depth=1
	s_or_b64 exec, exec, s[76:77]
	s_and_saveexec_b64 s[76:77], s[10:11]
	s_cbranch_execz .LBB190_47
.LBB190_79:                             ;   in Loop: Header=BB190_41 Depth=1
	ds_read_b32 v11, v6 offset:49172
	s_waitcnt lgkmcnt(0)
	v_add_u32_e32 v10, v11, v10
	s_or_b64 exec, exec, s[76:77]
	s_and_saveexec_b64 s[76:77], s[12:13]
	s_cbranch_execnz .LBB190_48
.LBB190_80:                             ;   in Loop: Header=BB190_41 Depth=1
	s_or_b64 exec, exec, s[76:77]
	s_and_saveexec_b64 s[76:77], s[14:15]
	s_cbranch_execz .LBB190_49
.LBB190_81:                             ;   in Loop: Header=BB190_41 Depth=1
	ds_read_b32 v11, v6 offset:49180
	s_waitcnt lgkmcnt(0)
	v_add_u32_e32 v10, v11, v10
	s_or_b64 exec, exec, s[76:77]
	s_and_saveexec_b64 s[76:77], s[16:17]
	s_cbranch_execnz .LBB190_50
.LBB190_82:                             ;   in Loop: Header=BB190_41 Depth=1
	s_or_b64 exec, exec, s[76:77]
	s_and_saveexec_b64 s[76:77], s[18:19]
	s_cbranch_execz .LBB190_51
.LBB190_83:                             ;   in Loop: Header=BB190_41 Depth=1
	ds_read_b32 v11, v6 offset:49188
	s_waitcnt lgkmcnt(0)
	v_add_u32_e32 v10, v11, v10
	s_or_b64 exec, exec, s[76:77]
	s_and_saveexec_b64 s[76:77], s[20:21]
	s_cbranch_execnz .LBB190_52
.LBB190_84:                             ;   in Loop: Header=BB190_41 Depth=1
	s_or_b64 exec, exec, s[76:77]
	s_and_saveexec_b64 s[76:77], s[22:23]
	s_cbranch_execz .LBB190_53
.LBB190_85:                             ;   in Loop: Header=BB190_41 Depth=1
	ds_read_b32 v11, v6 offset:49196
	s_waitcnt lgkmcnt(0)
	v_add_u32_e32 v10, v11, v10
	s_or_b64 exec, exec, s[76:77]
	s_and_saveexec_b64 s[76:77], s[24:25]
	s_cbranch_execnz .LBB190_54
.LBB190_86:                             ;   in Loop: Header=BB190_41 Depth=1
	s_or_b64 exec, exec, s[76:77]
	s_and_saveexec_b64 s[76:77], s[26:27]
	s_cbranch_execz .LBB190_55
.LBB190_87:                             ;   in Loop: Header=BB190_41 Depth=1
	ds_read_b32 v11, v6 offset:49204
	s_waitcnt lgkmcnt(0)
	v_add_u32_e32 v10, v11, v10
	s_or_b64 exec, exec, s[76:77]
	s_and_saveexec_b64 s[76:77], s[28:29]
	s_cbranch_execnz .LBB190_56
.LBB190_88:                             ;   in Loop: Header=BB190_41 Depth=1
	s_or_b64 exec, exec, s[76:77]
	s_and_saveexec_b64 s[76:77], s[30:31]
	s_cbranch_execz .LBB190_57
.LBB190_89:                             ;   in Loop: Header=BB190_41 Depth=1
	ds_read_b32 v11, v6 offset:49212
	s_waitcnt lgkmcnt(0)
	v_add_u32_e32 v10, v11, v10
	s_or_b64 exec, exec, s[76:77]
	s_and_saveexec_b64 s[76:77], s[34:35]
	s_cbranch_execnz .LBB190_58
.LBB190_90:                             ;   in Loop: Header=BB190_41 Depth=1
	s_or_b64 exec, exec, s[76:77]
	s_and_saveexec_b64 s[76:77], s[36:37]
	s_cbranch_execz .LBB190_59
.LBB190_91:                             ;   in Loop: Header=BB190_41 Depth=1
	ds_read_b32 v11, v6 offset:49220
	s_waitcnt lgkmcnt(0)
	v_add_u32_e32 v10, v11, v10
	s_or_b64 exec, exec, s[76:77]
	s_and_saveexec_b64 s[76:77], s[38:39]
	s_cbranch_execnz .LBB190_60
.LBB190_92:                             ;   in Loop: Header=BB190_41 Depth=1
	s_or_b64 exec, exec, s[76:77]
	s_and_saveexec_b64 s[76:77], s[40:41]
	s_cbranch_execz .LBB190_61
.LBB190_93:                             ;   in Loop: Header=BB190_41 Depth=1
	ds_read_b32 v11, v6 offset:49228
	s_waitcnt lgkmcnt(0)
	v_add_u32_e32 v10, v11, v10
	s_or_b64 exec, exec, s[76:77]
	s_and_saveexec_b64 s[76:77], s[42:43]
	s_cbranch_execnz .LBB190_62
.LBB190_94:                             ;   in Loop: Header=BB190_41 Depth=1
	s_or_b64 exec, exec, s[76:77]
	s_and_saveexec_b64 s[76:77], s[44:45]
	s_cbranch_execz .LBB190_63
.LBB190_95:                             ;   in Loop: Header=BB190_41 Depth=1
	ds_read_b32 v11, v6 offset:49236
	s_waitcnt lgkmcnt(0)
	v_add_u32_e32 v10, v11, v10
	s_or_b64 exec, exec, s[76:77]
	s_and_saveexec_b64 s[76:77], s[46:47]
	s_cbranch_execnz .LBB190_64
.LBB190_96:                             ;   in Loop: Header=BB190_41 Depth=1
	s_or_b64 exec, exec, s[76:77]
	s_and_saveexec_b64 s[76:77], s[48:49]
	s_cbranch_execz .LBB190_65
.LBB190_97:                             ;   in Loop: Header=BB190_41 Depth=1
	ds_read_b32 v11, v6 offset:49244
	s_waitcnt lgkmcnt(0)
	v_add_u32_e32 v10, v11, v10
	s_or_b64 exec, exec, s[76:77]
	s_and_saveexec_b64 s[76:77], s[50:51]
	s_cbranch_execnz .LBB190_66
.LBB190_98:                             ;   in Loop: Header=BB190_41 Depth=1
	s_or_b64 exec, exec, s[76:77]
	s_and_saveexec_b64 s[76:77], s[52:53]
	s_cbranch_execz .LBB190_67
.LBB190_99:                             ;   in Loop: Header=BB190_41 Depth=1
	ds_read_b32 v11, v6 offset:49252
	s_waitcnt lgkmcnt(0)
	v_add_u32_e32 v10, v11, v10
	s_or_b64 exec, exec, s[76:77]
	s_and_saveexec_b64 s[76:77], s[54:55]
	s_cbranch_execnz .LBB190_68
.LBB190_100:                            ;   in Loop: Header=BB190_41 Depth=1
	s_or_b64 exec, exec, s[76:77]
	s_and_saveexec_b64 s[76:77], s[56:57]
	s_cbranch_execz .LBB190_69
.LBB190_101:                            ;   in Loop: Header=BB190_41 Depth=1
	ds_read_b32 v11, v6 offset:49260
	s_waitcnt lgkmcnt(0)
	v_add_u32_e32 v10, v11, v10
	s_or_b64 exec, exec, s[76:77]
	s_and_saveexec_b64 s[76:77], s[58:59]
	s_cbranch_execnz .LBB190_70
.LBB190_102:                            ;   in Loop: Header=BB190_41 Depth=1
	s_or_b64 exec, exec, s[76:77]
	s_and_saveexec_b64 s[76:77], s[60:61]
	s_cbranch_execz .LBB190_71
.LBB190_103:                            ;   in Loop: Header=BB190_41 Depth=1
	ds_read_b32 v11, v6 offset:49268
	s_waitcnt lgkmcnt(0)
	v_add_u32_e32 v10, v11, v10
	s_or_b64 exec, exec, s[76:77]
	s_and_saveexec_b64 s[76:77], s[62:63]
	s_cbranch_execnz .LBB190_72
.LBB190_104:                            ;   in Loop: Header=BB190_41 Depth=1
	s_or_b64 exec, exec, s[76:77]
	s_and_saveexec_b64 s[76:77], s[64:65]
	s_cbranch_execz .LBB190_73
.LBB190_105:                            ;   in Loop: Header=BB190_41 Depth=1
	v_add3_u32 v11, v8, -1, v10
	v_lshl_add_u32 v11, v11, 2, 0
	v_add_u32_e32 v12, v8, v10
	v_lshl_add_u32 v12, v12, 3, 0
	ds_write_b32 v11, v9
	ds_write_b64 v12, v[4:5] offset:16376
	s_or_b64 exec, exec, s[76:77]
	s_and_saveexec_b64 s[64:65], vcc
	s_cbranch_execz .LBB190_40
.LBB190_106:                            ;   in Loop: Header=BB190_41 Depth=1
	ds_write_b32 v6, v10 offset:49276
	s_branch .LBB190_40
.LBB190_107:
	s_or_b64 exec, exec, s[68:69]
	s_ashr_i32 s75, s74, 31
	s_lshl_b64 s[0:1], s[74:75], 3
	s_add_u32 s4, s66, s0
	s_addc_u32 s5, s67, s1
	s_load_dwordx4 s[0:3], s[4:5], 0x0
	s_waitcnt lgkmcnt(0)
	s_sub_i32 s8, s2, s0
	v_cmp_gt_i32_e32 vcc, s8, v0
	s_and_saveexec_b64 s[4:5], vcc
	s_cbranch_execz .LBB190_117
; %bb.108:
	s_sub_u32 s4, s0, s70
	s_subb_u32 s5, s1, 0
	s_and_b32 s10, s8, 7
	s_sub_i32 s0, s0, s2
	s_cmp_lt_u32 s0, -7
	s_cselect_b64 s[0:1], -1, 0
	s_and_b32 s11, s8, -8
	s_cmp_lg_u32 s10, 0
	v_cndmask_b32_e64 v1, 0, 1, s[0:1]
	s_cselect_b64 s[2:3], -1, 0
	v_cmp_ne_u32_e64 s[0:1], 1, v1
	v_cndmask_b32_e64 v1, 0, 1, s[2:3]
	s_mov_b32 s9, 0
	s_mov_b64 s[6:7], 0
	v_cmp_ne_u32_e64 s[2:3], 1, v1
	s_branch .LBB190_110
.LBB190_109:                            ;   in Loop: Header=BB190_110 Depth=1
	v_add_u32_e32 v0, 0x400, v0
	v_cmp_le_i32_e32 vcc, s8, v0
	v_lshl_add_u64 v[4:5], v[4:5], 3, s[72:73]
	s_or_b64 s[6:7], vcc, s[6:7]
	s_waitcnt lgkmcnt(0)
	global_store_dwordx2 v[4:5], v[2:3], off
	s_andn2_b64 exec, exec, s[6:7]
	s_cbranch_execz .LBB190_117
.LBB190_110:                            ; =>This Loop Header: Depth=1
                                        ;     Child Loop BB190_112 Depth 2
                                        ;     Child Loop BB190_116 Depth 2
	v_lshlrev_b32_e32 v1, 2, v0
	v_add_u32_e32 v2, 0, v1
	v_add_u32_e32 v3, v2, v1
	ds_read_b32 v1, v2
	ds_read_b64 v[2:3], v3 offset:16384
	s_and_b64 vcc, exec, s[0:1]
	v_mov_b64_e32 v[4:5], s[4:5]
	s_mov_b32 s12, 0
	s_cbranch_vccnz .LBB190_114
; %bb.111:                              ;   in Loop: Header=BB190_110 Depth=1
	s_mov_b32 s13, 0
	v_mov_b64_e32 v[4:5], s[4:5]
.LBB190_112:                            ;   Parent Loop BB190_110 Depth=1
                                        ; =>  This Inner Loop Header: Depth=2
	v_mov_b32_e32 v6, s13
	ds_read2_b32 v[22:23], v6 offset1:1
	ds_read2_b32 v[24:25], v6 offset0:2 offset1:3
	ds_read2_b32 v[26:27], v6 offset0:4 offset1:5
	;; [unrolled: 1-line block ×3, first 2 shown]
	v_mov_b32_e32 v7, s9
	s_waitcnt lgkmcnt(3)
	v_cmp_gt_i32_e32 vcc, v1, v22
	v_mov_b32_e32 v9, s9
	v_mov_b32_e32 v11, s9
	v_cndmask_b32_e64 v6, 0, 1, vcc
	v_cmp_gt_i32_e32 vcc, v1, v23
	v_lshl_add_u64 v[4:5], v[4:5], 0, v[6:7]
	v_mov_b32_e32 v13, s9
	v_cndmask_b32_e64 v8, 0, 1, vcc
	s_waitcnt lgkmcnt(2)
	v_cmp_gt_i32_e32 vcc, v1, v24
	v_lshl_add_u64 v[4:5], v[4:5], 0, v[8:9]
	v_mov_b32_e32 v15, s9
	v_cndmask_b32_e64 v10, 0, 1, vcc
	v_cmp_gt_i32_e32 vcc, v1, v25
	v_lshl_add_u64 v[4:5], v[4:5], 0, v[10:11]
	v_mov_b32_e32 v17, s9
	v_cndmask_b32_e64 v12, 0, 1, vcc
	s_waitcnt lgkmcnt(1)
	v_cmp_gt_i32_e32 vcc, v1, v26
	v_lshl_add_u64 v[4:5], v[4:5], 0, v[12:13]
	;; [unrolled: 9-line block ×3, first 2 shown]
	s_add_i32 s12, s12, 8
	v_cndmask_b32_e64 v18, 0, 1, vcc
	v_cmp_gt_i32_e32 vcc, v1, v29
	s_add_i32 s13, s13, 32
	v_lshl_add_u64 v[4:5], v[4:5], 0, v[18:19]
	v_cndmask_b32_e64 v20, 0, 1, vcc
	s_cmp_eq_u32 s11, s12
	v_lshl_add_u64 v[4:5], v[4:5], 0, v[20:21]
	s_cbranch_scc0 .LBB190_112
; %bb.113:                              ;   in Loop: Header=BB190_110 Depth=1
	s_mov_b32 s12, s11
.LBB190_114:                            ;   in Loop: Header=BB190_110 Depth=1
	s_and_b64 vcc, exec, s[2:3]
	s_cbranch_vccnz .LBB190_109
; %bb.115:                              ;   in Loop: Header=BB190_110 Depth=1
	s_lshl_b32 s12, s12, 2
	s_add_i32 s12, s12, 0
	s_mov_b32 s13, s10
.LBB190_116:                            ;   Parent Loop BB190_110 Depth=1
                                        ; =>  This Inner Loop Header: Depth=2
	v_mov_b32_e32 v6, s12
	ds_read_b32 v6, v6
	v_mov_b32_e32 v7, s9
	s_add_i32 s12, s12, 4
	s_add_i32 s13, s13, -1
	s_cmp_lg_u32 s13, 0
	s_waitcnt lgkmcnt(0)
	v_cmp_gt_i32_e32 vcc, v1, v6
	s_nop 1
	v_cndmask_b32_e64 v6, 0, 1, vcc
	v_lshl_add_u64 v[4:5], v[4:5], 0, v[6:7]
	s_cbranch_scc1 .LBB190_116
	s_branch .LBB190_109
.LBB190_117:
	s_endpgm
	.section	.rodata,"a",@progbits
	.p2align	6, 0x0
	.amdhsa_kernel _ZN9rocsparseL41csrgemm_numeric_fill_block_per_row_kernelILj1024ELj64ELj4096ELj137ELj32ElidEEvT5_PKS1_S3_NS_24const_host_device_scalarIT6_EEPKT4_S3_PKS5_S9_S3_SB_S6_S9_S3_SB_S9_S3_PS5_21rocsparse_index_base_SD_SD_SD_bbb
		.amdhsa_group_segment_fixed_size 0
		.amdhsa_private_segment_fixed_size 0
		.amdhsa_kernarg_size 156
		.amdhsa_user_sgpr_count 2
		.amdhsa_user_sgpr_dispatch_ptr 0
		.amdhsa_user_sgpr_queue_ptr 0
		.amdhsa_user_sgpr_kernarg_segment_ptr 1
		.amdhsa_user_sgpr_dispatch_id 0
		.amdhsa_user_sgpr_kernarg_preload_length 0
		.amdhsa_user_sgpr_kernarg_preload_offset 0
		.amdhsa_user_sgpr_private_segment_size 0
		.amdhsa_uses_dynamic_stack 0
		.amdhsa_enable_private_segment 0
		.amdhsa_system_sgpr_workgroup_id_x 1
		.amdhsa_system_sgpr_workgroup_id_y 0
		.amdhsa_system_sgpr_workgroup_id_z 0
		.amdhsa_system_sgpr_workgroup_info 0
		.amdhsa_system_vgpr_workitem_id 0
		.amdhsa_next_free_vgpr 30
		.amdhsa_next_free_sgpr 78
		.amdhsa_accum_offset 32
		.amdhsa_reserve_vcc 1
		.amdhsa_float_round_mode_32 0
		.amdhsa_float_round_mode_16_64 0
		.amdhsa_float_denorm_mode_32 3
		.amdhsa_float_denorm_mode_16_64 3
		.amdhsa_dx10_clamp 1
		.amdhsa_ieee_mode 1
		.amdhsa_fp16_overflow 0
		.amdhsa_tg_split 0
		.amdhsa_exception_fp_ieee_invalid_op 0
		.amdhsa_exception_fp_denorm_src 0
		.amdhsa_exception_fp_ieee_div_zero 0
		.amdhsa_exception_fp_ieee_overflow 0
		.amdhsa_exception_fp_ieee_underflow 0
		.amdhsa_exception_fp_ieee_inexact 0
		.amdhsa_exception_int_div_zero 0
	.end_amdhsa_kernel
	.section	.text._ZN9rocsparseL41csrgemm_numeric_fill_block_per_row_kernelILj1024ELj64ELj4096ELj137ELj32ElidEEvT5_PKS1_S3_NS_24const_host_device_scalarIT6_EEPKT4_S3_PKS5_S9_S3_SB_S6_S9_S3_SB_S9_S3_PS5_21rocsparse_index_base_SD_SD_SD_bbb,"axG",@progbits,_ZN9rocsparseL41csrgemm_numeric_fill_block_per_row_kernelILj1024ELj64ELj4096ELj137ELj32ElidEEvT5_PKS1_S3_NS_24const_host_device_scalarIT6_EEPKT4_S3_PKS5_S9_S3_SB_S6_S9_S3_SB_S9_S3_PS5_21rocsparse_index_base_SD_SD_SD_bbb,comdat
.Lfunc_end190:
	.size	_ZN9rocsparseL41csrgemm_numeric_fill_block_per_row_kernelILj1024ELj64ELj4096ELj137ELj32ElidEEvT5_PKS1_S3_NS_24const_host_device_scalarIT6_EEPKT4_S3_PKS5_S9_S3_SB_S6_S9_S3_SB_S9_S3_PS5_21rocsparse_index_base_SD_SD_SD_bbb, .Lfunc_end190-_ZN9rocsparseL41csrgemm_numeric_fill_block_per_row_kernelILj1024ELj64ELj4096ELj137ELj32ElidEEvT5_PKS1_S3_NS_24const_host_device_scalarIT6_EEPKT4_S3_PKS5_S9_S3_SB_S6_S9_S3_SB_S9_S3_PS5_21rocsparse_index_base_SD_SD_SD_bbb
                                        ; -- End function
	.set _ZN9rocsparseL41csrgemm_numeric_fill_block_per_row_kernelILj1024ELj64ELj4096ELj137ELj32ElidEEvT5_PKS1_S3_NS_24const_host_device_scalarIT6_EEPKT4_S3_PKS5_S9_S3_SB_S6_S9_S3_SB_S9_S3_PS5_21rocsparse_index_base_SD_SD_SD_bbb.num_vgpr, 30
	.set _ZN9rocsparseL41csrgemm_numeric_fill_block_per_row_kernelILj1024ELj64ELj4096ELj137ELj32ElidEEvT5_PKS1_S3_NS_24const_host_device_scalarIT6_EEPKT4_S3_PKS5_S9_S3_SB_S6_S9_S3_SB_S9_S3_PS5_21rocsparse_index_base_SD_SD_SD_bbb.num_agpr, 0
	.set _ZN9rocsparseL41csrgemm_numeric_fill_block_per_row_kernelILj1024ELj64ELj4096ELj137ELj32ElidEEvT5_PKS1_S3_NS_24const_host_device_scalarIT6_EEPKT4_S3_PKS5_S9_S3_SB_S6_S9_S3_SB_S9_S3_PS5_21rocsparse_index_base_SD_SD_SD_bbb.numbered_sgpr, 78
	.set _ZN9rocsparseL41csrgemm_numeric_fill_block_per_row_kernelILj1024ELj64ELj4096ELj137ELj32ElidEEvT5_PKS1_S3_NS_24const_host_device_scalarIT6_EEPKT4_S3_PKS5_S9_S3_SB_S6_S9_S3_SB_S9_S3_PS5_21rocsparse_index_base_SD_SD_SD_bbb.num_named_barrier, 0
	.set _ZN9rocsparseL41csrgemm_numeric_fill_block_per_row_kernelILj1024ELj64ELj4096ELj137ELj32ElidEEvT5_PKS1_S3_NS_24const_host_device_scalarIT6_EEPKT4_S3_PKS5_S9_S3_SB_S6_S9_S3_SB_S9_S3_PS5_21rocsparse_index_base_SD_SD_SD_bbb.private_seg_size, 0
	.set _ZN9rocsparseL41csrgemm_numeric_fill_block_per_row_kernelILj1024ELj64ELj4096ELj137ELj32ElidEEvT5_PKS1_S3_NS_24const_host_device_scalarIT6_EEPKT4_S3_PKS5_S9_S3_SB_S6_S9_S3_SB_S9_S3_PS5_21rocsparse_index_base_SD_SD_SD_bbb.uses_vcc, 1
	.set _ZN9rocsparseL41csrgemm_numeric_fill_block_per_row_kernelILj1024ELj64ELj4096ELj137ELj32ElidEEvT5_PKS1_S3_NS_24const_host_device_scalarIT6_EEPKT4_S3_PKS5_S9_S3_SB_S6_S9_S3_SB_S9_S3_PS5_21rocsparse_index_base_SD_SD_SD_bbb.uses_flat_scratch, 0
	.set _ZN9rocsparseL41csrgemm_numeric_fill_block_per_row_kernelILj1024ELj64ELj4096ELj137ELj32ElidEEvT5_PKS1_S3_NS_24const_host_device_scalarIT6_EEPKT4_S3_PKS5_S9_S3_SB_S6_S9_S3_SB_S9_S3_PS5_21rocsparse_index_base_SD_SD_SD_bbb.has_dyn_sized_stack, 0
	.set _ZN9rocsparseL41csrgemm_numeric_fill_block_per_row_kernelILj1024ELj64ELj4096ELj137ELj32ElidEEvT5_PKS1_S3_NS_24const_host_device_scalarIT6_EEPKT4_S3_PKS5_S9_S3_SB_S6_S9_S3_SB_S9_S3_PS5_21rocsparse_index_base_SD_SD_SD_bbb.has_recursion, 0
	.set _ZN9rocsparseL41csrgemm_numeric_fill_block_per_row_kernelILj1024ELj64ELj4096ELj137ELj32ElidEEvT5_PKS1_S3_NS_24const_host_device_scalarIT6_EEPKT4_S3_PKS5_S9_S3_SB_S6_S9_S3_SB_S9_S3_PS5_21rocsparse_index_base_SD_SD_SD_bbb.has_indirect_call, 0
	.section	.AMDGPU.csdata,"",@progbits
; Kernel info:
; codeLenInByte = 3888
; TotalNumSgprs: 84
; NumVgprs: 30
; NumAgprs: 0
; TotalNumVgprs: 30
; ScratchSize: 0
; MemoryBound: 0
; FloatMode: 240
; IeeeMode: 1
; LDSByteSize: 0 bytes/workgroup (compile time only)
; SGPRBlocks: 10
; VGPRBlocks: 3
; NumSGPRsForWavesPerEU: 84
; NumVGPRsForWavesPerEU: 30
; AccumOffset: 32
; Occupancy: 8
; WaveLimiterHint : 1
; COMPUTE_PGM_RSRC2:SCRATCH_EN: 0
; COMPUTE_PGM_RSRC2:USER_SGPR: 2
; COMPUTE_PGM_RSRC2:TRAP_HANDLER: 0
; COMPUTE_PGM_RSRC2:TGID_X_EN: 1
; COMPUTE_PGM_RSRC2:TGID_Y_EN: 0
; COMPUTE_PGM_RSRC2:TGID_Z_EN: 0
; COMPUTE_PGM_RSRC2:TIDIG_COMP_CNT: 0
; COMPUTE_PGM_RSRC3_GFX90A:ACCUM_OFFSET: 7
; COMPUTE_PGM_RSRC3_GFX90A:TG_SPLIT: 0
	.section	.text._ZN9rocsparseL41csrgemm_numeric_fill_block_per_row_kernelILj1024ELj64ELj4096ELj137ELj64ElidEEvT5_PKS1_S3_NS_24const_host_device_scalarIT6_EEPKT4_S3_PKS5_S9_S3_SB_S6_S9_S3_SB_S9_S3_PS5_21rocsparse_index_base_SD_SD_SD_bbb,"axG",@progbits,_ZN9rocsparseL41csrgemm_numeric_fill_block_per_row_kernelILj1024ELj64ELj4096ELj137ELj64ElidEEvT5_PKS1_S3_NS_24const_host_device_scalarIT6_EEPKT4_S3_PKS5_S9_S3_SB_S6_S9_S3_SB_S9_S3_PS5_21rocsparse_index_base_SD_SD_SD_bbb,comdat
	.globl	_ZN9rocsparseL41csrgemm_numeric_fill_block_per_row_kernelILj1024ELj64ELj4096ELj137ELj64ElidEEvT5_PKS1_S3_NS_24const_host_device_scalarIT6_EEPKT4_S3_PKS5_S9_S3_SB_S6_S9_S3_SB_S9_S3_PS5_21rocsparse_index_base_SD_SD_SD_bbb ; -- Begin function _ZN9rocsparseL41csrgemm_numeric_fill_block_per_row_kernelILj1024ELj64ELj4096ELj137ELj64ElidEEvT5_PKS1_S3_NS_24const_host_device_scalarIT6_EEPKT4_S3_PKS5_S9_S3_SB_S6_S9_S3_SB_S9_S3_PS5_21rocsparse_index_base_SD_SD_SD_bbb
	.p2align	8
	.type	_ZN9rocsparseL41csrgemm_numeric_fill_block_per_row_kernelILj1024ELj64ELj4096ELj137ELj64ElidEEvT5_PKS1_S3_NS_24const_host_device_scalarIT6_EEPKT4_S3_PKS5_S9_S3_SB_S6_S9_S3_SB_S9_S3_PS5_21rocsparse_index_base_SD_SD_SD_bbb,@function
_ZN9rocsparseL41csrgemm_numeric_fill_block_per_row_kernelILj1024ELj64ELj4096ELj137ELj64ElidEEvT5_PKS1_S3_NS_24const_host_device_scalarIT6_EEPKT4_S3_PKS5_S9_S3_SB_S6_S9_S3_SB_S9_S3_PS5_21rocsparse_index_base_SD_SD_SD_bbb: ; @_ZN9rocsparseL41csrgemm_numeric_fill_block_per_row_kernelILj1024ELj64ELj4096ELj137ELj64ElidEEvT5_PKS1_S3_NS_24const_host_device_scalarIT6_EEPKT4_S3_PKS5_S9_S3_SB_S6_S9_S3_SB_S9_S3_PS5_21rocsparse_index_base_SD_SD_SD_bbb
; %bb.0:
	s_load_dword s3, s[0:1], 0x98
	s_load_dwordx4 s[44:47], s[0:1], 0x88
	s_load_dwordx2 s[4:5], s[0:1], 0x18
	s_load_dwordx2 s[24:25], s[0:1], 0x50
	s_waitcnt lgkmcnt(0)
	s_bitcmp1_b32 s3, 0
	s_cselect_b64 s[22:23], -1, 0
	s_bitcmp1_b32 s3, 16
	s_cselect_b64 s[26:27], -1, 0
	s_xor_b64 s[6:7], s[22:23], -1
	s_or_b64 s[6:7], s[26:27], s[6:7]
	s_and_b64 s[8:9], s[22:23], exec
	s_cselect_b32 s9, s5, 0
	s_cselect_b32 s8, s4, 0
	s_and_b64 vcc, exec, s[6:7]
	v_mov_b64_e32 v[4:5], s[8:9]
	s_cbranch_vccnz .LBB191_2
; %bb.1:
	v_mov_b64_e32 v[2:3], s[4:5]
	flat_load_dwordx2 v[4:5], v[2:3]
.LBB191_2:
	s_load_dwordx2 s[34:35], s[0:1], 0x80
	s_load_dwordx8 s[36:43], s[0:1], 0x58
	s_load_dwordx4 s[12:15], s[0:1], 0x40
	s_load_dwordx4 s[16:19], s[0:1], 0x8
	s_load_dwordx8 s[4:11], s[0:1], 0x20
	s_bitcmp1_b32 s3, 8
	s_cselect_b64 s[20:21], -1, 0
	s_xor_b64 s[28:29], s[20:21], -1
	s_or_b64 s[26:27], s[26:27], s[28:29]
	s_and_b64 s[28:29], s[20:21], exec
	s_cselect_b32 s29, s25, 0
	s_cselect_b32 s28, s24, 0
	s_and_b64 vcc, exec, s[26:27]
	v_mov_b64_e32 v[2:3], s[28:29]
	s_cbranch_vccnz .LBB191_4
; %bb.3:
	v_mov_b64_e32 v[2:3], s[24:25]
	flat_load_dwordx2 v[2:3], v[2:3]
.LBB191_4:
	s_load_dword s33, s[0:1], 0x0
	v_lshl_add_u32 v1, v0, 3, 0
	v_mov_b32_e32 v6, 0
	v_add_u32_e32 v1, 0x4000, v1
	v_or_b32_e32 v18, 0xfffffc00, v0
	v_lshl_add_u32 v19, v0, 2, 0
	s_mov_b64 s[0:1], 0
	s_waitcnt lgkmcnt(0)
	v_mov_b32_e32 v11, s33
	v_mov_b32_e32 v7, v6
	s_movk_i32 s3, 0xbff
	v_mov_b32_e32 v8, v19
	v_mov_b32_e32 v9, v18
	;; [unrolled: 1-line block ×3, first 2 shown]
.LBB191_5:                              ; =>This Inner Loop Header: Depth=1
	v_add_u32_e32 v9, 0x400, v9
	v_cmp_lt_u32_e32 vcc, s3, v9
	ds_write_b32 v8, v11
	ds_write_b64 v10, v[6:7]
	v_add_u32_e32 v10, 0x2000, v10
	s_or_b64 s[0:1], vcc, s[0:1]
	v_add_u32_e32 v8, 0x1000, v8
	s_andn2_b64 exec, exec, s[0:1]
	s_cbranch_execnz .LBB191_5
; %bb.6:
	s_or_b64 exec, exec, s[0:1]
	s_waitcnt lgkmcnt(0)
	s_barrier
	s_load_dword s0, s[16:17], 0x0
	s_mov_b32 s1, 0
	v_lshrrev_b32_e32 v20, 6, v0
	s_waitcnt lgkmcnt(0)
	s_add_i32 s0, s0, s2
	s_lshl_b64 s[0:1], s[0:1], 2
	s_add_u32 s0, s18, s0
	s_addc_u32 s1, s19, s1
	s_load_dword s48, s[0:1], 0x0
	s_and_b64 vcc, exec, s[22:23]
	s_cbranch_vccz .LBB191_24
; %bb.7:
	s_waitcnt lgkmcnt(0)
	s_ashr_i32 s49, s48, 31
	s_lshl_b64 s[0:1], s[48:49], 3
	s_add_u32 s0, s4, s0
	s_addc_u32 s1, s5, s1
	s_load_dwordx4 s[16:19], s[0:1], 0x0
	v_subrev_co_u32_e32 v6, vcc, s44, v20
	s_nop 1
	v_subb_co_u32_e64 v7, s[0:1], 0, 0, vcc
	s_waitcnt lgkmcnt(0)
	s_sub_u32 s0, s18, s44
	s_subb_u32 s1, s19, 0
	v_lshl_add_u64 v[6:7], s[16:17], 0, v[6:7]
	v_cmp_gt_i64_e32 vcc, s[0:1], v[6:7]
	s_and_saveexec_b64 s[2:3], vcc
	s_cbranch_execz .LBB191_23
; %bb.8:
	v_and_b32_e32 v8, 63, v0
	v_subrev_co_u32_e32 v8, vcc, s45, v8
	s_mov_b32 s49, s45
	s_nop 0
	v_subb_co_u32_e64 v9, s[4:5], 0, 0, vcc
	s_mov_b64 s[4:5], 0
	s_movk_i32 s50, 0x89
	s_branch .LBB191_10
.LBB191_9:                              ;   in Loop: Header=BB191_10 Depth=1
	s_or_b64 exec, exec, s[16:17]
	v_lshl_add_u64 v[6:7], v[6:7], 0, 16
	v_cmp_le_i64_e32 vcc, s[0:1], v[6:7]
	s_or_b64 s[4:5], vcc, s[4:5]
	s_andn2_b64 exec, exec, s[4:5]
	s_cbranch_execz .LBB191_23
.LBB191_10:                             ; =>This Loop Header: Depth=1
                                        ;     Child Loop BB191_14 Depth 2
                                        ;       Child Loop BB191_17 Depth 3
	v_lshl_add_u64 v[10:11], v[6:7], 2, s[6:7]
	global_load_dword v10, v[10:11], off
	s_waitcnt vmcnt(0)
	v_subrev_u32_e32 v10, s44, v10
	v_ashrrev_i32_e32 v11, 31, v10
	v_lshl_add_u64 v[10:11], v[10:11], 3, s[10:11]
	global_load_dwordx4 v[12:15], v[10:11], off
	s_waitcnt vmcnt(0)
	v_subrev_co_u32_e32 v10, vcc, s49, v14
	s_nop 1
	v_subbrev_co_u32_e32 v11, vcc, 0, v15, vcc
	v_lshl_add_u64 v[12:13], v[12:13], 0, v[8:9]
	v_cmp_lt_i64_e32 vcc, v[12:13], v[10:11]
	s_and_saveexec_b64 s[16:17], vcc
	s_cbranch_execz .LBB191_9
; %bb.11:                               ;   in Loop: Header=BB191_10 Depth=1
	v_lshl_add_u64 v[14:15], v[6:7], 3, s[8:9]
	global_load_dwordx2 v[14:15], v[14:15], off
	s_mov_b64 s[18:19], 0
	s_waitcnt vmcnt(0)
	v_mul_f64 v[14:15], v[4:5], v[14:15]
	s_branch .LBB191_14
.LBB191_12:                             ;   in Loop: Header=BB191_14 Depth=2
	s_or_b64 exec, exec, s[24:25]
.LBB191_13:                             ;   in Loop: Header=BB191_14 Depth=2
	s_or_b64 exec, exec, s[22:23]
	s_waitcnt vmcnt(0)
	v_mul_f64 v[16:17], v[14:15], v[16:17]
	v_lshl_add_u32 v21, v21, 3, 0
	ds_add_f64 v21, v[16:17] offset:16384
	v_lshl_add_u64 v[12:13], v[12:13], 0, 64
	v_cmp_ge_i64_e32 vcc, v[12:13], v[10:11]
	s_or_b64 s[18:19], vcc, s[18:19]
	s_andn2_b64 exec, exec, s[18:19]
	s_cbranch_execz .LBB191_9
.LBB191_14:                             ;   Parent Loop BB191_10 Depth=1
                                        ; =>  This Loop Header: Depth=2
                                        ;       Child Loop BB191_17 Depth 3
	v_lshl_add_u64 v[16:17], v[12:13], 2, s[12:13]
	global_load_dword v21, v[16:17], off
	v_lshl_add_u64 v[16:17], v[12:13], 3, s[14:15]
	global_load_dwordx2 v[16:17], v[16:17], off
	s_waitcnt vmcnt(1)
	v_subrev_u32_e32 v22, s45, v21
	v_mul_lo_u32 v21, v22, s50
	v_and_b32_e32 v21, 0xfff, v21
	v_lshl_add_u32 v23, v21, 2, 0
	ds_read_b32 v24, v23
	s_waitcnt lgkmcnt(0)
	v_cmp_ne_u32_e32 vcc, v24, v22
	s_and_saveexec_b64 s[22:23], vcc
	s_cbranch_execz .LBB191_13
; %bb.15:                               ;   in Loop: Header=BB191_14 Depth=2
	s_mov_b64 s[24:25], 0
	s_branch .LBB191_17
.LBB191_16:                             ;   in Loop: Header=BB191_17 Depth=3
	s_or_b64 exec, exec, s[30:31]
	s_and_b64 s[26:27], exec, s[28:29]
	s_or_b64 s[24:25], s[26:27], s[24:25]
	s_andn2_b64 exec, exec, s[24:25]
	s_cbranch_execz .LBB191_12
.LBB191_17:                             ;   Parent Loop BB191_10 Depth=1
                                        ;     Parent Loop BB191_14 Depth=2
                                        ; =>    This Inner Loop Header: Depth=3
	v_cmp_ne_u32_e32 vcc, s33, v24
	s_mov_b64 s[26:27], 0
	s_and_saveexec_b64 s[28:29], vcc
	s_xor_b64 s[28:29], exec, s[28:29]
	s_cbranch_execz .LBB191_19
; %bb.18:                               ;   in Loop: Header=BB191_17 Depth=3
	v_add_u32_e32 v21, 1, v21
	s_mov_b64 s[26:27], exec
	v_and_b32_e32 v21, 0xfff, v21
                                        ; implicit-def: $vgpr23
	s_andn2_saveexec_b64 s[28:29], s[28:29]
	s_cbranch_execz .LBB191_21
	s_branch .LBB191_20
.LBB191_19:                             ;   in Loop: Header=BB191_17 Depth=3
	s_andn2_saveexec_b64 s[28:29], s[28:29]
	s_cbranch_execz .LBB191_21
.LBB191_20:                             ;   in Loop: Header=BB191_17 Depth=3
	v_mov_b32_e32 v24, s33
	ds_cmpst_rtn_b32 v23, v23, v24, v22
	s_andn2_b64 s[26:27], s[26:27], exec
	s_waitcnt lgkmcnt(0)
	v_cmp_ne_u32_e32 vcc, s33, v23
	s_and_b64 s[30:31], vcc, exec
	s_or_b64 s[26:27], s[26:27], s[30:31]
.LBB191_21:                             ;   in Loop: Header=BB191_17 Depth=3
	s_or_b64 exec, exec, s[28:29]
	s_mov_b64 s[28:29], -1
                                        ; implicit-def: $vgpr23
                                        ; implicit-def: $vgpr24
	s_and_saveexec_b64 s[30:31], s[26:27]
	s_cbranch_execz .LBB191_16
; %bb.22:                               ;   in Loop: Header=BB191_17 Depth=3
	v_lshl_add_u32 v23, v21, 2, 0
	ds_read_b32 v24, v23
	s_waitcnt lgkmcnt(0)
	v_cmp_eq_u32_e32 vcc, v24, v22
	s_orn2_b64 s[28:29], vcc, exec
	s_branch .LBB191_16
.LBB191_23:
	s_or_b64 exec, exec, s[2:3]
.LBB191_24:
	s_andn2_b64 vcc, exec, s[20:21]
	s_cbranch_vccnz .LBB191_39
; %bb.25:
	s_waitcnt lgkmcnt(0)
	s_ashr_i32 s49, s48, 31
	s_lshl_b64 s[0:1], s[48:49], 3
	s_add_u32 s0, s36, s0
	s_addc_u32 s1, s37, s1
	s_load_dwordx4 s[4:7], s[0:1], 0x0
	s_waitcnt vmcnt(0)
	v_subrev_co_u32_e32 v4, vcc, s47, v0
	s_nop 1
	v_subb_co_u32_e64 v5, s[0:1], 0, 0, vcc
	s_waitcnt lgkmcnt(0)
	s_sub_u32 s0, s6, s47
	s_subb_u32 s1, s7, 0
	v_lshl_add_u64 v[4:5], s[4:5], 0, v[4:5]
	v_cmp_gt_i64_e32 vcc, s[0:1], v[4:5]
	s_and_saveexec_b64 s[2:3], vcc
	s_cbranch_execz .LBB191_38
; %bb.26:
	s_mov_b64 s[4:5], 0
	s_movk_i32 s18, 0x89
	s_mov_b64 s[6:7], 0x400
	s_branch .LBB191_29
.LBB191_27:                             ;   in Loop: Header=BB191_29 Depth=1
	s_or_b64 exec, exec, s[10:11]
.LBB191_28:                             ;   in Loop: Header=BB191_29 Depth=1
	s_or_b64 exec, exec, s[8:9]
	s_waitcnt vmcnt(0)
	v_mul_f64 v[6:7], v[2:3], v[6:7]
	v_lshl_add_u32 v8, v8, 3, 0
	ds_add_f64 v8, v[6:7] offset:16384
	v_lshl_add_u64 v[4:5], v[4:5], 0, s[6:7]
	v_cmp_le_i64_e32 vcc, s[0:1], v[4:5]
	s_or_b64 s[4:5], vcc, s[4:5]
	s_andn2_b64 exec, exec, s[4:5]
	s_cbranch_execz .LBB191_38
.LBB191_29:                             ; =>This Loop Header: Depth=1
                                        ;     Child Loop BB191_32 Depth 2
	v_lshl_add_u64 v[6:7], v[4:5], 2, s[38:39]
	global_load_dword v8, v[6:7], off
	v_lshl_add_u64 v[6:7], v[4:5], 3, s[40:41]
	global_load_dwordx2 v[6:7], v[6:7], off
	s_waitcnt vmcnt(1)
	v_subrev_u32_e32 v9, s47, v8
	v_mul_lo_u32 v8, v9, s18
	v_and_b32_e32 v8, 0xfff, v8
	v_lshl_add_u32 v10, v8, 2, 0
	ds_read_b32 v11, v10
	s_waitcnt lgkmcnt(0)
	v_cmp_ne_u32_e32 vcc, v11, v9
	s_and_saveexec_b64 s[8:9], vcc
	s_cbranch_execz .LBB191_28
; %bb.30:                               ;   in Loop: Header=BB191_29 Depth=1
	s_mov_b64 s[10:11], 0
	s_branch .LBB191_32
.LBB191_31:                             ;   in Loop: Header=BB191_32 Depth=2
	s_or_b64 exec, exec, s[16:17]
	s_and_b64 s[12:13], exec, s[14:15]
	s_or_b64 s[10:11], s[12:13], s[10:11]
	s_andn2_b64 exec, exec, s[10:11]
	s_cbranch_execz .LBB191_27
.LBB191_32:                             ;   Parent Loop BB191_29 Depth=1
                                        ; =>  This Inner Loop Header: Depth=2
	v_cmp_ne_u32_e32 vcc, s33, v11
	s_mov_b64 s[12:13], 0
	s_and_saveexec_b64 s[14:15], vcc
	s_xor_b64 s[14:15], exec, s[14:15]
	s_cbranch_execz .LBB191_34
; %bb.33:                               ;   in Loop: Header=BB191_32 Depth=2
	v_add_u32_e32 v8, 1, v8
	s_mov_b64 s[12:13], exec
	v_and_b32_e32 v8, 0xfff, v8
                                        ; implicit-def: $vgpr10
	s_andn2_saveexec_b64 s[14:15], s[14:15]
	s_cbranch_execz .LBB191_36
	s_branch .LBB191_35
.LBB191_34:                             ;   in Loop: Header=BB191_32 Depth=2
	s_andn2_saveexec_b64 s[14:15], s[14:15]
	s_cbranch_execz .LBB191_36
.LBB191_35:                             ;   in Loop: Header=BB191_32 Depth=2
	v_mov_b32_e32 v11, s33
	ds_cmpst_rtn_b32 v10, v10, v11, v9
	s_andn2_b64 s[12:13], s[12:13], exec
	s_waitcnt lgkmcnt(0)
	v_cmp_ne_u32_e32 vcc, s33, v10
	s_and_b64 s[16:17], vcc, exec
	s_or_b64 s[12:13], s[12:13], s[16:17]
.LBB191_36:                             ;   in Loop: Header=BB191_32 Depth=2
	s_or_b64 exec, exec, s[14:15]
	s_mov_b64 s[14:15], -1
                                        ; implicit-def: $vgpr10
                                        ; implicit-def: $vgpr11
	s_and_saveexec_b64 s[16:17], s[12:13]
	s_cbranch_execz .LBB191_31
; %bb.37:                               ;   in Loop: Header=BB191_32 Depth=2
	v_lshl_add_u32 v10, v8, 2, 0
	ds_read_b32 v11, v10
	s_waitcnt lgkmcnt(0)
	v_cmp_eq_u32_e32 vcc, v11, v9
	s_orn2_b64 s[14:15], vcc, exec
	s_branch .LBB191_31
.LBB191_38:
	s_or_b64 exec, exec, s[2:3]
.LBB191_39:
	s_waitcnt vmcnt(0)
	v_mbcnt_lo_u32_b32 v2, -1, 0
	v_mbcnt_hi_u32_b32 v2, -1, v2
	v_sub_u32_e32 v2, 63, v2
	s_movk_i32 s0, 0x3ff
	s_movk_i32 s2, 0x7f
	;; [unrolled: 1-line block ×15, first 2 shown]
	v_mov_b32_e32 v6, 0
	v_lshrrev_b64 v[2:3], v2, -1
	v_lshl_add_u32 v7, v20, 2, 0
	v_cmp_eq_u32_e32 vcc, s0, v0
	v_cmp_lt_u32_e64 s[0:1], 63, v0
	v_cmp_lt_u32_e64 s[2:3], s2, v0
	;; [unrolled: 1-line block ×15, first 2 shown]
	s_mov_b64 s[36:37], 0
	s_movk_i32 s40, 0xbff
	v_mov_b32_e32 v8, 0
	s_waitcnt lgkmcnt(0)
	s_barrier
	s_branch .LBB191_41
.LBB191_40:                             ;   in Loop: Header=BB191_41 Depth=1
	s_or_b64 exec, exec, s[30:31]
	s_waitcnt lgkmcnt(0)
	s_barrier
	ds_read_b32 v4, v6 offset:49212
	v_add_u32_e32 v18, 0x400, v18
	v_cmp_lt_u32_e64 s[30:31], s40, v18
	v_add_u32_e32 v1, 0x2000, v1
	s_or_b64 s[36:37], s[30:31], s[36:37]
	s_waitcnt lgkmcnt(0)
	v_add_u32_e32 v8, v4, v8
	v_add_u32_e32 v19, 0x1000, v19
	s_andn2_b64 exec, exec, s[36:37]
	s_cbranch_execz .LBB191_75
.LBB191_41:                             ; =>This Inner Loop Header: Depth=1
	ds_read_b32 v9, v19
	ds_read_b64 v[4:5], v1
	s_waitcnt lgkmcnt(0)
	s_barrier
	v_cmp_gt_i32_e64 s[30:31], s33, v9
	s_bcnt1_i32_b64 s38, s[30:31]
	s_nop 0
	v_and_b32_e32 v11, s30, v2
	v_and_b32_e32 v10, s31, v3
	v_bcnt_u32_b32 v11, v11, 0
	v_bcnt_u32_b32 v10, v10, v11
	v_mov_b32_e32 v11, s38
	ds_write_b32 v7, v11 offset:49152
	s_waitcnt lgkmcnt(0)
	s_barrier
	s_and_saveexec_b64 s[38:39], s[0:1]
	s_cbranch_execz .LBB191_58
; %bb.42:                               ;   in Loop: Header=BB191_41 Depth=1
	ds_read_b32 v11, v6 offset:49152
	s_waitcnt lgkmcnt(0)
	v_add_u32_e32 v10, v11, v10
	s_or_b64 exec, exec, s[38:39]
	s_and_saveexec_b64 s[38:39], s[2:3]
	s_cbranch_execnz .LBB191_59
.LBB191_43:                             ;   in Loop: Header=BB191_41 Depth=1
	s_or_b64 exec, exec, s[38:39]
	s_and_saveexec_b64 s[38:39], s[4:5]
	s_cbranch_execz .LBB191_60
.LBB191_44:                             ;   in Loop: Header=BB191_41 Depth=1
	ds_read_b32 v11, v6 offset:49160
	s_waitcnt lgkmcnt(0)
	v_add_u32_e32 v10, v11, v10
	s_or_b64 exec, exec, s[38:39]
	s_and_saveexec_b64 s[38:39], s[6:7]
	s_cbranch_execnz .LBB191_61
.LBB191_45:                             ;   in Loop: Header=BB191_41 Depth=1
	s_or_b64 exec, exec, s[38:39]
	s_and_saveexec_b64 s[38:39], s[8:9]
	s_cbranch_execz .LBB191_62
.LBB191_46:                             ;   in Loop: Header=BB191_41 Depth=1
	ds_read_b32 v11, v6 offset:49168
	s_waitcnt lgkmcnt(0)
	v_add_u32_e32 v10, v11, v10
	s_or_b64 exec, exec, s[38:39]
	s_and_saveexec_b64 s[38:39], s[10:11]
	s_cbranch_execnz .LBB191_63
.LBB191_47:                             ;   in Loop: Header=BB191_41 Depth=1
	s_or_b64 exec, exec, s[38:39]
	s_and_saveexec_b64 s[38:39], s[12:13]
	s_cbranch_execz .LBB191_64
.LBB191_48:                             ;   in Loop: Header=BB191_41 Depth=1
	ds_read_b32 v11, v6 offset:49176
	s_waitcnt lgkmcnt(0)
	v_add_u32_e32 v10, v11, v10
	s_or_b64 exec, exec, s[38:39]
	s_and_saveexec_b64 s[38:39], s[14:15]
	s_cbranch_execnz .LBB191_65
.LBB191_49:                             ;   in Loop: Header=BB191_41 Depth=1
	s_or_b64 exec, exec, s[38:39]
	s_and_saveexec_b64 s[38:39], s[16:17]
	s_cbranch_execz .LBB191_66
.LBB191_50:                             ;   in Loop: Header=BB191_41 Depth=1
	ds_read_b32 v11, v6 offset:49184
	s_waitcnt lgkmcnt(0)
	v_add_u32_e32 v10, v11, v10
	s_or_b64 exec, exec, s[38:39]
	s_and_saveexec_b64 s[38:39], s[18:19]
	s_cbranch_execnz .LBB191_67
.LBB191_51:                             ;   in Loop: Header=BB191_41 Depth=1
	s_or_b64 exec, exec, s[38:39]
	s_and_saveexec_b64 s[38:39], s[20:21]
	s_cbranch_execz .LBB191_68
.LBB191_52:                             ;   in Loop: Header=BB191_41 Depth=1
	ds_read_b32 v11, v6 offset:49192
	s_waitcnt lgkmcnt(0)
	v_add_u32_e32 v10, v11, v10
	s_or_b64 exec, exec, s[38:39]
	s_and_saveexec_b64 s[38:39], s[22:23]
	s_cbranch_execnz .LBB191_69
.LBB191_53:                             ;   in Loop: Header=BB191_41 Depth=1
	s_or_b64 exec, exec, s[38:39]
	s_and_saveexec_b64 s[38:39], s[24:25]
	s_cbranch_execz .LBB191_70
.LBB191_54:                             ;   in Loop: Header=BB191_41 Depth=1
	ds_read_b32 v11, v6 offset:49200
	s_waitcnt lgkmcnt(0)
	v_add_u32_e32 v10, v11, v10
	s_or_b64 exec, exec, s[38:39]
	s_and_saveexec_b64 s[38:39], s[26:27]
	s_cbranch_execnz .LBB191_71
.LBB191_55:                             ;   in Loop: Header=BB191_41 Depth=1
	s_or_b64 exec, exec, s[38:39]
	s_and_saveexec_b64 s[38:39], s[28:29]
	s_cbranch_execz .LBB191_72
.LBB191_56:                             ;   in Loop: Header=BB191_41 Depth=1
	ds_read_b32 v11, v6 offset:49208
	s_waitcnt lgkmcnt(0)
	v_add_u32_e32 v10, v11, v10
	s_or_b64 exec, exec, s[38:39]
	s_and_saveexec_b64 s[38:39], s[30:31]
	s_cbranch_execnz .LBB191_73
.LBB191_57:                             ;   in Loop: Header=BB191_41 Depth=1
	s_or_b64 exec, exec, s[38:39]
	s_and_saveexec_b64 s[30:31], vcc
	s_cbranch_execz .LBB191_40
	s_branch .LBB191_74
.LBB191_58:                             ;   in Loop: Header=BB191_41 Depth=1
	s_or_b64 exec, exec, s[38:39]
	s_and_saveexec_b64 s[38:39], s[2:3]
	s_cbranch_execz .LBB191_43
.LBB191_59:                             ;   in Loop: Header=BB191_41 Depth=1
	ds_read_b32 v11, v6 offset:49156
	s_waitcnt lgkmcnt(0)
	v_add_u32_e32 v10, v11, v10
	s_or_b64 exec, exec, s[38:39]
	s_and_saveexec_b64 s[38:39], s[4:5]
	s_cbranch_execnz .LBB191_44
.LBB191_60:                             ;   in Loop: Header=BB191_41 Depth=1
	s_or_b64 exec, exec, s[38:39]
	s_and_saveexec_b64 s[38:39], s[6:7]
	s_cbranch_execz .LBB191_45
.LBB191_61:                             ;   in Loop: Header=BB191_41 Depth=1
	ds_read_b32 v11, v6 offset:49164
	s_waitcnt lgkmcnt(0)
	v_add_u32_e32 v10, v11, v10
	s_or_b64 exec, exec, s[38:39]
	s_and_saveexec_b64 s[38:39], s[8:9]
	s_cbranch_execnz .LBB191_46
.LBB191_62:                             ;   in Loop: Header=BB191_41 Depth=1
	s_or_b64 exec, exec, s[38:39]
	s_and_saveexec_b64 s[38:39], s[10:11]
	s_cbranch_execz .LBB191_47
.LBB191_63:                             ;   in Loop: Header=BB191_41 Depth=1
	ds_read_b32 v11, v6 offset:49172
	s_waitcnt lgkmcnt(0)
	v_add_u32_e32 v10, v11, v10
	s_or_b64 exec, exec, s[38:39]
	s_and_saveexec_b64 s[38:39], s[12:13]
	s_cbranch_execnz .LBB191_48
.LBB191_64:                             ;   in Loop: Header=BB191_41 Depth=1
	s_or_b64 exec, exec, s[38:39]
	s_and_saveexec_b64 s[38:39], s[14:15]
	s_cbranch_execz .LBB191_49
.LBB191_65:                             ;   in Loop: Header=BB191_41 Depth=1
	ds_read_b32 v11, v6 offset:49180
	s_waitcnt lgkmcnt(0)
	v_add_u32_e32 v10, v11, v10
	s_or_b64 exec, exec, s[38:39]
	s_and_saveexec_b64 s[38:39], s[16:17]
	s_cbranch_execnz .LBB191_50
.LBB191_66:                             ;   in Loop: Header=BB191_41 Depth=1
	s_or_b64 exec, exec, s[38:39]
	s_and_saveexec_b64 s[38:39], s[18:19]
	s_cbranch_execz .LBB191_51
.LBB191_67:                             ;   in Loop: Header=BB191_41 Depth=1
	ds_read_b32 v11, v6 offset:49188
	s_waitcnt lgkmcnt(0)
	v_add_u32_e32 v10, v11, v10
	s_or_b64 exec, exec, s[38:39]
	s_and_saveexec_b64 s[38:39], s[20:21]
	s_cbranch_execnz .LBB191_52
.LBB191_68:                             ;   in Loop: Header=BB191_41 Depth=1
	s_or_b64 exec, exec, s[38:39]
	s_and_saveexec_b64 s[38:39], s[22:23]
	s_cbranch_execz .LBB191_53
.LBB191_69:                             ;   in Loop: Header=BB191_41 Depth=1
	ds_read_b32 v11, v6 offset:49196
	s_waitcnt lgkmcnt(0)
	v_add_u32_e32 v10, v11, v10
	s_or_b64 exec, exec, s[38:39]
	s_and_saveexec_b64 s[38:39], s[24:25]
	s_cbranch_execnz .LBB191_54
.LBB191_70:                             ;   in Loop: Header=BB191_41 Depth=1
	s_or_b64 exec, exec, s[38:39]
	s_and_saveexec_b64 s[38:39], s[26:27]
	s_cbranch_execz .LBB191_55
.LBB191_71:                             ;   in Loop: Header=BB191_41 Depth=1
	ds_read_b32 v11, v6 offset:49204
	s_waitcnt lgkmcnt(0)
	v_add_u32_e32 v10, v11, v10
	s_or_b64 exec, exec, s[38:39]
	s_and_saveexec_b64 s[38:39], s[28:29]
	s_cbranch_execnz .LBB191_56
.LBB191_72:                             ;   in Loop: Header=BB191_41 Depth=1
	s_or_b64 exec, exec, s[38:39]
	s_and_saveexec_b64 s[38:39], s[30:31]
	s_cbranch_execz .LBB191_57
.LBB191_73:                             ;   in Loop: Header=BB191_41 Depth=1
	v_add3_u32 v11, v8, -1, v10
	v_lshl_add_u32 v11, v11, 2, 0
	v_add_u32_e32 v12, v8, v10
	v_lshl_add_u32 v12, v12, 3, 0
	ds_write_b32 v11, v9
	ds_write_b64 v12, v[4:5] offset:16376
	s_or_b64 exec, exec, s[38:39]
	s_and_saveexec_b64 s[30:31], vcc
	s_cbranch_execz .LBB191_40
.LBB191_74:                             ;   in Loop: Header=BB191_41 Depth=1
	ds_write_b32 v6, v10 offset:49212
	s_branch .LBB191_40
.LBB191_75:
	s_or_b64 exec, exec, s[36:37]
	s_ashr_i32 s49, s48, 31
	s_lshl_b64 s[0:1], s[48:49], 3
	s_add_u32 s4, s42, s0
	s_addc_u32 s5, s43, s1
	s_load_dwordx4 s[0:3], s[4:5], 0x0
	s_waitcnt lgkmcnt(0)
	s_sub_i32 s8, s2, s0
	v_cmp_gt_i32_e32 vcc, s8, v0
	s_and_saveexec_b64 s[4:5], vcc
	s_cbranch_execz .LBB191_85
; %bb.76:
	s_sub_u32 s4, s0, s46
	s_subb_u32 s5, s1, 0
	s_and_b32 s10, s8, 7
	s_sub_i32 s0, s0, s2
	s_cmp_lt_u32 s0, -7
	s_cselect_b64 s[0:1], -1, 0
	s_and_b32 s11, s8, -8
	s_cmp_lg_u32 s10, 0
	v_cndmask_b32_e64 v1, 0, 1, s[0:1]
	s_cselect_b64 s[2:3], -1, 0
	v_cmp_ne_u32_e64 s[0:1], 1, v1
	v_cndmask_b32_e64 v1, 0, 1, s[2:3]
	s_mov_b32 s9, 0
	s_mov_b64 s[6:7], 0
	v_cmp_ne_u32_e64 s[2:3], 1, v1
	s_branch .LBB191_78
.LBB191_77:                             ;   in Loop: Header=BB191_78 Depth=1
	v_add_u32_e32 v0, 0x400, v0
	v_cmp_le_i32_e32 vcc, s8, v0
	v_lshl_add_u64 v[4:5], v[4:5], 3, s[34:35]
	s_or_b64 s[6:7], vcc, s[6:7]
	s_waitcnt lgkmcnt(0)
	global_store_dwordx2 v[4:5], v[2:3], off
	s_andn2_b64 exec, exec, s[6:7]
	s_cbranch_execz .LBB191_85
.LBB191_78:                             ; =>This Loop Header: Depth=1
                                        ;     Child Loop BB191_80 Depth 2
                                        ;     Child Loop BB191_84 Depth 2
	v_lshlrev_b32_e32 v1, 2, v0
	v_add_u32_e32 v2, 0, v1
	v_add_u32_e32 v3, v2, v1
	ds_read_b32 v1, v2
	ds_read_b64 v[2:3], v3 offset:16384
	s_and_b64 vcc, exec, s[0:1]
	v_mov_b64_e32 v[4:5], s[4:5]
	s_mov_b32 s12, 0
	s_cbranch_vccnz .LBB191_82
; %bb.79:                               ;   in Loop: Header=BB191_78 Depth=1
	s_mov_b32 s13, 0
	v_mov_b64_e32 v[4:5], s[4:5]
.LBB191_80:                             ;   Parent Loop BB191_78 Depth=1
                                        ; =>  This Inner Loop Header: Depth=2
	v_mov_b32_e32 v6, s13
	ds_read2_b32 v[22:23], v6 offset1:1
	ds_read2_b32 v[24:25], v6 offset0:2 offset1:3
	ds_read2_b32 v[26:27], v6 offset0:4 offset1:5
	;; [unrolled: 1-line block ×3, first 2 shown]
	v_mov_b32_e32 v7, s9
	s_waitcnt lgkmcnt(3)
	v_cmp_gt_i32_e32 vcc, v1, v22
	v_mov_b32_e32 v9, s9
	v_mov_b32_e32 v11, s9
	v_cndmask_b32_e64 v6, 0, 1, vcc
	v_cmp_gt_i32_e32 vcc, v1, v23
	v_lshl_add_u64 v[4:5], v[4:5], 0, v[6:7]
	v_mov_b32_e32 v13, s9
	v_cndmask_b32_e64 v8, 0, 1, vcc
	s_waitcnt lgkmcnt(2)
	v_cmp_gt_i32_e32 vcc, v1, v24
	v_lshl_add_u64 v[4:5], v[4:5], 0, v[8:9]
	v_mov_b32_e32 v15, s9
	v_cndmask_b32_e64 v10, 0, 1, vcc
	v_cmp_gt_i32_e32 vcc, v1, v25
	v_lshl_add_u64 v[4:5], v[4:5], 0, v[10:11]
	v_mov_b32_e32 v17, s9
	v_cndmask_b32_e64 v12, 0, 1, vcc
	s_waitcnt lgkmcnt(1)
	v_cmp_gt_i32_e32 vcc, v1, v26
	v_lshl_add_u64 v[4:5], v[4:5], 0, v[12:13]
	;; [unrolled: 9-line block ×3, first 2 shown]
	s_add_i32 s12, s12, 8
	v_cndmask_b32_e64 v18, 0, 1, vcc
	v_cmp_gt_i32_e32 vcc, v1, v29
	s_add_i32 s13, s13, 32
	v_lshl_add_u64 v[4:5], v[4:5], 0, v[18:19]
	v_cndmask_b32_e64 v20, 0, 1, vcc
	s_cmp_eq_u32 s11, s12
	v_lshl_add_u64 v[4:5], v[4:5], 0, v[20:21]
	s_cbranch_scc0 .LBB191_80
; %bb.81:                               ;   in Loop: Header=BB191_78 Depth=1
	s_mov_b32 s12, s11
.LBB191_82:                             ;   in Loop: Header=BB191_78 Depth=1
	s_and_b64 vcc, exec, s[2:3]
	s_cbranch_vccnz .LBB191_77
; %bb.83:                               ;   in Loop: Header=BB191_78 Depth=1
	s_lshl_b32 s12, s12, 2
	s_add_i32 s12, s12, 0
	s_mov_b32 s13, s10
.LBB191_84:                             ;   Parent Loop BB191_78 Depth=1
                                        ; =>  This Inner Loop Header: Depth=2
	v_mov_b32_e32 v6, s12
	ds_read_b32 v6, v6
	v_mov_b32_e32 v7, s9
	s_add_i32 s12, s12, 4
	s_add_i32 s13, s13, -1
	s_cmp_lg_u32 s13, 0
	s_waitcnt lgkmcnt(0)
	v_cmp_gt_i32_e32 vcc, v1, v6
	s_nop 1
	v_cndmask_b32_e64 v6, 0, 1, vcc
	v_lshl_add_u64 v[4:5], v[4:5], 0, v[6:7]
	s_cbranch_scc1 .LBB191_84
	s_branch .LBB191_77
.LBB191_85:
	s_endpgm
	.section	.rodata,"a",@progbits
	.p2align	6, 0x0
	.amdhsa_kernel _ZN9rocsparseL41csrgemm_numeric_fill_block_per_row_kernelILj1024ELj64ELj4096ELj137ELj64ElidEEvT5_PKS1_S3_NS_24const_host_device_scalarIT6_EEPKT4_S3_PKS5_S9_S3_SB_S6_S9_S3_SB_S9_S3_PS5_21rocsparse_index_base_SD_SD_SD_bbb
		.amdhsa_group_segment_fixed_size 0
		.amdhsa_private_segment_fixed_size 0
		.amdhsa_kernarg_size 156
		.amdhsa_user_sgpr_count 2
		.amdhsa_user_sgpr_dispatch_ptr 0
		.amdhsa_user_sgpr_queue_ptr 0
		.amdhsa_user_sgpr_kernarg_segment_ptr 1
		.amdhsa_user_sgpr_dispatch_id 0
		.amdhsa_user_sgpr_kernarg_preload_length 0
		.amdhsa_user_sgpr_kernarg_preload_offset 0
		.amdhsa_user_sgpr_private_segment_size 0
		.amdhsa_uses_dynamic_stack 0
		.amdhsa_enable_private_segment 0
		.amdhsa_system_sgpr_workgroup_id_x 1
		.amdhsa_system_sgpr_workgroup_id_y 0
		.amdhsa_system_sgpr_workgroup_id_z 0
		.amdhsa_system_sgpr_workgroup_info 0
		.amdhsa_system_vgpr_workitem_id 0
		.amdhsa_next_free_vgpr 30
		.amdhsa_next_free_sgpr 51
		.amdhsa_accum_offset 32
		.amdhsa_reserve_vcc 1
		.amdhsa_float_round_mode_32 0
		.amdhsa_float_round_mode_16_64 0
		.amdhsa_float_denorm_mode_32 3
		.amdhsa_float_denorm_mode_16_64 3
		.amdhsa_dx10_clamp 1
		.amdhsa_ieee_mode 1
		.amdhsa_fp16_overflow 0
		.amdhsa_tg_split 0
		.amdhsa_exception_fp_ieee_invalid_op 0
		.amdhsa_exception_fp_denorm_src 0
		.amdhsa_exception_fp_ieee_div_zero 0
		.amdhsa_exception_fp_ieee_overflow 0
		.amdhsa_exception_fp_ieee_underflow 0
		.amdhsa_exception_fp_ieee_inexact 0
		.amdhsa_exception_int_div_zero 0
	.end_amdhsa_kernel
	.section	.text._ZN9rocsparseL41csrgemm_numeric_fill_block_per_row_kernelILj1024ELj64ELj4096ELj137ELj64ElidEEvT5_PKS1_S3_NS_24const_host_device_scalarIT6_EEPKT4_S3_PKS5_S9_S3_SB_S6_S9_S3_SB_S9_S3_PS5_21rocsparse_index_base_SD_SD_SD_bbb,"axG",@progbits,_ZN9rocsparseL41csrgemm_numeric_fill_block_per_row_kernelILj1024ELj64ELj4096ELj137ELj64ElidEEvT5_PKS1_S3_NS_24const_host_device_scalarIT6_EEPKT4_S3_PKS5_S9_S3_SB_S6_S9_S3_SB_S9_S3_PS5_21rocsparse_index_base_SD_SD_SD_bbb,comdat
.Lfunc_end191:
	.size	_ZN9rocsparseL41csrgemm_numeric_fill_block_per_row_kernelILj1024ELj64ELj4096ELj137ELj64ElidEEvT5_PKS1_S3_NS_24const_host_device_scalarIT6_EEPKT4_S3_PKS5_S9_S3_SB_S6_S9_S3_SB_S9_S3_PS5_21rocsparse_index_base_SD_SD_SD_bbb, .Lfunc_end191-_ZN9rocsparseL41csrgemm_numeric_fill_block_per_row_kernelILj1024ELj64ELj4096ELj137ELj64ElidEEvT5_PKS1_S3_NS_24const_host_device_scalarIT6_EEPKT4_S3_PKS5_S9_S3_SB_S6_S9_S3_SB_S9_S3_PS5_21rocsparse_index_base_SD_SD_SD_bbb
                                        ; -- End function
	.set _ZN9rocsparseL41csrgemm_numeric_fill_block_per_row_kernelILj1024ELj64ELj4096ELj137ELj64ElidEEvT5_PKS1_S3_NS_24const_host_device_scalarIT6_EEPKT4_S3_PKS5_S9_S3_SB_S6_S9_S3_SB_S9_S3_PS5_21rocsparse_index_base_SD_SD_SD_bbb.num_vgpr, 30
	.set _ZN9rocsparseL41csrgemm_numeric_fill_block_per_row_kernelILj1024ELj64ELj4096ELj137ELj64ElidEEvT5_PKS1_S3_NS_24const_host_device_scalarIT6_EEPKT4_S3_PKS5_S9_S3_SB_S6_S9_S3_SB_S9_S3_PS5_21rocsparse_index_base_SD_SD_SD_bbb.num_agpr, 0
	.set _ZN9rocsparseL41csrgemm_numeric_fill_block_per_row_kernelILj1024ELj64ELj4096ELj137ELj64ElidEEvT5_PKS1_S3_NS_24const_host_device_scalarIT6_EEPKT4_S3_PKS5_S9_S3_SB_S6_S9_S3_SB_S9_S3_PS5_21rocsparse_index_base_SD_SD_SD_bbb.numbered_sgpr, 51
	.set _ZN9rocsparseL41csrgemm_numeric_fill_block_per_row_kernelILj1024ELj64ELj4096ELj137ELj64ElidEEvT5_PKS1_S3_NS_24const_host_device_scalarIT6_EEPKT4_S3_PKS5_S9_S3_SB_S6_S9_S3_SB_S9_S3_PS5_21rocsparse_index_base_SD_SD_SD_bbb.num_named_barrier, 0
	.set _ZN9rocsparseL41csrgemm_numeric_fill_block_per_row_kernelILj1024ELj64ELj4096ELj137ELj64ElidEEvT5_PKS1_S3_NS_24const_host_device_scalarIT6_EEPKT4_S3_PKS5_S9_S3_SB_S6_S9_S3_SB_S9_S3_PS5_21rocsparse_index_base_SD_SD_SD_bbb.private_seg_size, 0
	.set _ZN9rocsparseL41csrgemm_numeric_fill_block_per_row_kernelILj1024ELj64ELj4096ELj137ELj64ElidEEvT5_PKS1_S3_NS_24const_host_device_scalarIT6_EEPKT4_S3_PKS5_S9_S3_SB_S6_S9_S3_SB_S9_S3_PS5_21rocsparse_index_base_SD_SD_SD_bbb.uses_vcc, 1
	.set _ZN9rocsparseL41csrgemm_numeric_fill_block_per_row_kernelILj1024ELj64ELj4096ELj137ELj64ElidEEvT5_PKS1_S3_NS_24const_host_device_scalarIT6_EEPKT4_S3_PKS5_S9_S3_SB_S6_S9_S3_SB_S9_S3_PS5_21rocsparse_index_base_SD_SD_SD_bbb.uses_flat_scratch, 0
	.set _ZN9rocsparseL41csrgemm_numeric_fill_block_per_row_kernelILj1024ELj64ELj4096ELj137ELj64ElidEEvT5_PKS1_S3_NS_24const_host_device_scalarIT6_EEPKT4_S3_PKS5_S9_S3_SB_S6_S9_S3_SB_S9_S3_PS5_21rocsparse_index_base_SD_SD_SD_bbb.has_dyn_sized_stack, 0
	.set _ZN9rocsparseL41csrgemm_numeric_fill_block_per_row_kernelILj1024ELj64ELj4096ELj137ELj64ElidEEvT5_PKS1_S3_NS_24const_host_device_scalarIT6_EEPKT4_S3_PKS5_S9_S3_SB_S6_S9_S3_SB_S9_S3_PS5_21rocsparse_index_base_SD_SD_SD_bbb.has_recursion, 0
	.set _ZN9rocsparseL41csrgemm_numeric_fill_block_per_row_kernelILj1024ELj64ELj4096ELj137ELj64ElidEEvT5_PKS1_S3_NS_24const_host_device_scalarIT6_EEPKT4_S3_PKS5_S9_S3_SB_S6_S9_S3_SB_S9_S3_PS5_21rocsparse_index_base_SD_SD_SD_bbb.has_indirect_call, 0
	.section	.AMDGPU.csdata,"",@progbits
; Kernel info:
; codeLenInByte = 3056
; TotalNumSgprs: 57
; NumVgprs: 30
; NumAgprs: 0
; TotalNumVgprs: 30
; ScratchSize: 0
; MemoryBound: 0
; FloatMode: 240
; IeeeMode: 1
; LDSByteSize: 0 bytes/workgroup (compile time only)
; SGPRBlocks: 7
; VGPRBlocks: 3
; NumSGPRsForWavesPerEU: 57
; NumVGPRsForWavesPerEU: 30
; AccumOffset: 32
; Occupancy: 8
; WaveLimiterHint : 1
; COMPUTE_PGM_RSRC2:SCRATCH_EN: 0
; COMPUTE_PGM_RSRC2:USER_SGPR: 2
; COMPUTE_PGM_RSRC2:TRAP_HANDLER: 0
; COMPUTE_PGM_RSRC2:TGID_X_EN: 1
; COMPUTE_PGM_RSRC2:TGID_Y_EN: 0
; COMPUTE_PGM_RSRC2:TGID_Z_EN: 0
; COMPUTE_PGM_RSRC2:TIDIG_COMP_CNT: 0
; COMPUTE_PGM_RSRC3_GFX90A:ACCUM_OFFSET: 7
; COMPUTE_PGM_RSRC3_GFX90A:TG_SPLIT: 0
	.section	.text._ZN9rocsparseL41csrgemm_numeric_fill_block_per_row_kernelILj1024ELj64ELj8192ELj137ELj32ElidEEvT5_PKS1_S3_NS_24const_host_device_scalarIT6_EEPKT4_S3_PKS5_S9_S3_SB_S6_S9_S3_SB_S9_S3_PS5_21rocsparse_index_base_SD_SD_SD_bbb,"axG",@progbits,_ZN9rocsparseL41csrgemm_numeric_fill_block_per_row_kernelILj1024ELj64ELj8192ELj137ELj32ElidEEvT5_PKS1_S3_NS_24const_host_device_scalarIT6_EEPKT4_S3_PKS5_S9_S3_SB_S6_S9_S3_SB_S9_S3_PS5_21rocsparse_index_base_SD_SD_SD_bbb,comdat
	.globl	_ZN9rocsparseL41csrgemm_numeric_fill_block_per_row_kernelILj1024ELj64ELj8192ELj137ELj32ElidEEvT5_PKS1_S3_NS_24const_host_device_scalarIT6_EEPKT4_S3_PKS5_S9_S3_SB_S6_S9_S3_SB_S9_S3_PS5_21rocsparse_index_base_SD_SD_SD_bbb ; -- Begin function _ZN9rocsparseL41csrgemm_numeric_fill_block_per_row_kernelILj1024ELj64ELj8192ELj137ELj32ElidEEvT5_PKS1_S3_NS_24const_host_device_scalarIT6_EEPKT4_S3_PKS5_S9_S3_SB_S6_S9_S3_SB_S9_S3_PS5_21rocsparse_index_base_SD_SD_SD_bbb
	.p2align	8
	.type	_ZN9rocsparseL41csrgemm_numeric_fill_block_per_row_kernelILj1024ELj64ELj8192ELj137ELj32ElidEEvT5_PKS1_S3_NS_24const_host_device_scalarIT6_EEPKT4_S3_PKS5_S9_S3_SB_S6_S9_S3_SB_S9_S3_PS5_21rocsparse_index_base_SD_SD_SD_bbb,@function
_ZN9rocsparseL41csrgemm_numeric_fill_block_per_row_kernelILj1024ELj64ELj8192ELj137ELj32ElidEEvT5_PKS1_S3_NS_24const_host_device_scalarIT6_EEPKT4_S3_PKS5_S9_S3_SB_S6_S9_S3_SB_S9_S3_PS5_21rocsparse_index_base_SD_SD_SD_bbb: ; @_ZN9rocsparseL41csrgemm_numeric_fill_block_per_row_kernelILj1024ELj64ELj8192ELj137ELj32ElidEEvT5_PKS1_S3_NS_24const_host_device_scalarIT6_EEPKT4_S3_PKS5_S9_S3_SB_S6_S9_S3_SB_S9_S3_PS5_21rocsparse_index_base_SD_SD_SD_bbb
; %bb.0:
	s_load_dword s3, s[0:1], 0x98
	s_load_dwordx4 s[4:7], s[0:1], 0x8
	s_load_dwordx2 s[12:13], s[0:1], 0x18
	s_load_dwordx4 s[64:67], s[0:1], 0x88
	s_load_dwordx2 s[10:11], s[0:1], 0x50
	s_waitcnt lgkmcnt(0)
	s_bitcmp1_b32 s3, 0
	s_cselect_b64 s[8:9], -1, 0
	s_bitcmp1_b32 s3, 16
	s_cselect_b64 s[14:15], -1, 0
	s_xor_b64 s[16:17], s[8:9], -1
	s_or_b64 s[16:17], s[14:15], s[16:17]
	s_and_b64 s[18:19], s[8:9], exec
	s_cselect_b32 s19, s13, 0
	s_cselect_b32 s18, s12, 0
	s_and_b64 vcc, exec, s[16:17]
	v_mov_b64_e32 v[4:5], s[18:19]
	s_cbranch_vccnz .LBB192_2
; %bb.1:
	v_mov_b64_e32 v[2:3], s[12:13]
	flat_load_dwordx2 v[4:5], v[2:3]
.LBB192_2:
	s_bitcmp1_b32 s3, 8
	s_cselect_b64 s[12:13], -1, 0
	s_xor_b64 s[16:17], s[12:13], -1
	s_or_b64 s[14:15], s[14:15], s[16:17]
	s_and_b64 s[16:17], s[12:13], exec
	s_cselect_b32 s17, s11, 0
	s_cselect_b32 s16, s10, 0
	s_and_b64 vcc, exec, s[14:15]
	v_mov_b64_e32 v[2:3], s[16:17]
	s_cbranch_vccnz .LBB192_4
; %bb.3:
	v_mov_b64_e32 v[2:3], s[10:11]
	flat_load_dwordx2 v[2:3], v[2:3]
.LBB192_4:
	s_load_dword s33, s[0:1], 0x0
	v_lshlrev_b32_e32 v6, 2, v0
	s_mov_b32 s10, 0
	v_add_u32_e32 v1, 0, v6
	v_add_u32_e32 v8, v1, v6
	s_waitcnt lgkmcnt(0)
	v_mov_b32_e32 v9, s33
	s_mov_b32 s11, s10
	v_mov_b32_e32 v10, s33
	v_mov_b64_e32 v[6:7], s[10:11]
	ds_write2st64_b32 v1, v9, v10 offset1:16
	ds_write2st64_b64 v8, v[6:7], v[6:7] offset0:64 offset1:80
	ds_write2st64_b32 v1, v9, v10 offset0:32 offset1:48
	ds_write2st64_b64 v8, v[6:7], v[6:7] offset0:96 offset1:112
	v_mov_b32_e32 v8, s33
	s_add_i32 s3, 0, 0x8000
	v_lshl_add_u32 v9, v0, 3, s3
	ds_write2st64_b32 v1, v8, v10 offset0:64 offset1:80
	ds_write2st64_b64 v9, v[6:7], v[6:7] offset0:64 offset1:80
	ds_write2st64_b32 v1, v8, v10 offset0:96 offset1:112
	ds_write2st64_b64 v9, v[6:7], v[6:7] offset0:96 offset1:112
	s_waitcnt lgkmcnt(0)
	s_barrier
	s_load_dword s3, s[4:5], 0x0
	s_waitcnt lgkmcnt(0)
	s_add_i32 s2, s3, s2
	s_mov_b32 s3, s10
	s_lshl_b64 s[2:3], s[2:3], 2
	s_add_u32 s2, s6, s2
	s_addc_u32 s3, s7, s3
	s_load_dword s38, s[2:3], 0x0
	s_andn2_b64 vcc, exec, s[8:9]
	s_cbranch_vccnz .LBB192_22
; %bb.5:
	s_load_dwordx2 s[2:3], s[0:1], 0x20
	s_waitcnt lgkmcnt(0)
	s_ashr_i32 s39, s38, 31
	s_lshl_b64 s[4:5], s[38:39], 3
	v_lshrrev_b32_e32 v6, 6, v0
	v_subrev_co_u32_e32 v6, vcc, s64, v6
	s_add_u32 s2, s2, s4
	s_addc_u32 s3, s3, s5
	s_load_dwordx4 s[4:7], s[2:3], 0x0
	v_subb_co_u32_e64 v7, s[2:3], 0, 0, vcc
	s_waitcnt lgkmcnt(0)
	s_sub_u32 s2, s6, s64
	s_subb_u32 s3, s7, 0
	v_lshl_add_u64 v[6:7], s[4:5], 0, v[6:7]
	v_cmp_gt_i64_e32 vcc, s[2:3], v[6:7]
	s_and_saveexec_b64 s[14:15], vcc
	s_cbranch_execz .LBB192_21
; %bb.6:
	s_load_dwordx2 s[16:17], s[0:1], 0x48
	s_load_dwordx8 s[4:11], s[0:1], 0x28
	v_and_b32_e32 v8, 63, v0
	v_subrev_co_u32_e32 v8, vcc, s65, v8
	s_mov_b32 s36, s65
	s_nop 0
	v_subb_co_u32_e64 v9, s[18:19], 0, 0, vcc
	s_mov_b64 s[18:19], 0
	s_movk_i32 s37, 0x89
	s_branch .LBB192_8
.LBB192_7:                              ;   in Loop: Header=BB192_8 Depth=1
	s_or_b64 exec, exec, s[20:21]
	v_lshl_add_u64 v[6:7], v[6:7], 0, 16
	v_cmp_le_i64_e32 vcc, s[2:3], v[6:7]
	s_or_b64 s[18:19], vcc, s[18:19]
	s_andn2_b64 exec, exec, s[18:19]
	s_cbranch_execz .LBB192_21
.LBB192_8:                              ; =>This Loop Header: Depth=1
                                        ;     Child Loop BB192_12 Depth 2
                                        ;       Child Loop BB192_15 Depth 3
	s_waitcnt lgkmcnt(0)
	v_lshl_add_u64 v[10:11], v[6:7], 2, s[4:5]
	global_load_dword v10, v[10:11], off
	s_waitcnt vmcnt(0)
	v_subrev_u32_e32 v10, s64, v10
	v_ashrrev_i32_e32 v11, 31, v10
	v_lshl_add_u64 v[10:11], v[10:11], 3, s[8:9]
	global_load_dwordx4 v[12:15], v[10:11], off
	s_waitcnt vmcnt(0)
	v_subrev_co_u32_e32 v10, vcc, s36, v14
	s_nop 1
	v_subbrev_co_u32_e32 v11, vcc, 0, v15, vcc
	v_lshl_add_u64 v[12:13], v[12:13], 0, v[8:9]
	v_cmp_lt_i64_e32 vcc, v[12:13], v[10:11]
	s_and_saveexec_b64 s[20:21], vcc
	s_cbranch_execz .LBB192_7
; %bb.9:                                ;   in Loop: Header=BB192_8 Depth=1
	v_lshl_add_u64 v[14:15], v[6:7], 3, s[6:7]
	global_load_dwordx2 v[14:15], v[14:15], off
	s_mov_b64 s[22:23], 0
	s_waitcnt vmcnt(0)
	v_mul_f64 v[14:15], v[4:5], v[14:15]
	s_branch .LBB192_12
.LBB192_10:                             ;   in Loop: Header=BB192_12 Depth=2
	s_or_b64 exec, exec, s[26:27]
.LBB192_11:                             ;   in Loop: Header=BB192_12 Depth=2
	s_or_b64 exec, exec, s[24:25]
	s_waitcnt vmcnt(0)
	v_mul_f64 v[16:17], v[14:15], v[16:17]
	v_lshl_add_u32 v18, v18, 3, 0
	ds_add_f64 v18, v[16:17] offset:32768
	v_lshl_add_u64 v[12:13], v[12:13], 0, 64
	v_cmp_ge_i64_e32 vcc, v[12:13], v[10:11]
	s_or_b64 s[22:23], vcc, s[22:23]
	s_andn2_b64 exec, exec, s[22:23]
	s_cbranch_execz .LBB192_7
.LBB192_12:                             ;   Parent Loop BB192_8 Depth=1
                                        ; =>  This Loop Header: Depth=2
                                        ;       Child Loop BB192_15 Depth 3
	v_lshl_add_u64 v[16:17], v[12:13], 2, s[10:11]
	global_load_dword v18, v[16:17], off
	v_lshl_add_u64 v[16:17], v[12:13], 3, s[16:17]
	global_load_dwordx2 v[16:17], v[16:17], off
	s_waitcnt vmcnt(1)
	v_subrev_u32_e32 v19, s65, v18
	v_mul_lo_u32 v18, v19, s37
	v_and_b32_e32 v18, 0x1fff, v18
	v_lshl_add_u32 v20, v18, 2, 0
	ds_read_b32 v21, v20
	s_waitcnt lgkmcnt(0)
	v_cmp_ne_u32_e32 vcc, v21, v19
	s_and_saveexec_b64 s[24:25], vcc
	s_cbranch_execz .LBB192_11
; %bb.13:                               ;   in Loop: Header=BB192_12 Depth=2
	s_mov_b64 s[26:27], 0
	s_branch .LBB192_15
.LBB192_14:                             ;   in Loop: Header=BB192_15 Depth=3
	s_or_b64 exec, exec, s[34:35]
	s_and_b64 s[28:29], exec, s[30:31]
	s_or_b64 s[26:27], s[28:29], s[26:27]
	s_andn2_b64 exec, exec, s[26:27]
	s_cbranch_execz .LBB192_10
.LBB192_15:                             ;   Parent Loop BB192_8 Depth=1
                                        ;     Parent Loop BB192_12 Depth=2
                                        ; =>    This Inner Loop Header: Depth=3
	v_cmp_ne_u32_e32 vcc, s33, v21
	s_mov_b64 s[28:29], 0
	s_and_saveexec_b64 s[30:31], vcc
	s_xor_b64 s[30:31], exec, s[30:31]
	s_cbranch_execz .LBB192_17
; %bb.16:                               ;   in Loop: Header=BB192_15 Depth=3
	v_add_u32_e32 v18, 1, v18
	s_mov_b64 s[28:29], exec
	v_and_b32_e32 v18, 0x1fff, v18
                                        ; implicit-def: $vgpr20
	s_andn2_saveexec_b64 s[30:31], s[30:31]
	s_cbranch_execz .LBB192_19
	s_branch .LBB192_18
.LBB192_17:                             ;   in Loop: Header=BB192_15 Depth=3
	s_andn2_saveexec_b64 s[30:31], s[30:31]
	s_cbranch_execz .LBB192_19
.LBB192_18:                             ;   in Loop: Header=BB192_15 Depth=3
	v_mov_b32_e32 v21, s33
	ds_cmpst_rtn_b32 v20, v20, v21, v19
	s_andn2_b64 s[28:29], s[28:29], exec
	s_waitcnt lgkmcnt(0)
	v_cmp_ne_u32_e32 vcc, s33, v20
	s_and_b64 s[34:35], vcc, exec
	s_or_b64 s[28:29], s[28:29], s[34:35]
.LBB192_19:                             ;   in Loop: Header=BB192_15 Depth=3
	s_or_b64 exec, exec, s[30:31]
	s_mov_b64 s[30:31], -1
                                        ; implicit-def: $vgpr20
                                        ; implicit-def: $vgpr21
	s_and_saveexec_b64 s[34:35], s[28:29]
	s_cbranch_execz .LBB192_14
; %bb.20:                               ;   in Loop: Header=BB192_15 Depth=3
	v_lshl_add_u32 v20, v18, 2, 0
	ds_read_b32 v21, v20
	s_waitcnt lgkmcnt(0)
	v_cmp_eq_u32_e32 vcc, v21, v19
	s_orn2_b64 s[30:31], vcc, exec
	s_branch .LBB192_14
.LBB192_21:
	s_or_b64 exec, exec, s[14:15]
.LBB192_22:
	s_load_dwordx2 s[24:25], s[0:1], 0x80
	s_load_dwordx2 s[2:3], s[0:1], 0x70
                                        ; implicit-def: $vgpr30 : SGPR spill to VGPR lane
	s_andn2_b64 vcc, exec, s[12:13]
	s_waitcnt lgkmcnt(0)
	v_writelane_b32 v30, s2, 0
	s_nop 1
	v_writelane_b32 v30, s3, 1
	s_cbranch_vccnz .LBB192_37
; %bb.23:
	s_load_dwordx2 s[2:3], s[0:1], 0x58
	s_ashr_i32 s39, s38, 31
	s_lshl_b64 s[4:5], s[38:39], 3
	s_waitcnt vmcnt(0)
	v_subrev_co_u32_e32 v4, vcc, s67, v0
	s_waitcnt lgkmcnt(0)
	s_add_u32 s2, s2, s4
	s_addc_u32 s3, s3, s5
	s_load_dwordx4 s[4:7], s[2:3], 0x0
	v_subb_co_u32_e64 v5, s[2:3], 0, 0, vcc
	s_waitcnt lgkmcnt(0)
	s_sub_u32 s2, s6, s67
	s_subb_u32 s3, s7, 0
	v_lshl_add_u64 v[4:5], s[4:5], 0, v[4:5]
	v_cmp_gt_i64_e32 vcc, s[2:3], v[4:5]
	s_and_saveexec_b64 s[8:9], vcc
	s_cbranch_execz .LBB192_36
; %bb.24:
	s_load_dwordx4 s[4:7], s[0:1], 0x60
	s_mov_b64 s[0:1], 0
	s_movk_i32 s22, 0x89
	s_mov_b64 s[10:11], 0x400
	s_branch .LBB192_27
.LBB192_25:                             ;   in Loop: Header=BB192_27 Depth=1
	s_or_b64 exec, exec, s[14:15]
.LBB192_26:                             ;   in Loop: Header=BB192_27 Depth=1
	s_or_b64 exec, exec, s[12:13]
	s_waitcnt vmcnt(0)
	v_mul_f64 v[6:7], v[2:3], v[6:7]
	v_lshl_add_u32 v8, v8, 3, 0
	ds_add_f64 v8, v[6:7] offset:32768
	v_lshl_add_u64 v[4:5], v[4:5], 0, s[10:11]
	v_cmp_le_i64_e32 vcc, s[2:3], v[4:5]
	s_or_b64 s[0:1], vcc, s[0:1]
	s_andn2_b64 exec, exec, s[0:1]
	s_cbranch_execz .LBB192_36
.LBB192_27:                             ; =>This Loop Header: Depth=1
                                        ;     Child Loop BB192_30 Depth 2
	s_waitcnt lgkmcnt(0)
	v_lshl_add_u64 v[6:7], v[4:5], 2, s[4:5]
	global_load_dword v8, v[6:7], off
	v_lshl_add_u64 v[6:7], v[4:5], 3, s[6:7]
	global_load_dwordx2 v[6:7], v[6:7], off
	s_waitcnt vmcnt(1)
	v_subrev_u32_e32 v9, s67, v8
	v_mul_lo_u32 v8, v9, s22
	v_and_b32_e32 v8, 0x1fff, v8
	v_lshl_add_u32 v10, v8, 2, 0
	ds_read_b32 v11, v10
	s_waitcnt lgkmcnt(0)
	v_cmp_ne_u32_e32 vcc, v11, v9
	s_and_saveexec_b64 s[12:13], vcc
	s_cbranch_execz .LBB192_26
; %bb.28:                               ;   in Loop: Header=BB192_27 Depth=1
	s_mov_b64 s[14:15], 0
	s_branch .LBB192_30
.LBB192_29:                             ;   in Loop: Header=BB192_30 Depth=2
	s_or_b64 exec, exec, s[20:21]
	s_and_b64 s[16:17], exec, s[18:19]
	s_or_b64 s[14:15], s[16:17], s[14:15]
	s_andn2_b64 exec, exec, s[14:15]
	s_cbranch_execz .LBB192_25
.LBB192_30:                             ;   Parent Loop BB192_27 Depth=1
                                        ; =>  This Inner Loop Header: Depth=2
	v_cmp_ne_u32_e32 vcc, s33, v11
	s_mov_b64 s[16:17], 0
	s_and_saveexec_b64 s[18:19], vcc
	s_xor_b64 s[18:19], exec, s[18:19]
	s_cbranch_execz .LBB192_32
; %bb.31:                               ;   in Loop: Header=BB192_30 Depth=2
	v_add_u32_e32 v8, 1, v8
	s_mov_b64 s[16:17], exec
	v_and_b32_e32 v8, 0x1fff, v8
                                        ; implicit-def: $vgpr10
	s_andn2_saveexec_b64 s[18:19], s[18:19]
	s_cbranch_execz .LBB192_34
	s_branch .LBB192_33
.LBB192_32:                             ;   in Loop: Header=BB192_30 Depth=2
	s_andn2_saveexec_b64 s[18:19], s[18:19]
	s_cbranch_execz .LBB192_34
.LBB192_33:                             ;   in Loop: Header=BB192_30 Depth=2
	v_mov_b32_e32 v11, s33
	ds_cmpst_rtn_b32 v10, v10, v11, v9
	s_andn2_b64 s[16:17], s[16:17], exec
	s_waitcnt lgkmcnt(0)
	v_cmp_ne_u32_e32 vcc, s33, v10
	s_and_b64 s[20:21], vcc, exec
	s_or_b64 s[16:17], s[16:17], s[20:21]
.LBB192_34:                             ;   in Loop: Header=BB192_30 Depth=2
	s_or_b64 exec, exec, s[18:19]
	s_mov_b64 s[18:19], -1
                                        ; implicit-def: $vgpr10
                                        ; implicit-def: $vgpr11
	s_and_saveexec_b64 s[20:21], s[16:17]
	s_cbranch_execz .LBB192_29
; %bb.35:                               ;   in Loop: Header=BB192_30 Depth=2
	v_lshl_add_u32 v10, v8, 2, 0
	ds_read_b32 v11, v10
	s_waitcnt lgkmcnt(0)
	v_cmp_eq_u32_e32 vcc, v11, v9
	s_orn2_b64 s[18:19], vcc, exec
	s_branch .LBB192_29
.LBB192_36:
	s_or_b64 exec, exec, s[8:9]
.LBB192_37:
	v_writelane_b32 v30, s24, 2
	s_add_i32 s0, 0, 0x18000
	s_waitcnt vmcnt(0)
	v_lshrrev_b32_e32 v4, 3, v0
	v_writelane_b32 v30, s25, 3
	v_writelane_b32 v30, s38, 4
	s_add_i32 s60, 0, 0x18004
	v_mbcnt_lo_u32_b32 v2, -1, 0
	v_writelane_b32 v30, s39, 5
	v_writelane_b32 v30, s0, 6
	v_and_b32_e32 v4, 0x7c, v4
	v_writelane_b32 v30, s60, 7
	s_add_i32 s60, 0, 0x18008
	v_mbcnt_hi_u32_b32 v2, -1, v2
	v_add_u32_e32 v6, s0, v4
	s_movk_i32 s0, 0x3ff
	v_writelane_b32 v30, s60, 8
	s_add_i32 s60, 0, 0x1800c
	v_sub_u32_e32 v2, 63, v2
	v_cmp_eq_u32_e32 vcc, s0, v0
	s_movk_i32 s0, 0x5f
	s_movk_i32 s2, 0x7f
	;; [unrolled: 1-line block ×29, first 2 shown]
	v_lshl_add_u32 v4, v0, 3, 0
	v_writelane_b32 v30, s60, 9
	s_add_i32 s60, 0, 0x18014
	v_lshrrev_b64 v[2:3], v2, -1
	v_cmp_lt_u32_e64 s[0:1], s0, v0
	v_cmp_lt_u32_e64 s[2:3], s2, v0
	;; [unrolled: 1-line block ×29, first 2 shown]
	v_add_u32_e32 v7, 0x8000, v4
	v_or_b32_e32 v8, 0xfffffc00, v0
	v_mov_b32_e32 v9, 0
	s_add_i32 s79, 0, 0x18010
	v_writelane_b32 v30, s60, 10
	s_add_i32 s82, 0, 0x18018
	s_add_i32 s83, 0, 0x1801c
	s_add_i32 s84, 0, 0x18020
	s_add_i32 s85, 0, 0x18024
	s_add_i32 s86, 0, 0x18028
	s_add_i32 s87, 0, 0x1802c
	s_add_i32 s88, 0, 0x18030
	s_add_i32 s89, 0, 0x18034
	s_add_i32 s90, 0, 0x18038
	s_add_i32 s91, 0, 0x1803c
	s_add_i32 s92, 0, 0x18040
	s_add_i32 s93, 0, 0x18044
	s_add_i32 s94, 0, 0x18048
	s_add_i32 s95, 0, 0x1804c
	s_add_i32 s96, 0, 0x18050
	s_add_i32 s97, 0, 0x18054
	s_add_i32 s98, 0, 0x18058
	s_add_i32 s99, 0, 0x1805c
	s_add_i32 s72, 0, 0x18060
	s_add_i32 s73, 0, 0x18064
	s_add_i32 s68, 0, 0x18068
	s_add_i32 s70, 0, 0x1806c
	s_add_i32 s71, 0, 0x18070
	s_add_i32 s67, 0, 0x18074
	s_add_i32 s69, 0, 0x18078
	s_add_i32 s78, 0, 0x1807c
	v_cmp_lt_u32_e64 s[60:61], 31, v0
	v_cmp_lt_u32_e64 s[62:63], 63, v0
	s_mov_b64 s[74:75], 0
	s_waitcnt lgkmcnt(0)
	s_barrier
	s_branch .LBB192_39
.LBB192_38:                             ;   in Loop: Header=BB192_39 Depth=1
	s_or_b64 exec, exec, s[64:65]
	v_mov_b32_e32 v4, s78
	s_waitcnt lgkmcnt(0)
	s_barrier
	ds_read_b32 v4, v4
	v_add_u32_e32 v8, 0x400, v8
	s_movk_i32 s64, 0x1bff
	v_cmp_lt_u32_e64 s[64:65], s64, v8
	v_add_u32_e32 v7, 0x2000, v7
	s_waitcnt lgkmcnt(0)
	v_add_u32_e32 v9, v4, v9
	s_or_b64 s[74:75], s[64:65], s[74:75]
	v_add_u32_e32 v1, 0x1000, v1
	s_andn2_b64 exec, exec, s[74:75]
	s_cbranch_execz .LBB192_105
.LBB192_39:                             ; =>This Inner Loop Header: Depth=1
	ds_read_b32 v10, v1
	ds_read_b64 v[4:5], v7
	s_waitcnt lgkmcnt(0)
	s_barrier
	v_cmp_gt_i32_e64 s[64:65], s33, v10
	s_bcnt1_i32_b64 s76, s[64:65]
	s_nop 0
	v_and_b32_e32 v12, s64, v2
	v_and_b32_e32 v11, s65, v3
	v_bcnt_u32_b32 v12, v12, 0
	v_bcnt_u32_b32 v11, v11, v12
	v_mov_b32_e32 v12, s76
	ds_write_b32 v6, v12
	s_waitcnt lgkmcnt(0)
	s_barrier
	s_and_saveexec_b64 s[76:77], s[60:61]
	s_cbranch_execz .LBB192_72
; %bb.40:                               ;   in Loop: Header=BB192_39 Depth=1
	v_readlane_b32 s80, v30, 6
	s_nop 1
	v_mov_b32_e32 v12, s80
	ds_read_b32 v12, v12
	s_waitcnt lgkmcnt(0)
	v_add_u32_e32 v11, v12, v11
	s_or_b64 exec, exec, s[76:77]
	s_and_saveexec_b64 s[76:77], s[62:63]
	s_cbranch_execnz .LBB192_73
.LBB192_41:                             ;   in Loop: Header=BB192_39 Depth=1
	s_or_b64 exec, exec, s[76:77]
	s_and_saveexec_b64 s[76:77], s[0:1]
	s_cbranch_execz .LBB192_74
.LBB192_42:                             ;   in Loop: Header=BB192_39 Depth=1
	v_readlane_b32 s80, v30, 8
	s_nop 1
	v_mov_b32_e32 v12, s80
	ds_read_b32 v12, v12
	s_waitcnt lgkmcnt(0)
	v_add_u32_e32 v11, v12, v11
	s_or_b64 exec, exec, s[76:77]
	s_and_saveexec_b64 s[76:77], s[2:3]
	s_cbranch_execnz .LBB192_75
.LBB192_43:                             ;   in Loop: Header=BB192_39 Depth=1
	s_or_b64 exec, exec, s[76:77]
	s_and_saveexec_b64 s[76:77], s[4:5]
	s_cbranch_execz .LBB192_76
.LBB192_44:                             ;   in Loop: Header=BB192_39 Depth=1
	v_mov_b32_e32 v12, s79
	ds_read_b32 v12, v12
	s_waitcnt lgkmcnt(0)
	v_add_u32_e32 v11, v12, v11
	s_or_b64 exec, exec, s[76:77]
	s_and_saveexec_b64 s[76:77], s[6:7]
	s_cbranch_execnz .LBB192_77
.LBB192_45:                             ;   in Loop: Header=BB192_39 Depth=1
	s_or_b64 exec, exec, s[76:77]
	s_and_saveexec_b64 s[76:77], s[8:9]
	s_cbranch_execz .LBB192_78
.LBB192_46:                             ;   in Loop: Header=BB192_39 Depth=1
	v_mov_b32_e32 v12, s82
	ds_read_b32 v12, v12
	s_waitcnt lgkmcnt(0)
	v_add_u32_e32 v11, v12, v11
	s_or_b64 exec, exec, s[76:77]
	s_and_saveexec_b64 s[76:77], s[10:11]
	s_cbranch_execnz .LBB192_79
.LBB192_47:                             ;   in Loop: Header=BB192_39 Depth=1
	s_or_b64 exec, exec, s[76:77]
	s_and_saveexec_b64 s[76:77], s[12:13]
	s_cbranch_execz .LBB192_80
.LBB192_48:                             ;   in Loop: Header=BB192_39 Depth=1
	v_mov_b32_e32 v12, s84
	ds_read_b32 v12, v12
	s_waitcnt lgkmcnt(0)
	v_add_u32_e32 v11, v12, v11
	s_or_b64 exec, exec, s[76:77]
	s_and_saveexec_b64 s[76:77], s[14:15]
	s_cbranch_execnz .LBB192_81
.LBB192_49:                             ;   in Loop: Header=BB192_39 Depth=1
	s_or_b64 exec, exec, s[76:77]
	s_and_saveexec_b64 s[76:77], s[16:17]
	s_cbranch_execz .LBB192_82
.LBB192_50:                             ;   in Loop: Header=BB192_39 Depth=1
	v_mov_b32_e32 v12, s86
	ds_read_b32 v12, v12
	s_waitcnt lgkmcnt(0)
	v_add_u32_e32 v11, v12, v11
	s_or_b64 exec, exec, s[76:77]
	s_and_saveexec_b64 s[76:77], s[18:19]
	s_cbranch_execnz .LBB192_83
.LBB192_51:                             ;   in Loop: Header=BB192_39 Depth=1
	s_or_b64 exec, exec, s[76:77]
	s_and_saveexec_b64 s[76:77], s[20:21]
	s_cbranch_execz .LBB192_84
.LBB192_52:                             ;   in Loop: Header=BB192_39 Depth=1
	v_mov_b32_e32 v12, s88
	ds_read_b32 v12, v12
	s_waitcnt lgkmcnt(0)
	v_add_u32_e32 v11, v12, v11
	s_or_b64 exec, exec, s[76:77]
	s_and_saveexec_b64 s[76:77], s[22:23]
	s_cbranch_execnz .LBB192_85
.LBB192_53:                             ;   in Loop: Header=BB192_39 Depth=1
	s_or_b64 exec, exec, s[76:77]
	s_and_saveexec_b64 s[76:77], s[24:25]
	s_cbranch_execz .LBB192_86
.LBB192_54:                             ;   in Loop: Header=BB192_39 Depth=1
	v_mov_b32_e32 v12, s90
	ds_read_b32 v12, v12
	s_waitcnt lgkmcnt(0)
	v_add_u32_e32 v11, v12, v11
	s_or_b64 exec, exec, s[76:77]
	s_and_saveexec_b64 s[76:77], s[26:27]
	s_cbranch_execnz .LBB192_87
.LBB192_55:                             ;   in Loop: Header=BB192_39 Depth=1
	s_or_b64 exec, exec, s[76:77]
	s_and_saveexec_b64 s[76:77], s[28:29]
	s_cbranch_execz .LBB192_88
.LBB192_56:                             ;   in Loop: Header=BB192_39 Depth=1
	v_mov_b32_e32 v12, s92
	ds_read_b32 v12, v12
	s_waitcnt lgkmcnt(0)
	v_add_u32_e32 v11, v12, v11
	s_or_b64 exec, exec, s[76:77]
	s_and_saveexec_b64 s[76:77], s[30:31]
	s_cbranch_execnz .LBB192_89
.LBB192_57:                             ;   in Loop: Header=BB192_39 Depth=1
	s_or_b64 exec, exec, s[76:77]
	s_and_saveexec_b64 s[76:77], s[34:35]
	s_cbranch_execz .LBB192_90
.LBB192_58:                             ;   in Loop: Header=BB192_39 Depth=1
	v_mov_b32_e32 v12, s94
	ds_read_b32 v12, v12
	s_waitcnt lgkmcnt(0)
	v_add_u32_e32 v11, v12, v11
	s_or_b64 exec, exec, s[76:77]
	s_and_saveexec_b64 s[76:77], s[36:37]
	s_cbranch_execnz .LBB192_91
.LBB192_59:                             ;   in Loop: Header=BB192_39 Depth=1
	s_or_b64 exec, exec, s[76:77]
	s_and_saveexec_b64 s[76:77], s[38:39]
	s_cbranch_execz .LBB192_92
.LBB192_60:                             ;   in Loop: Header=BB192_39 Depth=1
	v_mov_b32_e32 v12, s96
	ds_read_b32 v12, v12
	s_waitcnt lgkmcnt(0)
	v_add_u32_e32 v11, v12, v11
	s_or_b64 exec, exec, s[76:77]
	s_and_saveexec_b64 s[76:77], s[40:41]
	s_cbranch_execnz .LBB192_93
.LBB192_61:                             ;   in Loop: Header=BB192_39 Depth=1
	s_or_b64 exec, exec, s[76:77]
	s_and_saveexec_b64 s[76:77], s[42:43]
	s_cbranch_execz .LBB192_94
.LBB192_62:                             ;   in Loop: Header=BB192_39 Depth=1
	v_mov_b32_e32 v12, s98
	ds_read_b32 v12, v12
	s_waitcnt lgkmcnt(0)
	v_add_u32_e32 v11, v12, v11
	s_or_b64 exec, exec, s[76:77]
	s_and_saveexec_b64 s[76:77], s[44:45]
	s_cbranch_execnz .LBB192_95
.LBB192_63:                             ;   in Loop: Header=BB192_39 Depth=1
	s_or_b64 exec, exec, s[76:77]
	s_and_saveexec_b64 s[76:77], s[46:47]
	s_cbranch_execz .LBB192_96
.LBB192_64:                             ;   in Loop: Header=BB192_39 Depth=1
	v_mov_b32_e32 v12, s72
	ds_read_b32 v12, v12
	s_waitcnt lgkmcnt(0)
	v_add_u32_e32 v11, v12, v11
	s_or_b64 exec, exec, s[76:77]
	s_and_saveexec_b64 s[76:77], s[48:49]
	s_cbranch_execnz .LBB192_97
.LBB192_65:                             ;   in Loop: Header=BB192_39 Depth=1
	s_or_b64 exec, exec, s[76:77]
	s_and_saveexec_b64 s[76:77], s[50:51]
	s_cbranch_execz .LBB192_98
.LBB192_66:                             ;   in Loop: Header=BB192_39 Depth=1
	v_mov_b32_e32 v12, s68
	ds_read_b32 v12, v12
	s_waitcnt lgkmcnt(0)
	v_add_u32_e32 v11, v12, v11
	s_or_b64 exec, exec, s[76:77]
	s_and_saveexec_b64 s[76:77], s[52:53]
	s_cbranch_execnz .LBB192_99
.LBB192_67:                             ;   in Loop: Header=BB192_39 Depth=1
	s_or_b64 exec, exec, s[76:77]
	s_and_saveexec_b64 s[76:77], s[54:55]
	s_cbranch_execz .LBB192_100
.LBB192_68:                             ;   in Loop: Header=BB192_39 Depth=1
	v_mov_b32_e32 v12, s71
	ds_read_b32 v12, v12
	s_waitcnt lgkmcnt(0)
	v_add_u32_e32 v11, v12, v11
	s_or_b64 exec, exec, s[76:77]
	s_and_saveexec_b64 s[76:77], s[56:57]
	s_cbranch_execnz .LBB192_101
.LBB192_69:                             ;   in Loop: Header=BB192_39 Depth=1
	s_or_b64 exec, exec, s[76:77]
	s_and_saveexec_b64 s[76:77], s[58:59]
	s_cbranch_execz .LBB192_102
.LBB192_70:                             ;   in Loop: Header=BB192_39 Depth=1
	v_mov_b32_e32 v12, s69
	ds_read_b32 v12, v12
	s_waitcnt lgkmcnt(0)
	v_add_u32_e32 v11, v12, v11
	s_or_b64 exec, exec, s[76:77]
	s_and_saveexec_b64 s[76:77], s[64:65]
	s_cbranch_execnz .LBB192_103
.LBB192_71:                             ;   in Loop: Header=BB192_39 Depth=1
	s_or_b64 exec, exec, s[76:77]
	s_and_saveexec_b64 s[64:65], vcc
	s_cbranch_execz .LBB192_38
	s_branch .LBB192_104
.LBB192_72:                             ;   in Loop: Header=BB192_39 Depth=1
	s_or_b64 exec, exec, s[76:77]
	s_and_saveexec_b64 s[76:77], s[62:63]
	s_cbranch_execz .LBB192_41
.LBB192_73:                             ;   in Loop: Header=BB192_39 Depth=1
	v_readlane_b32 s80, v30, 7
	s_nop 1
	v_mov_b32_e32 v12, s80
	ds_read_b32 v12, v12
	s_waitcnt lgkmcnt(0)
	v_add_u32_e32 v11, v12, v11
	s_or_b64 exec, exec, s[76:77]
	s_and_saveexec_b64 s[76:77], s[0:1]
	s_cbranch_execnz .LBB192_42
.LBB192_74:                             ;   in Loop: Header=BB192_39 Depth=1
	s_or_b64 exec, exec, s[76:77]
	s_and_saveexec_b64 s[76:77], s[2:3]
	s_cbranch_execz .LBB192_43
.LBB192_75:                             ;   in Loop: Header=BB192_39 Depth=1
	v_readlane_b32 s80, v30, 9
	s_nop 1
	v_mov_b32_e32 v12, s80
	ds_read_b32 v12, v12
	s_waitcnt lgkmcnt(0)
	v_add_u32_e32 v11, v12, v11
	s_or_b64 exec, exec, s[76:77]
	s_and_saveexec_b64 s[76:77], s[4:5]
	s_cbranch_execnz .LBB192_44
.LBB192_76:                             ;   in Loop: Header=BB192_39 Depth=1
	s_or_b64 exec, exec, s[76:77]
	s_and_saveexec_b64 s[76:77], s[6:7]
	s_cbranch_execz .LBB192_45
.LBB192_77:                             ;   in Loop: Header=BB192_39 Depth=1
	v_readlane_b32 s80, v30, 10
	s_nop 1
	v_mov_b32_e32 v12, s80
	ds_read_b32 v12, v12
	s_waitcnt lgkmcnt(0)
	v_add_u32_e32 v11, v12, v11
	s_or_b64 exec, exec, s[76:77]
	s_and_saveexec_b64 s[76:77], s[8:9]
	s_cbranch_execnz .LBB192_46
.LBB192_78:                             ;   in Loop: Header=BB192_39 Depth=1
	s_or_b64 exec, exec, s[76:77]
	s_and_saveexec_b64 s[76:77], s[10:11]
	s_cbranch_execz .LBB192_47
.LBB192_79:                             ;   in Loop: Header=BB192_39 Depth=1
	v_mov_b32_e32 v12, s83
	ds_read_b32 v12, v12
	s_waitcnt lgkmcnt(0)
	v_add_u32_e32 v11, v12, v11
	s_or_b64 exec, exec, s[76:77]
	s_and_saveexec_b64 s[76:77], s[12:13]
	s_cbranch_execnz .LBB192_48
.LBB192_80:                             ;   in Loop: Header=BB192_39 Depth=1
	s_or_b64 exec, exec, s[76:77]
	s_and_saveexec_b64 s[76:77], s[14:15]
	s_cbranch_execz .LBB192_49
.LBB192_81:                             ;   in Loop: Header=BB192_39 Depth=1
	v_mov_b32_e32 v12, s85
	ds_read_b32 v12, v12
	s_waitcnt lgkmcnt(0)
	v_add_u32_e32 v11, v12, v11
	s_or_b64 exec, exec, s[76:77]
	s_and_saveexec_b64 s[76:77], s[16:17]
	s_cbranch_execnz .LBB192_50
.LBB192_82:                             ;   in Loop: Header=BB192_39 Depth=1
	s_or_b64 exec, exec, s[76:77]
	s_and_saveexec_b64 s[76:77], s[18:19]
	s_cbranch_execz .LBB192_51
.LBB192_83:                             ;   in Loop: Header=BB192_39 Depth=1
	v_mov_b32_e32 v12, s87
	ds_read_b32 v12, v12
	s_waitcnt lgkmcnt(0)
	v_add_u32_e32 v11, v12, v11
	s_or_b64 exec, exec, s[76:77]
	s_and_saveexec_b64 s[76:77], s[20:21]
	s_cbranch_execnz .LBB192_52
.LBB192_84:                             ;   in Loop: Header=BB192_39 Depth=1
	s_or_b64 exec, exec, s[76:77]
	s_and_saveexec_b64 s[76:77], s[22:23]
	s_cbranch_execz .LBB192_53
.LBB192_85:                             ;   in Loop: Header=BB192_39 Depth=1
	v_mov_b32_e32 v12, s89
	ds_read_b32 v12, v12
	s_waitcnt lgkmcnt(0)
	v_add_u32_e32 v11, v12, v11
	s_or_b64 exec, exec, s[76:77]
	s_and_saveexec_b64 s[76:77], s[24:25]
	s_cbranch_execnz .LBB192_54
.LBB192_86:                             ;   in Loop: Header=BB192_39 Depth=1
	s_or_b64 exec, exec, s[76:77]
	s_and_saveexec_b64 s[76:77], s[26:27]
	s_cbranch_execz .LBB192_55
.LBB192_87:                             ;   in Loop: Header=BB192_39 Depth=1
	v_mov_b32_e32 v12, s91
	ds_read_b32 v12, v12
	s_waitcnt lgkmcnt(0)
	v_add_u32_e32 v11, v12, v11
	s_or_b64 exec, exec, s[76:77]
	s_and_saveexec_b64 s[76:77], s[28:29]
	s_cbranch_execnz .LBB192_56
.LBB192_88:                             ;   in Loop: Header=BB192_39 Depth=1
	s_or_b64 exec, exec, s[76:77]
	s_and_saveexec_b64 s[76:77], s[30:31]
	s_cbranch_execz .LBB192_57
.LBB192_89:                             ;   in Loop: Header=BB192_39 Depth=1
	v_mov_b32_e32 v12, s93
	ds_read_b32 v12, v12
	s_waitcnt lgkmcnt(0)
	v_add_u32_e32 v11, v12, v11
	s_or_b64 exec, exec, s[76:77]
	s_and_saveexec_b64 s[76:77], s[34:35]
	s_cbranch_execnz .LBB192_58
.LBB192_90:                             ;   in Loop: Header=BB192_39 Depth=1
	s_or_b64 exec, exec, s[76:77]
	s_and_saveexec_b64 s[76:77], s[36:37]
	s_cbranch_execz .LBB192_59
.LBB192_91:                             ;   in Loop: Header=BB192_39 Depth=1
	v_mov_b32_e32 v12, s95
	ds_read_b32 v12, v12
	s_waitcnt lgkmcnt(0)
	v_add_u32_e32 v11, v12, v11
	s_or_b64 exec, exec, s[76:77]
	s_and_saveexec_b64 s[76:77], s[38:39]
	s_cbranch_execnz .LBB192_60
.LBB192_92:                             ;   in Loop: Header=BB192_39 Depth=1
	s_or_b64 exec, exec, s[76:77]
	s_and_saveexec_b64 s[76:77], s[40:41]
	s_cbranch_execz .LBB192_61
.LBB192_93:                             ;   in Loop: Header=BB192_39 Depth=1
	v_mov_b32_e32 v12, s97
	ds_read_b32 v12, v12
	s_waitcnt lgkmcnt(0)
	v_add_u32_e32 v11, v12, v11
	s_or_b64 exec, exec, s[76:77]
	s_and_saveexec_b64 s[76:77], s[42:43]
	s_cbranch_execnz .LBB192_62
.LBB192_94:                             ;   in Loop: Header=BB192_39 Depth=1
	s_or_b64 exec, exec, s[76:77]
	s_and_saveexec_b64 s[76:77], s[44:45]
	s_cbranch_execz .LBB192_63
.LBB192_95:                             ;   in Loop: Header=BB192_39 Depth=1
	v_mov_b32_e32 v12, s99
	ds_read_b32 v12, v12
	s_waitcnt lgkmcnt(0)
	v_add_u32_e32 v11, v12, v11
	s_or_b64 exec, exec, s[76:77]
	s_and_saveexec_b64 s[76:77], s[46:47]
	s_cbranch_execnz .LBB192_64
.LBB192_96:                             ;   in Loop: Header=BB192_39 Depth=1
	s_or_b64 exec, exec, s[76:77]
	s_and_saveexec_b64 s[76:77], s[48:49]
	s_cbranch_execz .LBB192_65
.LBB192_97:                             ;   in Loop: Header=BB192_39 Depth=1
	v_mov_b32_e32 v12, s73
	ds_read_b32 v12, v12
	s_waitcnt lgkmcnt(0)
	v_add_u32_e32 v11, v12, v11
	s_or_b64 exec, exec, s[76:77]
	s_and_saveexec_b64 s[76:77], s[50:51]
	s_cbranch_execnz .LBB192_66
.LBB192_98:                             ;   in Loop: Header=BB192_39 Depth=1
	s_or_b64 exec, exec, s[76:77]
	s_and_saveexec_b64 s[76:77], s[52:53]
	s_cbranch_execz .LBB192_67
.LBB192_99:                             ;   in Loop: Header=BB192_39 Depth=1
	v_mov_b32_e32 v12, s70
	ds_read_b32 v12, v12
	s_waitcnt lgkmcnt(0)
	v_add_u32_e32 v11, v12, v11
	s_or_b64 exec, exec, s[76:77]
	s_and_saveexec_b64 s[76:77], s[54:55]
	s_cbranch_execnz .LBB192_68
.LBB192_100:                            ;   in Loop: Header=BB192_39 Depth=1
	s_or_b64 exec, exec, s[76:77]
	s_and_saveexec_b64 s[76:77], s[56:57]
	s_cbranch_execz .LBB192_69
.LBB192_101:                            ;   in Loop: Header=BB192_39 Depth=1
	v_mov_b32_e32 v12, s67
	ds_read_b32 v12, v12
	s_waitcnt lgkmcnt(0)
	v_add_u32_e32 v11, v12, v11
	s_or_b64 exec, exec, s[76:77]
	s_and_saveexec_b64 s[76:77], s[58:59]
	s_cbranch_execnz .LBB192_70
.LBB192_102:                            ;   in Loop: Header=BB192_39 Depth=1
	s_or_b64 exec, exec, s[76:77]
	s_and_saveexec_b64 s[76:77], s[64:65]
	s_cbranch_execz .LBB192_71
.LBB192_103:                            ;   in Loop: Header=BB192_39 Depth=1
	v_add3_u32 v12, v9, -1, v11
	v_lshl_add_u32 v12, v12, 2, 0
	v_add_u32_e32 v13, v9, v11
	v_lshl_add_u32 v13, v13, 3, 0
	ds_write_b32 v12, v10
	ds_write_b64 v13, v[4:5] offset:32760
	s_or_b64 exec, exec, s[76:77]
	s_and_saveexec_b64 s[64:65], vcc
	s_cbranch_execz .LBB192_38
.LBB192_104:                            ;   in Loop: Header=BB192_39 Depth=1
	v_mov_b32_e32 v4, s78
	ds_write_b32 v4, v11
	s_branch .LBB192_38
.LBB192_105:
	s_or_b64 exec, exec, s[74:75]
	v_readlane_b32 s0, v30, 4
	v_readlane_b32 s1, v30, 5
	s_ashr_i32 s1, s0, 31
	s_lshl_b64 s[0:1], s[0:1], 3
	v_readlane_b32 s2, v30, 0
	v_readlane_b32 s3, v30, 1
	s_add_u32 s4, s2, s0
	s_addc_u32 s5, s3, s1
	s_load_dwordx4 s[0:3], s[4:5], 0x0
	s_waitcnt lgkmcnt(0)
	s_sub_i32 s8, s2, s0
	v_cmp_gt_i32_e32 vcc, s8, v0
	s_and_saveexec_b64 s[4:5], vcc
	v_readlane_b32 s14, v30, 2
	v_readlane_b32 s15, v30, 3
	s_cbranch_execz .LBB192_115
; %bb.106:
	s_sub_u32 s4, s0, s66
	s_subb_u32 s5, s1, 0
	s_and_b32 s10, s8, 7
	s_sub_i32 s0, s0, s2
	s_cmp_lt_u32 s0, -7
	s_cselect_b64 s[0:1], -1, 0
	s_and_b32 s11, s8, -8
	s_cmp_lg_u32 s10, 0
	v_cndmask_b32_e64 v1, 0, 1, s[0:1]
	s_cselect_b64 s[2:3], -1, 0
	v_cmp_ne_u32_e64 s[0:1], 1, v1
	v_cndmask_b32_e64 v1, 0, 1, s[2:3]
	s_mov_b32 s9, 0
	s_mov_b64 s[6:7], 0
	v_cmp_ne_u32_e64 s[2:3], 1, v1
	s_branch .LBB192_108
.LBB192_107:                            ;   in Loop: Header=BB192_108 Depth=1
	v_add_u32_e32 v0, 0x400, v0
	v_cmp_le_i32_e32 vcc, s8, v0
	v_lshl_add_u64 v[4:5], v[4:5], 3, s[14:15]
	s_or_b64 s[6:7], vcc, s[6:7]
	s_waitcnt lgkmcnt(0)
	global_store_dwordx2 v[4:5], v[2:3], off
	s_andn2_b64 exec, exec, s[6:7]
	s_cbranch_execz .LBB192_115
.LBB192_108:                            ; =>This Loop Header: Depth=1
                                        ;     Child Loop BB192_110 Depth 2
                                        ;     Child Loop BB192_114 Depth 2
	v_lshlrev_b32_e32 v1, 2, v0
	v_add_u32_e32 v2, 0, v1
	v_add_u32_e32 v3, v2, v1
	ds_read_b32 v1, v2
	ds_read_b64 v[2:3], v3 offset:32768
	s_and_b64 vcc, exec, s[0:1]
	v_mov_b64_e32 v[4:5], s[4:5]
	s_mov_b32 s12, 0
	s_cbranch_vccnz .LBB192_112
; %bb.109:                              ;   in Loop: Header=BB192_108 Depth=1
	s_mov_b32 s13, 0
	v_mov_b64_e32 v[4:5], s[4:5]
.LBB192_110:                            ;   Parent Loop BB192_108 Depth=1
                                        ; =>  This Inner Loop Header: Depth=2
	v_mov_b32_e32 v6, s13
	ds_read2_b32 v[22:23], v6 offset1:1
	ds_read2_b32 v[24:25], v6 offset0:2 offset1:3
	ds_read2_b32 v[26:27], v6 offset0:4 offset1:5
	;; [unrolled: 1-line block ×3, first 2 shown]
	v_mov_b32_e32 v7, s9
	s_waitcnt lgkmcnt(3)
	v_cmp_gt_i32_e32 vcc, v1, v22
	v_mov_b32_e32 v9, s9
	v_mov_b32_e32 v11, s9
	v_cndmask_b32_e64 v6, 0, 1, vcc
	v_cmp_gt_i32_e32 vcc, v1, v23
	v_lshl_add_u64 v[4:5], v[4:5], 0, v[6:7]
	v_mov_b32_e32 v13, s9
	v_cndmask_b32_e64 v8, 0, 1, vcc
	s_waitcnt lgkmcnt(2)
	v_cmp_gt_i32_e32 vcc, v1, v24
	v_lshl_add_u64 v[4:5], v[4:5], 0, v[8:9]
	v_mov_b32_e32 v15, s9
	v_cndmask_b32_e64 v10, 0, 1, vcc
	v_cmp_gt_i32_e32 vcc, v1, v25
	v_lshl_add_u64 v[4:5], v[4:5], 0, v[10:11]
	v_mov_b32_e32 v17, s9
	v_cndmask_b32_e64 v12, 0, 1, vcc
	s_waitcnt lgkmcnt(1)
	v_cmp_gt_i32_e32 vcc, v1, v26
	v_lshl_add_u64 v[4:5], v[4:5], 0, v[12:13]
	;; [unrolled: 9-line block ×3, first 2 shown]
	s_add_i32 s12, s12, 8
	v_cndmask_b32_e64 v18, 0, 1, vcc
	v_cmp_gt_i32_e32 vcc, v1, v29
	s_add_i32 s13, s13, 32
	v_lshl_add_u64 v[4:5], v[4:5], 0, v[18:19]
	v_cndmask_b32_e64 v20, 0, 1, vcc
	s_cmp_eq_u32 s11, s12
	v_lshl_add_u64 v[4:5], v[4:5], 0, v[20:21]
	s_cbranch_scc0 .LBB192_110
; %bb.111:                              ;   in Loop: Header=BB192_108 Depth=1
	s_mov_b32 s12, s11
.LBB192_112:                            ;   in Loop: Header=BB192_108 Depth=1
	s_and_b64 vcc, exec, s[2:3]
	s_cbranch_vccnz .LBB192_107
; %bb.113:                              ;   in Loop: Header=BB192_108 Depth=1
	s_lshl_b32 s12, s12, 2
	s_add_i32 s12, s12, 0
	s_mov_b32 s13, s10
.LBB192_114:                            ;   Parent Loop BB192_108 Depth=1
                                        ; =>  This Inner Loop Header: Depth=2
	v_mov_b32_e32 v6, s12
	ds_read_b32 v6, v6
	v_mov_b32_e32 v7, s9
	s_add_i32 s12, s12, 4
	s_add_i32 s13, s13, -1
	s_cmp_lg_u32 s13, 0
	s_waitcnt lgkmcnt(0)
	v_cmp_gt_i32_e32 vcc, v1, v6
	s_nop 1
	v_cndmask_b32_e64 v6, 0, 1, vcc
	v_lshl_add_u64 v[4:5], v[4:5], 0, v[6:7]
	s_cbranch_scc1 .LBB192_114
	s_branch .LBB192_107
.LBB192_115:
	s_endpgm
	.section	.rodata,"a",@progbits
	.p2align	6, 0x0
	.amdhsa_kernel _ZN9rocsparseL41csrgemm_numeric_fill_block_per_row_kernelILj1024ELj64ELj8192ELj137ELj32ElidEEvT5_PKS1_S3_NS_24const_host_device_scalarIT6_EEPKT4_S3_PKS5_S9_S3_SB_S6_S9_S3_SB_S9_S3_PS5_21rocsparse_index_base_SD_SD_SD_bbb
		.amdhsa_group_segment_fixed_size 0
		.amdhsa_private_segment_fixed_size 0
		.amdhsa_kernarg_size 156
		.amdhsa_user_sgpr_count 2
		.amdhsa_user_sgpr_dispatch_ptr 0
		.amdhsa_user_sgpr_queue_ptr 0
		.amdhsa_user_sgpr_kernarg_segment_ptr 1
		.amdhsa_user_sgpr_dispatch_id 0
		.amdhsa_user_sgpr_kernarg_preload_length 0
		.amdhsa_user_sgpr_kernarg_preload_offset 0
		.amdhsa_user_sgpr_private_segment_size 0
		.amdhsa_uses_dynamic_stack 0
		.amdhsa_enable_private_segment 0
		.amdhsa_system_sgpr_workgroup_id_x 1
		.amdhsa_system_sgpr_workgroup_id_y 0
		.amdhsa_system_sgpr_workgroup_id_z 0
		.amdhsa_system_sgpr_workgroup_info 0
		.amdhsa_system_vgpr_workitem_id 0
		.amdhsa_next_free_vgpr 31
		.amdhsa_next_free_sgpr 100
		.amdhsa_accum_offset 32
		.amdhsa_reserve_vcc 1
		.amdhsa_float_round_mode_32 0
		.amdhsa_float_round_mode_16_64 0
		.amdhsa_float_denorm_mode_32 3
		.amdhsa_float_denorm_mode_16_64 3
		.amdhsa_dx10_clamp 1
		.amdhsa_ieee_mode 1
		.amdhsa_fp16_overflow 0
		.amdhsa_tg_split 0
		.amdhsa_exception_fp_ieee_invalid_op 0
		.amdhsa_exception_fp_denorm_src 0
		.amdhsa_exception_fp_ieee_div_zero 0
		.amdhsa_exception_fp_ieee_overflow 0
		.amdhsa_exception_fp_ieee_underflow 0
		.amdhsa_exception_fp_ieee_inexact 0
		.amdhsa_exception_int_div_zero 0
	.end_amdhsa_kernel
	.section	.text._ZN9rocsparseL41csrgemm_numeric_fill_block_per_row_kernelILj1024ELj64ELj8192ELj137ELj32ElidEEvT5_PKS1_S3_NS_24const_host_device_scalarIT6_EEPKT4_S3_PKS5_S9_S3_SB_S6_S9_S3_SB_S9_S3_PS5_21rocsparse_index_base_SD_SD_SD_bbb,"axG",@progbits,_ZN9rocsparseL41csrgemm_numeric_fill_block_per_row_kernelILj1024ELj64ELj8192ELj137ELj32ElidEEvT5_PKS1_S3_NS_24const_host_device_scalarIT6_EEPKT4_S3_PKS5_S9_S3_SB_S6_S9_S3_SB_S9_S3_PS5_21rocsparse_index_base_SD_SD_SD_bbb,comdat
.Lfunc_end192:
	.size	_ZN9rocsparseL41csrgemm_numeric_fill_block_per_row_kernelILj1024ELj64ELj8192ELj137ELj32ElidEEvT5_PKS1_S3_NS_24const_host_device_scalarIT6_EEPKT4_S3_PKS5_S9_S3_SB_S6_S9_S3_SB_S9_S3_PS5_21rocsparse_index_base_SD_SD_SD_bbb, .Lfunc_end192-_ZN9rocsparseL41csrgemm_numeric_fill_block_per_row_kernelILj1024ELj64ELj8192ELj137ELj32ElidEEvT5_PKS1_S3_NS_24const_host_device_scalarIT6_EEPKT4_S3_PKS5_S9_S3_SB_S6_S9_S3_SB_S9_S3_PS5_21rocsparse_index_base_SD_SD_SD_bbb
                                        ; -- End function
	.set _ZN9rocsparseL41csrgemm_numeric_fill_block_per_row_kernelILj1024ELj64ELj8192ELj137ELj32ElidEEvT5_PKS1_S3_NS_24const_host_device_scalarIT6_EEPKT4_S3_PKS5_S9_S3_SB_S6_S9_S3_SB_S9_S3_PS5_21rocsparse_index_base_SD_SD_SD_bbb.num_vgpr, 31
	.set _ZN9rocsparseL41csrgemm_numeric_fill_block_per_row_kernelILj1024ELj64ELj8192ELj137ELj32ElidEEvT5_PKS1_S3_NS_24const_host_device_scalarIT6_EEPKT4_S3_PKS5_S9_S3_SB_S6_S9_S3_SB_S9_S3_PS5_21rocsparse_index_base_SD_SD_SD_bbb.num_agpr, 0
	.set _ZN9rocsparseL41csrgemm_numeric_fill_block_per_row_kernelILj1024ELj64ELj8192ELj137ELj32ElidEEvT5_PKS1_S3_NS_24const_host_device_scalarIT6_EEPKT4_S3_PKS5_S9_S3_SB_S6_S9_S3_SB_S9_S3_PS5_21rocsparse_index_base_SD_SD_SD_bbb.numbered_sgpr, 100
	.set _ZN9rocsparseL41csrgemm_numeric_fill_block_per_row_kernelILj1024ELj64ELj8192ELj137ELj32ElidEEvT5_PKS1_S3_NS_24const_host_device_scalarIT6_EEPKT4_S3_PKS5_S9_S3_SB_S6_S9_S3_SB_S9_S3_PS5_21rocsparse_index_base_SD_SD_SD_bbb.num_named_barrier, 0
	.set _ZN9rocsparseL41csrgemm_numeric_fill_block_per_row_kernelILj1024ELj64ELj8192ELj137ELj32ElidEEvT5_PKS1_S3_NS_24const_host_device_scalarIT6_EEPKT4_S3_PKS5_S9_S3_SB_S6_S9_S3_SB_S9_S3_PS5_21rocsparse_index_base_SD_SD_SD_bbb.private_seg_size, 0
	.set _ZN9rocsparseL41csrgemm_numeric_fill_block_per_row_kernelILj1024ELj64ELj8192ELj137ELj32ElidEEvT5_PKS1_S3_NS_24const_host_device_scalarIT6_EEPKT4_S3_PKS5_S9_S3_SB_S6_S9_S3_SB_S9_S3_PS5_21rocsparse_index_base_SD_SD_SD_bbb.uses_vcc, 1
	.set _ZN9rocsparseL41csrgemm_numeric_fill_block_per_row_kernelILj1024ELj64ELj8192ELj137ELj32ElidEEvT5_PKS1_S3_NS_24const_host_device_scalarIT6_EEPKT4_S3_PKS5_S9_S3_SB_S6_S9_S3_SB_S9_S3_PS5_21rocsparse_index_base_SD_SD_SD_bbb.uses_flat_scratch, 0
	.set _ZN9rocsparseL41csrgemm_numeric_fill_block_per_row_kernelILj1024ELj64ELj8192ELj137ELj32ElidEEvT5_PKS1_S3_NS_24const_host_device_scalarIT6_EEPKT4_S3_PKS5_S9_S3_SB_S6_S9_S3_SB_S9_S3_PS5_21rocsparse_index_base_SD_SD_SD_bbb.has_dyn_sized_stack, 0
	.set _ZN9rocsparseL41csrgemm_numeric_fill_block_per_row_kernelILj1024ELj64ELj8192ELj137ELj32ElidEEvT5_PKS1_S3_NS_24const_host_device_scalarIT6_EEPKT4_S3_PKS5_S9_S3_SB_S6_S9_S3_SB_S9_S3_PS5_21rocsparse_index_base_SD_SD_SD_bbb.has_recursion, 0
	.set _ZN9rocsparseL41csrgemm_numeric_fill_block_per_row_kernelILj1024ELj64ELj8192ELj137ELj32ElidEEvT5_PKS1_S3_NS_24const_host_device_scalarIT6_EEPKT4_S3_PKS5_S9_S3_SB_S6_S9_S3_SB_S9_S3_PS5_21rocsparse_index_base_SD_SD_SD_bbb.has_indirect_call, 0
	.section	.AMDGPU.csdata,"",@progbits
; Kernel info:
; codeLenInByte = 4520
; TotalNumSgprs: 106
; NumVgprs: 31
; NumAgprs: 0
; TotalNumVgprs: 31
; ScratchSize: 0
; MemoryBound: 0
; FloatMode: 240
; IeeeMode: 1
; LDSByteSize: 0 bytes/workgroup (compile time only)
; SGPRBlocks: 13
; VGPRBlocks: 3
; NumSGPRsForWavesPerEU: 106
; NumVGPRsForWavesPerEU: 31
; AccumOffset: 32
; Occupancy: 7
; WaveLimiterHint : 1
; COMPUTE_PGM_RSRC2:SCRATCH_EN: 0
; COMPUTE_PGM_RSRC2:USER_SGPR: 2
; COMPUTE_PGM_RSRC2:TRAP_HANDLER: 0
; COMPUTE_PGM_RSRC2:TGID_X_EN: 1
; COMPUTE_PGM_RSRC2:TGID_Y_EN: 0
; COMPUTE_PGM_RSRC2:TGID_Z_EN: 0
; COMPUTE_PGM_RSRC2:TIDIG_COMP_CNT: 0
; COMPUTE_PGM_RSRC3_GFX90A:ACCUM_OFFSET: 7
; COMPUTE_PGM_RSRC3_GFX90A:TG_SPLIT: 0
	.section	.text._ZN9rocsparseL41csrgemm_numeric_fill_block_per_row_kernelILj1024ELj64ELj8192ELj137ELj64ElidEEvT5_PKS1_S3_NS_24const_host_device_scalarIT6_EEPKT4_S3_PKS5_S9_S3_SB_S6_S9_S3_SB_S9_S3_PS5_21rocsparse_index_base_SD_SD_SD_bbb,"axG",@progbits,_ZN9rocsparseL41csrgemm_numeric_fill_block_per_row_kernelILj1024ELj64ELj8192ELj137ELj64ElidEEvT5_PKS1_S3_NS_24const_host_device_scalarIT6_EEPKT4_S3_PKS5_S9_S3_SB_S6_S9_S3_SB_S9_S3_PS5_21rocsparse_index_base_SD_SD_SD_bbb,comdat
	.globl	_ZN9rocsparseL41csrgemm_numeric_fill_block_per_row_kernelILj1024ELj64ELj8192ELj137ELj64ElidEEvT5_PKS1_S3_NS_24const_host_device_scalarIT6_EEPKT4_S3_PKS5_S9_S3_SB_S6_S9_S3_SB_S9_S3_PS5_21rocsparse_index_base_SD_SD_SD_bbb ; -- Begin function _ZN9rocsparseL41csrgemm_numeric_fill_block_per_row_kernelILj1024ELj64ELj8192ELj137ELj64ElidEEvT5_PKS1_S3_NS_24const_host_device_scalarIT6_EEPKT4_S3_PKS5_S9_S3_SB_S6_S9_S3_SB_S9_S3_PS5_21rocsparse_index_base_SD_SD_SD_bbb
	.p2align	8
	.type	_ZN9rocsparseL41csrgemm_numeric_fill_block_per_row_kernelILj1024ELj64ELj8192ELj137ELj64ElidEEvT5_PKS1_S3_NS_24const_host_device_scalarIT6_EEPKT4_S3_PKS5_S9_S3_SB_S6_S9_S3_SB_S9_S3_PS5_21rocsparse_index_base_SD_SD_SD_bbb,@function
_ZN9rocsparseL41csrgemm_numeric_fill_block_per_row_kernelILj1024ELj64ELj8192ELj137ELj64ElidEEvT5_PKS1_S3_NS_24const_host_device_scalarIT6_EEPKT4_S3_PKS5_S9_S3_SB_S6_S9_S3_SB_S9_S3_PS5_21rocsparse_index_base_SD_SD_SD_bbb: ; @_ZN9rocsparseL41csrgemm_numeric_fill_block_per_row_kernelILj1024ELj64ELj8192ELj137ELj64ElidEEvT5_PKS1_S3_NS_24const_host_device_scalarIT6_EEPKT4_S3_PKS5_S9_S3_SB_S6_S9_S3_SB_S9_S3_PS5_21rocsparse_index_base_SD_SD_SD_bbb
; %bb.0:
	s_load_dword s3, s[0:1], 0x98
	s_load_dwordx4 s[4:7], s[0:1], 0x8
	s_load_dwordx2 s[12:13], s[0:1], 0x18
	s_load_dwordx4 s[36:39], s[0:1], 0x88
	s_load_dwordx2 s[10:11], s[0:1], 0x50
	s_waitcnt lgkmcnt(0)
	s_bitcmp1_b32 s3, 0
	s_cselect_b64 s[8:9], -1, 0
	s_bitcmp1_b32 s3, 16
	s_cselect_b64 s[14:15], -1, 0
	s_xor_b64 s[16:17], s[8:9], -1
	s_or_b64 s[16:17], s[14:15], s[16:17]
	s_and_b64 s[18:19], s[8:9], exec
	s_cselect_b32 s19, s13, 0
	s_cselect_b32 s18, s12, 0
	s_and_b64 vcc, exec, s[16:17]
	v_mov_b64_e32 v[4:5], s[18:19]
	s_cbranch_vccnz .LBB193_2
; %bb.1:
	v_mov_b64_e32 v[2:3], s[12:13]
	flat_load_dwordx2 v[4:5], v[2:3]
.LBB193_2:
	s_bitcmp1_b32 s3, 8
	s_cselect_b64 s[12:13], -1, 0
	s_xor_b64 s[16:17], s[12:13], -1
	s_or_b64 s[14:15], s[14:15], s[16:17]
	s_and_b64 s[16:17], s[12:13], exec
	s_cselect_b32 s17, s11, 0
	s_cselect_b32 s16, s10, 0
	s_and_b64 vcc, exec, s[14:15]
	v_mov_b64_e32 v[2:3], s[16:17]
	s_cbranch_vccnz .LBB193_4
; %bb.3:
	v_mov_b64_e32 v[2:3], s[10:11]
	flat_load_dwordx2 v[2:3], v[2:3]
.LBB193_4:
	s_load_dword s33, s[0:1], 0x0
	v_lshlrev_b32_e32 v6, 2, v0
	s_mov_b32 s10, 0
	v_add_u32_e32 v1, 0, v6
	v_add_u32_e32 v8, v1, v6
	s_waitcnt lgkmcnt(0)
	v_mov_b32_e32 v9, s33
	s_mov_b32 s11, s10
	v_mov_b32_e32 v10, s33
	v_mov_b64_e32 v[6:7], s[10:11]
	ds_write2st64_b32 v1, v9, v10 offset1:16
	ds_write2st64_b64 v8, v[6:7], v[6:7] offset0:64 offset1:80
	ds_write2st64_b32 v1, v9, v10 offset0:32 offset1:48
	ds_write2st64_b64 v8, v[6:7], v[6:7] offset0:96 offset1:112
	v_mov_b32_e32 v8, s33
	s_add_i32 s3, 0, 0x8000
	v_lshl_add_u32 v9, v0, 3, s3
	ds_write2st64_b32 v1, v8, v10 offset0:64 offset1:80
	ds_write2st64_b64 v9, v[6:7], v[6:7] offset0:64 offset1:80
	ds_write2st64_b32 v1, v8, v10 offset0:96 offset1:112
	ds_write2st64_b64 v9, v[6:7], v[6:7] offset0:96 offset1:112
	s_waitcnt lgkmcnt(0)
	s_barrier
	s_load_dword s3, s[4:5], 0x0
	v_lshrrev_b32_e32 v18, 6, v0
	s_waitcnt lgkmcnt(0)
	s_add_i32 s2, s3, s2
	s_mov_b32 s3, s10
	s_lshl_b64 s[2:3], s[2:3], 2
	s_add_u32 s2, s6, s2
	s_addc_u32 s3, s7, s3
	s_load_dword s34, s[2:3], 0x0
	s_andn2_b64 vcc, exec, s[8:9]
	s_cbranch_vccnz .LBB193_22
; %bb.5:
	s_load_dwordx2 s[2:3], s[0:1], 0x20
	s_waitcnt lgkmcnt(0)
	s_ashr_i32 s35, s34, 31
	s_lshl_b64 s[4:5], s[34:35], 3
	v_subrev_co_u32_e32 v6, vcc, s36, v18
	s_add_u32 s2, s2, s4
	s_addc_u32 s3, s3, s5
	s_load_dwordx4 s[4:7], s[2:3], 0x0
	v_subb_co_u32_e64 v7, s[2:3], 0, 0, vcc
	s_waitcnt lgkmcnt(0)
	s_sub_u32 s2, s6, s36
	s_subb_u32 s3, s7, 0
	v_lshl_add_u64 v[6:7], s[4:5], 0, v[6:7]
	v_cmp_gt_i64_e32 vcc, s[2:3], v[6:7]
	s_and_saveexec_b64 s[14:15], vcc
	s_cbranch_execz .LBB193_21
; %bb.6:
	s_load_dwordx2 s[16:17], s[0:1], 0x48
	s_load_dwordx8 s[4:11], s[0:1], 0x28
	v_and_b32_e32 v8, 63, v0
	v_subrev_co_u32_e32 v8, vcc, s37, v8
	s_mov_b32 s35, s37
	s_nop 0
	v_subb_co_u32_e64 v9, s[18:19], 0, 0, vcc
	s_mov_b64 s[18:19], 0
	s_movk_i32 s42, 0x89
	s_branch .LBB193_8
.LBB193_7:                              ;   in Loop: Header=BB193_8 Depth=1
	s_or_b64 exec, exec, s[20:21]
	v_lshl_add_u64 v[6:7], v[6:7], 0, 16
	v_cmp_le_i64_e32 vcc, s[2:3], v[6:7]
	s_or_b64 s[18:19], vcc, s[18:19]
	s_andn2_b64 exec, exec, s[18:19]
	s_cbranch_execz .LBB193_21
.LBB193_8:                              ; =>This Loop Header: Depth=1
                                        ;     Child Loop BB193_12 Depth 2
                                        ;       Child Loop BB193_15 Depth 3
	s_waitcnt lgkmcnt(0)
	v_lshl_add_u64 v[10:11], v[6:7], 2, s[4:5]
	global_load_dword v10, v[10:11], off
	s_waitcnt vmcnt(0)
	v_subrev_u32_e32 v10, s36, v10
	v_ashrrev_i32_e32 v11, 31, v10
	v_lshl_add_u64 v[10:11], v[10:11], 3, s[8:9]
	global_load_dwordx4 v[12:15], v[10:11], off
	s_waitcnt vmcnt(0)
	v_subrev_co_u32_e32 v10, vcc, s35, v14
	s_nop 1
	v_subbrev_co_u32_e32 v11, vcc, 0, v15, vcc
	v_lshl_add_u64 v[12:13], v[12:13], 0, v[8:9]
	v_cmp_lt_i64_e32 vcc, v[12:13], v[10:11]
	s_and_saveexec_b64 s[20:21], vcc
	s_cbranch_execz .LBB193_7
; %bb.9:                                ;   in Loop: Header=BB193_8 Depth=1
	v_lshl_add_u64 v[14:15], v[6:7], 3, s[6:7]
	global_load_dwordx2 v[14:15], v[14:15], off
	s_mov_b64 s[22:23], 0
	s_waitcnt vmcnt(0)
	v_mul_f64 v[14:15], v[4:5], v[14:15]
	s_branch .LBB193_12
.LBB193_10:                             ;   in Loop: Header=BB193_12 Depth=2
	s_or_b64 exec, exec, s[26:27]
.LBB193_11:                             ;   in Loop: Header=BB193_12 Depth=2
	s_or_b64 exec, exec, s[24:25]
	s_waitcnt vmcnt(0)
	v_mul_f64 v[16:17], v[14:15], v[16:17]
	v_lshl_add_u32 v19, v19, 3, 0
	ds_add_f64 v19, v[16:17] offset:32768
	v_lshl_add_u64 v[12:13], v[12:13], 0, 64
	v_cmp_ge_i64_e32 vcc, v[12:13], v[10:11]
	s_or_b64 s[22:23], vcc, s[22:23]
	s_andn2_b64 exec, exec, s[22:23]
	s_cbranch_execz .LBB193_7
.LBB193_12:                             ;   Parent Loop BB193_8 Depth=1
                                        ; =>  This Loop Header: Depth=2
                                        ;       Child Loop BB193_15 Depth 3
	v_lshl_add_u64 v[16:17], v[12:13], 2, s[10:11]
	global_load_dword v19, v[16:17], off
	v_lshl_add_u64 v[16:17], v[12:13], 3, s[16:17]
	global_load_dwordx2 v[16:17], v[16:17], off
	s_waitcnt vmcnt(1)
	v_subrev_u32_e32 v20, s37, v19
	v_mul_lo_u32 v19, v20, s42
	v_and_b32_e32 v19, 0x1fff, v19
	v_lshl_add_u32 v21, v19, 2, 0
	ds_read_b32 v22, v21
	s_waitcnt lgkmcnt(0)
	v_cmp_ne_u32_e32 vcc, v22, v20
	s_and_saveexec_b64 s[24:25], vcc
	s_cbranch_execz .LBB193_11
; %bb.13:                               ;   in Loop: Header=BB193_12 Depth=2
	s_mov_b64 s[26:27], 0
	s_branch .LBB193_15
.LBB193_14:                             ;   in Loop: Header=BB193_15 Depth=3
	s_or_b64 exec, exec, s[40:41]
	s_and_b64 s[28:29], exec, s[30:31]
	s_or_b64 s[26:27], s[28:29], s[26:27]
	s_andn2_b64 exec, exec, s[26:27]
	s_cbranch_execz .LBB193_10
.LBB193_15:                             ;   Parent Loop BB193_8 Depth=1
                                        ;     Parent Loop BB193_12 Depth=2
                                        ; =>    This Inner Loop Header: Depth=3
	v_cmp_ne_u32_e32 vcc, s33, v22
	s_mov_b64 s[28:29], 0
	s_and_saveexec_b64 s[30:31], vcc
	s_xor_b64 s[30:31], exec, s[30:31]
	s_cbranch_execz .LBB193_17
; %bb.16:                               ;   in Loop: Header=BB193_15 Depth=3
	v_add_u32_e32 v19, 1, v19
	s_mov_b64 s[28:29], exec
	v_and_b32_e32 v19, 0x1fff, v19
                                        ; implicit-def: $vgpr21
	s_andn2_saveexec_b64 s[30:31], s[30:31]
	s_cbranch_execz .LBB193_19
	s_branch .LBB193_18
.LBB193_17:                             ;   in Loop: Header=BB193_15 Depth=3
	s_andn2_saveexec_b64 s[30:31], s[30:31]
	s_cbranch_execz .LBB193_19
.LBB193_18:                             ;   in Loop: Header=BB193_15 Depth=3
	v_mov_b32_e32 v22, s33
	ds_cmpst_rtn_b32 v21, v21, v22, v20
	s_andn2_b64 s[28:29], s[28:29], exec
	s_waitcnt lgkmcnt(0)
	v_cmp_ne_u32_e32 vcc, s33, v21
	s_and_b64 s[40:41], vcc, exec
	s_or_b64 s[28:29], s[28:29], s[40:41]
.LBB193_19:                             ;   in Loop: Header=BB193_15 Depth=3
	s_or_b64 exec, exec, s[30:31]
	s_mov_b64 s[30:31], -1
                                        ; implicit-def: $vgpr21
                                        ; implicit-def: $vgpr22
	s_and_saveexec_b64 s[40:41], s[28:29]
	s_cbranch_execz .LBB193_14
; %bb.20:                               ;   in Loop: Header=BB193_15 Depth=3
	v_lshl_add_u32 v21, v19, 2, 0
	ds_read_b32 v22, v21
	s_waitcnt lgkmcnt(0)
	v_cmp_eq_u32_e32 vcc, v22, v20
	s_orn2_b64 s[30:31], vcc, exec
	s_branch .LBB193_14
.LBB193_21:
	s_or_b64 exec, exec, s[14:15]
.LBB193_22:
	s_load_dwordx2 s[36:37], s[0:1], 0x80
	s_load_dwordx2 s[40:41], s[0:1], 0x70
	s_andn2_b64 vcc, exec, s[12:13]
	s_cbranch_vccnz .LBB193_37
; %bb.23:
	s_load_dwordx2 s[2:3], s[0:1], 0x58
	s_waitcnt lgkmcnt(0)
	s_ashr_i32 s35, s34, 31
	s_lshl_b64 s[4:5], s[34:35], 3
	s_waitcnt vmcnt(0)
	v_subrev_co_u32_e32 v4, vcc, s39, v0
	s_add_u32 s2, s2, s4
	s_addc_u32 s3, s3, s5
	s_load_dwordx4 s[4:7], s[2:3], 0x0
	v_subb_co_u32_e64 v5, s[2:3], 0, 0, vcc
	s_waitcnt lgkmcnt(0)
	s_sub_u32 s2, s6, s39
	s_subb_u32 s3, s7, 0
	v_lshl_add_u64 v[4:5], s[4:5], 0, v[4:5]
	v_cmp_gt_i64_e32 vcc, s[2:3], v[4:5]
	s_and_saveexec_b64 s[8:9], vcc
	s_cbranch_execz .LBB193_36
; %bb.24:
	s_load_dwordx4 s[4:7], s[0:1], 0x60
	s_mov_b64 s[0:1], 0
	s_movk_i32 s22, 0x89
	s_mov_b64 s[10:11], 0x400
	s_branch .LBB193_27
.LBB193_25:                             ;   in Loop: Header=BB193_27 Depth=1
	s_or_b64 exec, exec, s[14:15]
.LBB193_26:                             ;   in Loop: Header=BB193_27 Depth=1
	s_or_b64 exec, exec, s[12:13]
	s_waitcnt vmcnt(0)
	v_mul_f64 v[6:7], v[2:3], v[6:7]
	v_lshl_add_u32 v8, v8, 3, 0
	ds_add_f64 v8, v[6:7] offset:32768
	v_lshl_add_u64 v[4:5], v[4:5], 0, s[10:11]
	v_cmp_le_i64_e32 vcc, s[2:3], v[4:5]
	s_or_b64 s[0:1], vcc, s[0:1]
	s_andn2_b64 exec, exec, s[0:1]
	s_cbranch_execz .LBB193_36
.LBB193_27:                             ; =>This Loop Header: Depth=1
                                        ;     Child Loop BB193_30 Depth 2
	s_waitcnt lgkmcnt(0)
	v_lshl_add_u64 v[6:7], v[4:5], 2, s[4:5]
	global_load_dword v8, v[6:7], off
	v_lshl_add_u64 v[6:7], v[4:5], 3, s[6:7]
	global_load_dwordx2 v[6:7], v[6:7], off
	s_waitcnt vmcnt(1)
	v_subrev_u32_e32 v9, s39, v8
	v_mul_lo_u32 v8, v9, s22
	v_and_b32_e32 v8, 0x1fff, v8
	v_lshl_add_u32 v10, v8, 2, 0
	ds_read_b32 v11, v10
	s_waitcnt lgkmcnt(0)
	v_cmp_ne_u32_e32 vcc, v11, v9
	s_and_saveexec_b64 s[12:13], vcc
	s_cbranch_execz .LBB193_26
; %bb.28:                               ;   in Loop: Header=BB193_27 Depth=1
	s_mov_b64 s[14:15], 0
	s_branch .LBB193_30
.LBB193_29:                             ;   in Loop: Header=BB193_30 Depth=2
	s_or_b64 exec, exec, s[20:21]
	s_and_b64 s[16:17], exec, s[18:19]
	s_or_b64 s[14:15], s[16:17], s[14:15]
	s_andn2_b64 exec, exec, s[14:15]
	s_cbranch_execz .LBB193_25
.LBB193_30:                             ;   Parent Loop BB193_27 Depth=1
                                        ; =>  This Inner Loop Header: Depth=2
	v_cmp_ne_u32_e32 vcc, s33, v11
	s_mov_b64 s[16:17], 0
	s_and_saveexec_b64 s[18:19], vcc
	s_xor_b64 s[18:19], exec, s[18:19]
	s_cbranch_execz .LBB193_32
; %bb.31:                               ;   in Loop: Header=BB193_30 Depth=2
	v_add_u32_e32 v8, 1, v8
	s_mov_b64 s[16:17], exec
	v_and_b32_e32 v8, 0x1fff, v8
                                        ; implicit-def: $vgpr10
	s_andn2_saveexec_b64 s[18:19], s[18:19]
	s_cbranch_execz .LBB193_34
	s_branch .LBB193_33
.LBB193_32:                             ;   in Loop: Header=BB193_30 Depth=2
	s_andn2_saveexec_b64 s[18:19], s[18:19]
	s_cbranch_execz .LBB193_34
.LBB193_33:                             ;   in Loop: Header=BB193_30 Depth=2
	v_mov_b32_e32 v11, s33
	ds_cmpst_rtn_b32 v10, v10, v11, v9
	s_andn2_b64 s[16:17], s[16:17], exec
	s_waitcnt lgkmcnt(0)
	v_cmp_ne_u32_e32 vcc, s33, v10
	s_and_b64 s[20:21], vcc, exec
	s_or_b64 s[16:17], s[16:17], s[20:21]
.LBB193_34:                             ;   in Loop: Header=BB193_30 Depth=2
	s_or_b64 exec, exec, s[18:19]
	s_mov_b64 s[18:19], -1
                                        ; implicit-def: $vgpr10
                                        ; implicit-def: $vgpr11
	s_and_saveexec_b64 s[20:21], s[16:17]
	s_cbranch_execz .LBB193_29
; %bb.35:                               ;   in Loop: Header=BB193_30 Depth=2
	v_lshl_add_u32 v10, v8, 2, 0
	ds_read_b32 v11, v10
	s_waitcnt lgkmcnt(0)
	v_cmp_eq_u32_e32 vcc, v11, v9
	s_orn2_b64 s[18:19], vcc, exec
	s_branch .LBB193_29
.LBB193_36:
	s_or_b64 exec, exec, s[8:9]
.LBB193_37:
	s_waitcnt vmcnt(0)
	v_mbcnt_lo_u32_b32 v2, -1, 0
	v_mbcnt_hi_u32_b32 v2, -1, v2
	v_sub_u32_e32 v2, 63, v2
	s_add_i32 s35, 0, 0x18000
	s_movk_i32 s0, 0x3ff
	s_movk_i32 s2, 0x7f
	;; [unrolled: 1-line block ×15, first 2 shown]
	v_lshl_add_u32 v4, v0, 3, 0
	s_add_i32 s59, 0, 0x1803c
	v_lshrrev_b64 v[2:3], v2, -1
	v_lshl_add_u32 v6, v18, 2, s35
	v_cmp_eq_u32_e32 vcc, s0, v0
	v_cmp_lt_u32_e64 s[0:1], 63, v0
	v_cmp_lt_u32_e64 s[2:3], s2, v0
	;; [unrolled: 1-line block ×15, first 2 shown]
	v_add_u32_e32 v7, 0x8000, v4
	v_or_b32_e32 v8, 0xfffffc00, v0
	s_mov_b64 s[42:43], 0
	v_mov_b32_e32 v9, 0
	s_add_i32 s39, 0, 0x18004
	s_add_i32 s46, 0, 0x18008
	;; [unrolled: 1-line block ×14, first 2 shown]
	v_mov_b32_e32 v10, s59
	s_movk_i32 s60, 0x1bff
	s_waitcnt lgkmcnt(0)
	s_barrier
	s_branch .LBB193_39
.LBB193_38:                             ;   in Loop: Header=BB193_39 Depth=1
	s_or_b64 exec, exec, s[30:31]
	s_waitcnt lgkmcnt(0)
	s_barrier
	ds_read_b32 v4, v10
	v_add_u32_e32 v8, 0x400, v8
	v_cmp_lt_u32_e64 s[30:31], s60, v8
	v_add_u32_e32 v7, 0x2000, v7
	s_or_b64 s[42:43], s[30:31], s[42:43]
	s_waitcnt lgkmcnt(0)
	v_add_u32_e32 v9, v4, v9
	v_add_u32_e32 v1, 0x1000, v1
	s_andn2_b64 exec, exec, s[42:43]
	s_cbranch_execz .LBB193_73
.LBB193_39:                             ; =>This Inner Loop Header: Depth=1
	ds_read_b32 v11, v1
	ds_read_b64 v[4:5], v7
	s_waitcnt lgkmcnt(0)
	s_barrier
	v_cmp_gt_i32_e64 s[30:31], s33, v11
	s_bcnt1_i32_b64 s44, s[30:31]
	s_nop 0
	v_and_b32_e32 v13, s30, v2
	v_and_b32_e32 v12, s31, v3
	v_bcnt_u32_b32 v13, v13, 0
	v_bcnt_u32_b32 v12, v12, v13
	v_mov_b32_e32 v13, s44
	ds_write_b32 v6, v13
	s_waitcnt lgkmcnt(0)
	s_barrier
	s_and_saveexec_b64 s[44:45], s[0:1]
	s_cbranch_execz .LBB193_56
; %bb.40:                               ;   in Loop: Header=BB193_39 Depth=1
	v_mov_b32_e32 v13, s35
	ds_read_b32 v13, v13
	s_waitcnt lgkmcnt(0)
	v_add_u32_e32 v12, v13, v12
	s_or_b64 exec, exec, s[44:45]
	s_and_saveexec_b64 s[44:45], s[2:3]
	s_cbranch_execnz .LBB193_57
.LBB193_41:                             ;   in Loop: Header=BB193_39 Depth=1
	s_or_b64 exec, exec, s[44:45]
	s_and_saveexec_b64 s[44:45], s[4:5]
	s_cbranch_execz .LBB193_58
.LBB193_42:                             ;   in Loop: Header=BB193_39 Depth=1
	v_mov_b32_e32 v13, s46
	ds_read_b32 v13, v13
	s_waitcnt lgkmcnt(0)
	v_add_u32_e32 v12, v13, v12
	s_or_b64 exec, exec, s[44:45]
	s_and_saveexec_b64 s[44:45], s[6:7]
	s_cbranch_execnz .LBB193_59
.LBB193_43:                             ;   in Loop: Header=BB193_39 Depth=1
	s_or_b64 exec, exec, s[44:45]
	s_and_saveexec_b64 s[44:45], s[8:9]
	s_cbranch_execz .LBB193_60
.LBB193_44:                             ;   in Loop: Header=BB193_39 Depth=1
	v_mov_b32_e32 v13, s48
	ds_read_b32 v13, v13
	s_waitcnt lgkmcnt(0)
	v_add_u32_e32 v12, v13, v12
	s_or_b64 exec, exec, s[44:45]
	s_and_saveexec_b64 s[44:45], s[10:11]
	s_cbranch_execnz .LBB193_61
.LBB193_45:                             ;   in Loop: Header=BB193_39 Depth=1
	s_or_b64 exec, exec, s[44:45]
	s_and_saveexec_b64 s[44:45], s[12:13]
	s_cbranch_execz .LBB193_62
.LBB193_46:                             ;   in Loop: Header=BB193_39 Depth=1
	v_mov_b32_e32 v13, s50
	ds_read_b32 v13, v13
	s_waitcnt lgkmcnt(0)
	v_add_u32_e32 v12, v13, v12
	s_or_b64 exec, exec, s[44:45]
	s_and_saveexec_b64 s[44:45], s[14:15]
	s_cbranch_execnz .LBB193_63
.LBB193_47:                             ;   in Loop: Header=BB193_39 Depth=1
	s_or_b64 exec, exec, s[44:45]
	s_and_saveexec_b64 s[44:45], s[16:17]
	s_cbranch_execz .LBB193_64
.LBB193_48:                             ;   in Loop: Header=BB193_39 Depth=1
	v_mov_b32_e32 v13, s52
	ds_read_b32 v13, v13
	s_waitcnt lgkmcnt(0)
	v_add_u32_e32 v12, v13, v12
	s_or_b64 exec, exec, s[44:45]
	s_and_saveexec_b64 s[44:45], s[18:19]
	s_cbranch_execnz .LBB193_65
.LBB193_49:                             ;   in Loop: Header=BB193_39 Depth=1
	s_or_b64 exec, exec, s[44:45]
	s_and_saveexec_b64 s[44:45], s[20:21]
	s_cbranch_execz .LBB193_66
.LBB193_50:                             ;   in Loop: Header=BB193_39 Depth=1
	v_mov_b32_e32 v13, s54
	ds_read_b32 v13, v13
	s_waitcnt lgkmcnt(0)
	v_add_u32_e32 v12, v13, v12
	s_or_b64 exec, exec, s[44:45]
	s_and_saveexec_b64 s[44:45], s[22:23]
	s_cbranch_execnz .LBB193_67
.LBB193_51:                             ;   in Loop: Header=BB193_39 Depth=1
	s_or_b64 exec, exec, s[44:45]
	s_and_saveexec_b64 s[44:45], s[24:25]
	s_cbranch_execz .LBB193_68
.LBB193_52:                             ;   in Loop: Header=BB193_39 Depth=1
	v_mov_b32_e32 v13, s56
	ds_read_b32 v13, v13
	s_waitcnt lgkmcnt(0)
	v_add_u32_e32 v12, v13, v12
	s_or_b64 exec, exec, s[44:45]
	s_and_saveexec_b64 s[44:45], s[26:27]
	s_cbranch_execnz .LBB193_69
.LBB193_53:                             ;   in Loop: Header=BB193_39 Depth=1
	s_or_b64 exec, exec, s[44:45]
	s_and_saveexec_b64 s[44:45], s[28:29]
	s_cbranch_execz .LBB193_70
.LBB193_54:                             ;   in Loop: Header=BB193_39 Depth=1
	v_mov_b32_e32 v13, s58
	ds_read_b32 v13, v13
	s_waitcnt lgkmcnt(0)
	v_add_u32_e32 v12, v13, v12
	s_or_b64 exec, exec, s[44:45]
	s_and_saveexec_b64 s[44:45], s[30:31]
	s_cbranch_execnz .LBB193_71
.LBB193_55:                             ;   in Loop: Header=BB193_39 Depth=1
	s_or_b64 exec, exec, s[44:45]
	s_and_saveexec_b64 s[30:31], vcc
	s_cbranch_execz .LBB193_38
	s_branch .LBB193_72
.LBB193_56:                             ;   in Loop: Header=BB193_39 Depth=1
	s_or_b64 exec, exec, s[44:45]
	s_and_saveexec_b64 s[44:45], s[2:3]
	s_cbranch_execz .LBB193_41
.LBB193_57:                             ;   in Loop: Header=BB193_39 Depth=1
	v_mov_b32_e32 v13, s39
	ds_read_b32 v13, v13
	s_waitcnt lgkmcnt(0)
	v_add_u32_e32 v12, v13, v12
	s_or_b64 exec, exec, s[44:45]
	s_and_saveexec_b64 s[44:45], s[4:5]
	s_cbranch_execnz .LBB193_42
.LBB193_58:                             ;   in Loop: Header=BB193_39 Depth=1
	s_or_b64 exec, exec, s[44:45]
	s_and_saveexec_b64 s[44:45], s[6:7]
	s_cbranch_execz .LBB193_43
.LBB193_59:                             ;   in Loop: Header=BB193_39 Depth=1
	v_mov_b32_e32 v13, s47
	ds_read_b32 v13, v13
	s_waitcnt lgkmcnt(0)
	v_add_u32_e32 v12, v13, v12
	s_or_b64 exec, exec, s[44:45]
	s_and_saveexec_b64 s[44:45], s[8:9]
	s_cbranch_execnz .LBB193_44
.LBB193_60:                             ;   in Loop: Header=BB193_39 Depth=1
	s_or_b64 exec, exec, s[44:45]
	s_and_saveexec_b64 s[44:45], s[10:11]
	s_cbranch_execz .LBB193_45
.LBB193_61:                             ;   in Loop: Header=BB193_39 Depth=1
	v_mov_b32_e32 v13, s49
	ds_read_b32 v13, v13
	s_waitcnt lgkmcnt(0)
	v_add_u32_e32 v12, v13, v12
	s_or_b64 exec, exec, s[44:45]
	s_and_saveexec_b64 s[44:45], s[12:13]
	s_cbranch_execnz .LBB193_46
.LBB193_62:                             ;   in Loop: Header=BB193_39 Depth=1
	s_or_b64 exec, exec, s[44:45]
	s_and_saveexec_b64 s[44:45], s[14:15]
	s_cbranch_execz .LBB193_47
.LBB193_63:                             ;   in Loop: Header=BB193_39 Depth=1
	v_mov_b32_e32 v13, s51
	ds_read_b32 v13, v13
	s_waitcnt lgkmcnt(0)
	v_add_u32_e32 v12, v13, v12
	s_or_b64 exec, exec, s[44:45]
	s_and_saveexec_b64 s[44:45], s[16:17]
	s_cbranch_execnz .LBB193_48
.LBB193_64:                             ;   in Loop: Header=BB193_39 Depth=1
	s_or_b64 exec, exec, s[44:45]
	s_and_saveexec_b64 s[44:45], s[18:19]
	s_cbranch_execz .LBB193_49
.LBB193_65:                             ;   in Loop: Header=BB193_39 Depth=1
	v_mov_b32_e32 v13, s53
	ds_read_b32 v13, v13
	s_waitcnt lgkmcnt(0)
	v_add_u32_e32 v12, v13, v12
	s_or_b64 exec, exec, s[44:45]
	s_and_saveexec_b64 s[44:45], s[20:21]
	s_cbranch_execnz .LBB193_50
.LBB193_66:                             ;   in Loop: Header=BB193_39 Depth=1
	s_or_b64 exec, exec, s[44:45]
	s_and_saveexec_b64 s[44:45], s[22:23]
	s_cbranch_execz .LBB193_51
.LBB193_67:                             ;   in Loop: Header=BB193_39 Depth=1
	v_mov_b32_e32 v13, s55
	ds_read_b32 v13, v13
	s_waitcnt lgkmcnt(0)
	v_add_u32_e32 v12, v13, v12
	s_or_b64 exec, exec, s[44:45]
	s_and_saveexec_b64 s[44:45], s[24:25]
	s_cbranch_execnz .LBB193_52
.LBB193_68:                             ;   in Loop: Header=BB193_39 Depth=1
	s_or_b64 exec, exec, s[44:45]
	s_and_saveexec_b64 s[44:45], s[26:27]
	s_cbranch_execz .LBB193_53
.LBB193_69:                             ;   in Loop: Header=BB193_39 Depth=1
	v_mov_b32_e32 v13, s57
	ds_read_b32 v13, v13
	s_waitcnt lgkmcnt(0)
	v_add_u32_e32 v12, v13, v12
	s_or_b64 exec, exec, s[44:45]
	s_and_saveexec_b64 s[44:45], s[28:29]
	s_cbranch_execnz .LBB193_54
.LBB193_70:                             ;   in Loop: Header=BB193_39 Depth=1
	s_or_b64 exec, exec, s[44:45]
	s_and_saveexec_b64 s[44:45], s[30:31]
	s_cbranch_execz .LBB193_55
.LBB193_71:                             ;   in Loop: Header=BB193_39 Depth=1
	v_add3_u32 v13, v9, -1, v12
	v_lshl_add_u32 v13, v13, 2, 0
	v_add_u32_e32 v14, v9, v12
	v_lshl_add_u32 v14, v14, 3, 0
	ds_write_b32 v13, v11
	ds_write_b64 v14, v[4:5] offset:32760
	s_or_b64 exec, exec, s[44:45]
	s_and_saveexec_b64 s[30:31], vcc
	s_cbranch_execz .LBB193_38
.LBB193_72:                             ;   in Loop: Header=BB193_39 Depth=1
	v_mov_b32_e32 v4, s59
	ds_write_b32 v4, v12
	s_branch .LBB193_38
.LBB193_73:
	s_or_b64 exec, exec, s[42:43]
	s_ashr_i32 s35, s34, 31
	s_lshl_b64 s[0:1], s[34:35], 3
	s_add_u32 s4, s40, s0
	s_addc_u32 s5, s41, s1
	s_load_dwordx4 s[0:3], s[4:5], 0x0
	s_waitcnt lgkmcnt(0)
	s_sub_i32 s8, s2, s0
	v_cmp_gt_i32_e32 vcc, s8, v0
	s_and_saveexec_b64 s[4:5], vcc
	s_cbranch_execz .LBB193_83
; %bb.74:
	s_sub_u32 s4, s0, s38
	s_subb_u32 s5, s1, 0
	s_and_b32 s10, s8, 7
	s_sub_i32 s0, s0, s2
	s_cmp_lt_u32 s0, -7
	s_cselect_b64 s[0:1], -1, 0
	s_and_b32 s11, s8, -8
	s_cmp_lg_u32 s10, 0
	v_cndmask_b32_e64 v1, 0, 1, s[0:1]
	s_cselect_b64 s[2:3], -1, 0
	v_cmp_ne_u32_e64 s[0:1], 1, v1
	v_cndmask_b32_e64 v1, 0, 1, s[2:3]
	s_mov_b32 s9, 0
	s_mov_b64 s[6:7], 0
	v_cmp_ne_u32_e64 s[2:3], 1, v1
	s_branch .LBB193_76
.LBB193_75:                             ;   in Loop: Header=BB193_76 Depth=1
	v_add_u32_e32 v0, 0x400, v0
	v_cmp_le_i32_e32 vcc, s8, v0
	v_lshl_add_u64 v[4:5], v[4:5], 3, s[36:37]
	s_or_b64 s[6:7], vcc, s[6:7]
	s_waitcnt lgkmcnt(0)
	global_store_dwordx2 v[4:5], v[2:3], off
	s_andn2_b64 exec, exec, s[6:7]
	s_cbranch_execz .LBB193_83
.LBB193_76:                             ; =>This Loop Header: Depth=1
                                        ;     Child Loop BB193_78 Depth 2
                                        ;     Child Loop BB193_82 Depth 2
	v_lshlrev_b32_e32 v1, 2, v0
	v_add_u32_e32 v2, 0, v1
	v_add_u32_e32 v3, v2, v1
	ds_read_b32 v1, v2
	ds_read_b64 v[2:3], v3 offset:32768
	s_and_b64 vcc, exec, s[0:1]
	v_mov_b64_e32 v[4:5], s[4:5]
	s_mov_b32 s12, 0
	s_cbranch_vccnz .LBB193_80
; %bb.77:                               ;   in Loop: Header=BB193_76 Depth=1
	s_mov_b32 s13, 0
	v_mov_b64_e32 v[4:5], s[4:5]
.LBB193_78:                             ;   Parent Loop BB193_76 Depth=1
                                        ; =>  This Inner Loop Header: Depth=2
	v_mov_b32_e32 v6, s13
	ds_read2_b32 v[22:23], v6 offset1:1
	ds_read2_b32 v[24:25], v6 offset0:2 offset1:3
	ds_read2_b32 v[26:27], v6 offset0:4 offset1:5
	;; [unrolled: 1-line block ×3, first 2 shown]
	v_mov_b32_e32 v7, s9
	s_waitcnt lgkmcnt(3)
	v_cmp_gt_i32_e32 vcc, v1, v22
	v_mov_b32_e32 v9, s9
	v_mov_b32_e32 v11, s9
	v_cndmask_b32_e64 v6, 0, 1, vcc
	v_cmp_gt_i32_e32 vcc, v1, v23
	v_lshl_add_u64 v[4:5], v[4:5], 0, v[6:7]
	v_mov_b32_e32 v13, s9
	v_cndmask_b32_e64 v8, 0, 1, vcc
	s_waitcnt lgkmcnt(2)
	v_cmp_gt_i32_e32 vcc, v1, v24
	v_lshl_add_u64 v[4:5], v[4:5], 0, v[8:9]
	v_mov_b32_e32 v15, s9
	v_cndmask_b32_e64 v10, 0, 1, vcc
	v_cmp_gt_i32_e32 vcc, v1, v25
	v_lshl_add_u64 v[4:5], v[4:5], 0, v[10:11]
	v_mov_b32_e32 v17, s9
	v_cndmask_b32_e64 v12, 0, 1, vcc
	s_waitcnt lgkmcnt(1)
	v_cmp_gt_i32_e32 vcc, v1, v26
	v_lshl_add_u64 v[4:5], v[4:5], 0, v[12:13]
	;; [unrolled: 9-line block ×3, first 2 shown]
	s_add_i32 s12, s12, 8
	v_cndmask_b32_e64 v18, 0, 1, vcc
	v_cmp_gt_i32_e32 vcc, v1, v29
	s_add_i32 s13, s13, 32
	v_lshl_add_u64 v[4:5], v[4:5], 0, v[18:19]
	v_cndmask_b32_e64 v20, 0, 1, vcc
	s_cmp_eq_u32 s11, s12
	v_lshl_add_u64 v[4:5], v[4:5], 0, v[20:21]
	s_cbranch_scc0 .LBB193_78
; %bb.79:                               ;   in Loop: Header=BB193_76 Depth=1
	s_mov_b32 s12, s11
.LBB193_80:                             ;   in Loop: Header=BB193_76 Depth=1
	s_and_b64 vcc, exec, s[2:3]
	s_cbranch_vccnz .LBB193_75
; %bb.81:                               ;   in Loop: Header=BB193_76 Depth=1
	s_lshl_b32 s12, s12, 2
	s_add_i32 s12, s12, 0
	s_mov_b32 s13, s10
.LBB193_82:                             ;   Parent Loop BB193_76 Depth=1
                                        ; =>  This Inner Loop Header: Depth=2
	v_mov_b32_e32 v6, s12
	ds_read_b32 v6, v6
	v_mov_b32_e32 v7, s9
	s_add_i32 s12, s12, 4
	s_add_i32 s13, s13, -1
	s_cmp_lg_u32 s13, 0
	s_waitcnt lgkmcnt(0)
	v_cmp_gt_i32_e32 vcc, v1, v6
	s_nop 1
	v_cndmask_b32_e64 v6, 0, 1, vcc
	v_lshl_add_u64 v[4:5], v[4:5], 0, v[6:7]
	s_cbranch_scc1 .LBB193_82
	s_branch .LBB193_75
.LBB193_83:
	s_endpgm
	.section	.rodata,"a",@progbits
	.p2align	6, 0x0
	.amdhsa_kernel _ZN9rocsparseL41csrgemm_numeric_fill_block_per_row_kernelILj1024ELj64ELj8192ELj137ELj64ElidEEvT5_PKS1_S3_NS_24const_host_device_scalarIT6_EEPKT4_S3_PKS5_S9_S3_SB_S6_S9_S3_SB_S9_S3_PS5_21rocsparse_index_base_SD_SD_SD_bbb
		.amdhsa_group_segment_fixed_size 0
		.amdhsa_private_segment_fixed_size 0
		.amdhsa_kernarg_size 156
		.amdhsa_user_sgpr_count 2
		.amdhsa_user_sgpr_dispatch_ptr 0
		.amdhsa_user_sgpr_queue_ptr 0
		.amdhsa_user_sgpr_kernarg_segment_ptr 1
		.amdhsa_user_sgpr_dispatch_id 0
		.amdhsa_user_sgpr_kernarg_preload_length 0
		.amdhsa_user_sgpr_kernarg_preload_offset 0
		.amdhsa_user_sgpr_private_segment_size 0
		.amdhsa_uses_dynamic_stack 0
		.amdhsa_enable_private_segment 0
		.amdhsa_system_sgpr_workgroup_id_x 1
		.amdhsa_system_sgpr_workgroup_id_y 0
		.amdhsa_system_sgpr_workgroup_id_z 0
		.amdhsa_system_sgpr_workgroup_info 0
		.amdhsa_system_vgpr_workitem_id 0
		.amdhsa_next_free_vgpr 30
		.amdhsa_next_free_sgpr 61
		.amdhsa_accum_offset 32
		.amdhsa_reserve_vcc 1
		.amdhsa_float_round_mode_32 0
		.amdhsa_float_round_mode_16_64 0
		.amdhsa_float_denorm_mode_32 3
		.amdhsa_float_denorm_mode_16_64 3
		.amdhsa_dx10_clamp 1
		.amdhsa_ieee_mode 1
		.amdhsa_fp16_overflow 0
		.amdhsa_tg_split 0
		.amdhsa_exception_fp_ieee_invalid_op 0
		.amdhsa_exception_fp_denorm_src 0
		.amdhsa_exception_fp_ieee_div_zero 0
		.amdhsa_exception_fp_ieee_overflow 0
		.amdhsa_exception_fp_ieee_underflow 0
		.amdhsa_exception_fp_ieee_inexact 0
		.amdhsa_exception_int_div_zero 0
	.end_amdhsa_kernel
	.section	.text._ZN9rocsparseL41csrgemm_numeric_fill_block_per_row_kernelILj1024ELj64ELj8192ELj137ELj64ElidEEvT5_PKS1_S3_NS_24const_host_device_scalarIT6_EEPKT4_S3_PKS5_S9_S3_SB_S6_S9_S3_SB_S9_S3_PS5_21rocsparse_index_base_SD_SD_SD_bbb,"axG",@progbits,_ZN9rocsparseL41csrgemm_numeric_fill_block_per_row_kernelILj1024ELj64ELj8192ELj137ELj64ElidEEvT5_PKS1_S3_NS_24const_host_device_scalarIT6_EEPKT4_S3_PKS5_S9_S3_SB_S6_S9_S3_SB_S9_S3_PS5_21rocsparse_index_base_SD_SD_SD_bbb,comdat
.Lfunc_end193:
	.size	_ZN9rocsparseL41csrgemm_numeric_fill_block_per_row_kernelILj1024ELj64ELj8192ELj137ELj64ElidEEvT5_PKS1_S3_NS_24const_host_device_scalarIT6_EEPKT4_S3_PKS5_S9_S3_SB_S6_S9_S3_SB_S9_S3_PS5_21rocsparse_index_base_SD_SD_SD_bbb, .Lfunc_end193-_ZN9rocsparseL41csrgemm_numeric_fill_block_per_row_kernelILj1024ELj64ELj8192ELj137ELj64ElidEEvT5_PKS1_S3_NS_24const_host_device_scalarIT6_EEPKT4_S3_PKS5_S9_S3_SB_S6_S9_S3_SB_S9_S3_PS5_21rocsparse_index_base_SD_SD_SD_bbb
                                        ; -- End function
	.set _ZN9rocsparseL41csrgemm_numeric_fill_block_per_row_kernelILj1024ELj64ELj8192ELj137ELj64ElidEEvT5_PKS1_S3_NS_24const_host_device_scalarIT6_EEPKT4_S3_PKS5_S9_S3_SB_S6_S9_S3_SB_S9_S3_PS5_21rocsparse_index_base_SD_SD_SD_bbb.num_vgpr, 30
	.set _ZN9rocsparseL41csrgemm_numeric_fill_block_per_row_kernelILj1024ELj64ELj8192ELj137ELj64ElidEEvT5_PKS1_S3_NS_24const_host_device_scalarIT6_EEPKT4_S3_PKS5_S9_S3_SB_S6_S9_S3_SB_S9_S3_PS5_21rocsparse_index_base_SD_SD_SD_bbb.num_agpr, 0
	.set _ZN9rocsparseL41csrgemm_numeric_fill_block_per_row_kernelILj1024ELj64ELj8192ELj137ELj64ElidEEvT5_PKS1_S3_NS_24const_host_device_scalarIT6_EEPKT4_S3_PKS5_S9_S3_SB_S6_S9_S3_SB_S9_S3_PS5_21rocsparse_index_base_SD_SD_SD_bbb.numbered_sgpr, 61
	.set _ZN9rocsparseL41csrgemm_numeric_fill_block_per_row_kernelILj1024ELj64ELj8192ELj137ELj64ElidEEvT5_PKS1_S3_NS_24const_host_device_scalarIT6_EEPKT4_S3_PKS5_S9_S3_SB_S6_S9_S3_SB_S9_S3_PS5_21rocsparse_index_base_SD_SD_SD_bbb.num_named_barrier, 0
	.set _ZN9rocsparseL41csrgemm_numeric_fill_block_per_row_kernelILj1024ELj64ELj8192ELj137ELj64ElidEEvT5_PKS1_S3_NS_24const_host_device_scalarIT6_EEPKT4_S3_PKS5_S9_S3_SB_S6_S9_S3_SB_S9_S3_PS5_21rocsparse_index_base_SD_SD_SD_bbb.private_seg_size, 0
	.set _ZN9rocsparseL41csrgemm_numeric_fill_block_per_row_kernelILj1024ELj64ELj8192ELj137ELj64ElidEEvT5_PKS1_S3_NS_24const_host_device_scalarIT6_EEPKT4_S3_PKS5_S9_S3_SB_S6_S9_S3_SB_S9_S3_PS5_21rocsparse_index_base_SD_SD_SD_bbb.uses_vcc, 1
	.set _ZN9rocsparseL41csrgemm_numeric_fill_block_per_row_kernelILj1024ELj64ELj8192ELj137ELj64ElidEEvT5_PKS1_S3_NS_24const_host_device_scalarIT6_EEPKT4_S3_PKS5_S9_S3_SB_S6_S9_S3_SB_S9_S3_PS5_21rocsparse_index_base_SD_SD_SD_bbb.uses_flat_scratch, 0
	.set _ZN9rocsparseL41csrgemm_numeric_fill_block_per_row_kernelILj1024ELj64ELj8192ELj137ELj64ElidEEvT5_PKS1_S3_NS_24const_host_device_scalarIT6_EEPKT4_S3_PKS5_S9_S3_SB_S6_S9_S3_SB_S9_S3_PS5_21rocsparse_index_base_SD_SD_SD_bbb.has_dyn_sized_stack, 0
	.set _ZN9rocsparseL41csrgemm_numeric_fill_block_per_row_kernelILj1024ELj64ELj8192ELj137ELj64ElidEEvT5_PKS1_S3_NS_24const_host_device_scalarIT6_EEPKT4_S3_PKS5_S9_S3_SB_S6_S9_S3_SB_S9_S3_PS5_21rocsparse_index_base_SD_SD_SD_bbb.has_recursion, 0
	.set _ZN9rocsparseL41csrgemm_numeric_fill_block_per_row_kernelILj1024ELj64ELj8192ELj137ELj64ElidEEvT5_PKS1_S3_NS_24const_host_device_scalarIT6_EEPKT4_S3_PKS5_S9_S3_SB_S6_S9_S3_SB_S9_S3_PS5_21rocsparse_index_base_SD_SD_SD_bbb.has_indirect_call, 0
	.section	.AMDGPU.csdata,"",@progbits
; Kernel info:
; codeLenInByte = 3288
; TotalNumSgprs: 67
; NumVgprs: 30
; NumAgprs: 0
; TotalNumVgprs: 30
; ScratchSize: 0
; MemoryBound: 0
; FloatMode: 240
; IeeeMode: 1
; LDSByteSize: 0 bytes/workgroup (compile time only)
; SGPRBlocks: 8
; VGPRBlocks: 3
; NumSGPRsForWavesPerEU: 67
; NumVGPRsForWavesPerEU: 30
; AccumOffset: 32
; Occupancy: 8
; WaveLimiterHint : 1
; COMPUTE_PGM_RSRC2:SCRATCH_EN: 0
; COMPUTE_PGM_RSRC2:USER_SGPR: 2
; COMPUTE_PGM_RSRC2:TRAP_HANDLER: 0
; COMPUTE_PGM_RSRC2:TGID_X_EN: 1
; COMPUTE_PGM_RSRC2:TGID_Y_EN: 0
; COMPUTE_PGM_RSRC2:TGID_Z_EN: 0
; COMPUTE_PGM_RSRC2:TIDIG_COMP_CNT: 0
; COMPUTE_PGM_RSRC3_GFX90A:ACCUM_OFFSET: 7
; COMPUTE_PGM_RSRC3_GFX90A:TG_SPLIT: 0
	.section	.text._ZN9rocsparseL41csrgemm_numeric_fill_block_per_row_kernelILj1024ELj64ELj16384ELj137ELj32ElidEEvT5_PKS1_S3_NS_24const_host_device_scalarIT6_EEPKT4_S3_PKS5_S9_S3_SB_S6_S9_S3_SB_S9_S3_PS5_21rocsparse_index_base_SD_SD_SD_bbb,"axG",@progbits,_ZN9rocsparseL41csrgemm_numeric_fill_block_per_row_kernelILj1024ELj64ELj16384ELj137ELj32ElidEEvT5_PKS1_S3_NS_24const_host_device_scalarIT6_EEPKT4_S3_PKS5_S9_S3_SB_S6_S9_S3_SB_S9_S3_PS5_21rocsparse_index_base_SD_SD_SD_bbb,comdat
	.globl	_ZN9rocsparseL41csrgemm_numeric_fill_block_per_row_kernelILj1024ELj64ELj16384ELj137ELj32ElidEEvT5_PKS1_S3_NS_24const_host_device_scalarIT6_EEPKT4_S3_PKS5_S9_S3_SB_S6_S9_S3_SB_S9_S3_PS5_21rocsparse_index_base_SD_SD_SD_bbb ; -- Begin function _ZN9rocsparseL41csrgemm_numeric_fill_block_per_row_kernelILj1024ELj64ELj16384ELj137ELj32ElidEEvT5_PKS1_S3_NS_24const_host_device_scalarIT6_EEPKT4_S3_PKS5_S9_S3_SB_S6_S9_S3_SB_S9_S3_PS5_21rocsparse_index_base_SD_SD_SD_bbb
	.p2align	8
	.type	_ZN9rocsparseL41csrgemm_numeric_fill_block_per_row_kernelILj1024ELj64ELj16384ELj137ELj32ElidEEvT5_PKS1_S3_NS_24const_host_device_scalarIT6_EEPKT4_S3_PKS5_S9_S3_SB_S6_S9_S3_SB_S9_S3_PS5_21rocsparse_index_base_SD_SD_SD_bbb,@function
_ZN9rocsparseL41csrgemm_numeric_fill_block_per_row_kernelILj1024ELj64ELj16384ELj137ELj32ElidEEvT5_PKS1_S3_NS_24const_host_device_scalarIT6_EEPKT4_S3_PKS5_S9_S3_SB_S6_S9_S3_SB_S9_S3_PS5_21rocsparse_index_base_SD_SD_SD_bbb: ; @_ZN9rocsparseL41csrgemm_numeric_fill_block_per_row_kernelILj1024ELj64ELj16384ELj137ELj32ElidEEvT5_PKS1_S3_NS_24const_host_device_scalarIT6_EEPKT4_S3_PKS5_S9_S3_SB_S6_S9_S3_SB_S9_S3_PS5_21rocsparse_index_base_SD_SD_SD_bbb
; %bb.0:
	s_load_dword s3, s[0:1], 0x98
	s_load_dwordx4 s[68:71], s[0:1], 0x88
	s_load_dwordx2 s[4:5], s[0:1], 0x18
	s_load_dwordx2 s[24:25], s[0:1], 0x50
	s_waitcnt lgkmcnt(0)
	s_bitcmp1_b32 s3, 0
	s_cselect_b64 s[22:23], -1, 0
	s_bitcmp1_b32 s3, 16
	s_cselect_b64 s[26:27], -1, 0
	s_xor_b64 s[6:7], s[22:23], -1
	s_or_b64 s[6:7], s[26:27], s[6:7]
	s_and_b64 s[8:9], s[22:23], exec
	s_cselect_b32 s9, s5, 0
	s_cselect_b32 s8, s4, 0
	s_and_b64 vcc, exec, s[6:7]
	v_mov_b64_e32 v[4:5], s[8:9]
	s_cbranch_vccnz .LBB194_2
; %bb.1:
	v_mov_b64_e32 v[2:3], s[4:5]
	flat_load_dwordx2 v[4:5], v[2:3]
.LBB194_2:
	s_load_dwordx2 s[4:5], s[0:1], 0x80
                                        ; implicit-def: $vgpr30 : SGPR spill to VGPR lane
	s_bitcmp1_b32 s3, 8
	s_cselect_b64 s[20:21], -1, 0
	s_xor_b64 s[28:29], s[20:21], -1
	s_or_b64 s[26:27], s[26:27], s[28:29]
	s_waitcnt lgkmcnt(0)
	v_writelane_b32 v30, s4, 0
	s_and_b64 s[28:29], s[20:21], exec
	s_cselect_b32 s29, s25, 0
	v_writelane_b32 v30, s5, 1
	s_load_dwordx8 s[4:11], s[0:1], 0x58
	s_cselect_b32 s28, s24, 0
	s_and_b64 vcc, exec, s[26:27]
	v_mov_b64_e32 v[2:3], s[28:29]
	s_waitcnt lgkmcnt(0)
	v_writelane_b32 v30, s4, 2
	s_nop 1
	v_writelane_b32 v30, s5, 3
	v_writelane_b32 v30, s6, 4
	;; [unrolled: 1-line block ×7, first 2 shown]
	s_load_dwordx4 s[12:15], s[0:1], 0x40
	s_load_dwordx4 s[16:19], s[0:1], 0x8
	s_load_dwordx8 s[4:11], s[0:1], 0x20
	s_cbranch_vccnz .LBB194_4
; %bb.3:
	v_mov_b64_e32 v[2:3], s[24:25]
	flat_load_dwordx2 v[2:3], v[2:3]
.LBB194_4:
	s_load_dword s33, s[0:1], 0x0
	v_lshl_add_u32 v7, v0, 3, 0
	v_or_b32_e32 v1, 0xfffffc00, v0
	v_mov_b32_e32 v6, 0
	v_add_u32_e32 v18, 0x10000, v7
	v_lshl_add_u32 v19, v0, 2, 0
	s_mov_b64 s[0:1], 0
	s_waitcnt lgkmcnt(0)
	v_mov_b32_e32 v11, s33
	v_mov_b32_e32 v7, v6
	s_movk_i32 s3, 0x3bff
	v_mov_b32_e32 v8, v19
	v_mov_b32_e32 v9, v18
	v_mov_b32_e32 v10, v1
.LBB194_5:                              ; =>This Inner Loop Header: Depth=1
	v_add_u32_e32 v10, 0x400, v10
	v_cmp_lt_u32_e32 vcc, s3, v10
	ds_write_b32 v8, v11
	ds_write_b64 v9, v[6:7]
	v_add_u32_e32 v9, 0x2000, v9
	s_or_b64 s[0:1], vcc, s[0:1]
	v_add_u32_e32 v8, 0x1000, v8
	s_andn2_b64 exec, exec, s[0:1]
	s_cbranch_execnz .LBB194_5
; %bb.6:
	s_or_b64 exec, exec, s[0:1]
	s_waitcnt lgkmcnt(0)
	s_barrier
	s_load_dword s0, s[16:17], 0x0
	s_mov_b32 s1, 0
	s_waitcnt lgkmcnt(0)
	s_add_i32 s0, s0, s2
	s_lshl_b64 s[0:1], s[0:1], 2
	s_add_u32 s0, s18, s0
	s_addc_u32 s1, s19, s1
	s_load_dword s0, s[0:1], 0x0
	s_and_b64 vcc, exec, s[22:23]
	s_waitcnt lgkmcnt(0)
	v_writelane_b32 v30, s0, 10
	s_nop 1
	v_writelane_b32 v30, s1, 11
	s_cbranch_vccz .LBB194_24
; %bb.7:
	v_readlane_b32 s0, v30, 10
	v_readlane_b32 s1, v30, 11
	s_mov_b32 s2, s0
	s_ashr_i32 s3, s0, 31
	v_writelane_b32 v30, s0, 10
	v_lshrrev_b32_e32 v6, 6, v0
	v_subrev_co_u32_e32 v6, vcc, s68, v6
	v_writelane_b32 v30, s1, 11
	s_lshl_b64 s[0:1], s[2:3], 3
	s_add_u32 s0, s4, s0
	s_addc_u32 s1, s5, s1
	s_load_dwordx4 s[16:19], s[0:1], 0x0
	v_subb_co_u32_e64 v7, s[2:3], 0, 0, vcc
	s_waitcnt lgkmcnt(0)
	s_sub_u32 s0, s18, s68
	s_subb_u32 s1, s19, 0
	v_lshl_add_u64 v[6:7], s[16:17], 0, v[6:7]
	v_cmp_gt_i64_e32 vcc, s[0:1], v[6:7]
	s_and_saveexec_b64 s[2:3], vcc
	s_cbranch_execz .LBB194_23
; %bb.8:
	v_and_b32_e32 v8, 63, v0
	v_subrev_co_u32_e32 v8, vcc, s69, v8
	s_mov_b32 s34, s69
	s_nop 0
	v_subb_co_u32_e64 v9, s[4:5], 0, 0, vcc
	s_mov_b64 s[4:5], 0
	s_movk_i32 s35, 0x89
	s_branch .LBB194_10
.LBB194_9:                              ;   in Loop: Header=BB194_10 Depth=1
	s_or_b64 exec, exec, s[16:17]
	v_lshl_add_u64 v[6:7], v[6:7], 0, 16
	v_cmp_le_i64_e32 vcc, s[0:1], v[6:7]
	s_or_b64 s[4:5], vcc, s[4:5]
	s_andn2_b64 exec, exec, s[4:5]
	s_cbranch_execz .LBB194_23
.LBB194_10:                             ; =>This Loop Header: Depth=1
                                        ;     Child Loop BB194_14 Depth 2
                                        ;       Child Loop BB194_17 Depth 3
	v_lshl_add_u64 v[10:11], v[6:7], 2, s[6:7]
	global_load_dword v10, v[10:11], off
	s_waitcnt vmcnt(0)
	v_subrev_u32_e32 v10, s68, v10
	v_ashrrev_i32_e32 v11, 31, v10
	v_lshl_add_u64 v[10:11], v[10:11], 3, s[10:11]
	global_load_dwordx4 v[12:15], v[10:11], off
	s_waitcnt vmcnt(0)
	v_subrev_co_u32_e32 v10, vcc, s34, v14
	s_nop 1
	v_subbrev_co_u32_e32 v11, vcc, 0, v15, vcc
	v_lshl_add_u64 v[12:13], v[12:13], 0, v[8:9]
	v_cmp_lt_i64_e32 vcc, v[12:13], v[10:11]
	s_and_saveexec_b64 s[16:17], vcc
	s_cbranch_execz .LBB194_9
; %bb.11:                               ;   in Loop: Header=BB194_10 Depth=1
	v_lshl_add_u64 v[14:15], v[6:7], 3, s[8:9]
	global_load_dwordx2 v[14:15], v[14:15], off
	s_mov_b64 s[18:19], 0
	s_waitcnt vmcnt(0)
	v_mul_f64 v[14:15], v[4:5], v[14:15]
	s_branch .LBB194_14
.LBB194_12:                             ;   in Loop: Header=BB194_14 Depth=2
	s_or_b64 exec, exec, s[24:25]
.LBB194_13:                             ;   in Loop: Header=BB194_14 Depth=2
	s_or_b64 exec, exec, s[22:23]
	v_lshl_add_u32 v20, v20, 3, 0
	s_waitcnt vmcnt(0)
	v_mul_f64 v[16:17], v[14:15], v[16:17]
	v_add_u32_e32 v20, 0x10000, v20
	ds_add_f64 v20, v[16:17]
	v_lshl_add_u64 v[12:13], v[12:13], 0, 64
	v_cmp_ge_i64_e32 vcc, v[12:13], v[10:11]
	s_or_b64 s[18:19], vcc, s[18:19]
	s_andn2_b64 exec, exec, s[18:19]
	s_cbranch_execz .LBB194_9
.LBB194_14:                             ;   Parent Loop BB194_10 Depth=1
                                        ; =>  This Loop Header: Depth=2
                                        ;       Child Loop BB194_17 Depth 3
	v_lshl_add_u64 v[16:17], v[12:13], 2, s[12:13]
	global_load_dword v20, v[16:17], off
	v_lshl_add_u64 v[16:17], v[12:13], 3, s[14:15]
	global_load_dwordx2 v[16:17], v[16:17], off
	s_waitcnt vmcnt(1)
	v_subrev_u32_e32 v21, s69, v20
	v_mul_lo_u32 v20, v21, s35
	v_and_b32_e32 v20, 0x3fff, v20
	v_lshl_add_u32 v22, v20, 2, 0
	ds_read_b32 v23, v22
	s_waitcnt lgkmcnt(0)
	v_cmp_ne_u32_e32 vcc, v23, v21
	s_and_saveexec_b64 s[22:23], vcc
	s_cbranch_execz .LBB194_13
; %bb.15:                               ;   in Loop: Header=BB194_14 Depth=2
	s_mov_b64 s[24:25], 0
	s_branch .LBB194_17
.LBB194_16:                             ;   in Loop: Header=BB194_17 Depth=3
	s_or_b64 exec, exec, s[30:31]
	s_and_b64 s[26:27], exec, s[28:29]
	s_or_b64 s[24:25], s[26:27], s[24:25]
	s_andn2_b64 exec, exec, s[24:25]
	s_cbranch_execz .LBB194_12
.LBB194_17:                             ;   Parent Loop BB194_10 Depth=1
                                        ;     Parent Loop BB194_14 Depth=2
                                        ; =>    This Inner Loop Header: Depth=3
	v_cmp_ne_u32_e32 vcc, s33, v23
	s_mov_b64 s[26:27], 0
	s_and_saveexec_b64 s[28:29], vcc
	s_xor_b64 s[28:29], exec, s[28:29]
	s_cbranch_execz .LBB194_19
; %bb.18:                               ;   in Loop: Header=BB194_17 Depth=3
	v_add_u32_e32 v20, 1, v20
	s_mov_b64 s[26:27], exec
	v_and_b32_e32 v20, 0x3fff, v20
                                        ; implicit-def: $vgpr22
	s_andn2_saveexec_b64 s[28:29], s[28:29]
	s_cbranch_execz .LBB194_21
	s_branch .LBB194_20
.LBB194_19:                             ;   in Loop: Header=BB194_17 Depth=3
	s_andn2_saveexec_b64 s[28:29], s[28:29]
	s_cbranch_execz .LBB194_21
.LBB194_20:                             ;   in Loop: Header=BB194_17 Depth=3
	v_mov_b32_e32 v23, s33
	ds_cmpst_rtn_b32 v22, v22, v23, v21
	s_andn2_b64 s[26:27], s[26:27], exec
	s_waitcnt lgkmcnt(0)
	v_cmp_ne_u32_e32 vcc, s33, v22
	s_and_b64 s[30:31], vcc, exec
	s_or_b64 s[26:27], s[26:27], s[30:31]
.LBB194_21:                             ;   in Loop: Header=BB194_17 Depth=3
	s_or_b64 exec, exec, s[28:29]
	s_mov_b64 s[28:29], -1
                                        ; implicit-def: $vgpr22
                                        ; implicit-def: $vgpr23
	s_and_saveexec_b64 s[30:31], s[26:27]
	s_cbranch_execz .LBB194_16
; %bb.22:                               ;   in Loop: Header=BB194_17 Depth=3
	v_lshl_add_u32 v22, v20, 2, 0
	ds_read_b32 v23, v22
	s_waitcnt lgkmcnt(0)
	v_cmp_eq_u32_e32 vcc, v23, v21
	s_orn2_b64 s[28:29], vcc, exec
	s_branch .LBB194_16
.LBB194_23:
	s_or_b64 exec, exec, s[2:3]
.LBB194_24:
	s_andn2_b64 vcc, exec, s[20:21]
	s_cbranch_vccnz .LBB194_39
; %bb.25:
	v_readlane_b32 s0, v30, 10
	v_readlane_b32 s1, v30, 11
	s_mov_b32 s2, s0
	s_ashr_i32 s3, s0, 31
	v_writelane_b32 v30, s0, 10
	s_waitcnt vmcnt(0)
	v_subrev_co_u32_e32 v4, vcc, s71, v0
	v_writelane_b32 v30, s1, 11
	s_lshl_b64 s[0:1], s[2:3], 3
	v_readlane_b32 s4, v30, 2
	v_readlane_b32 s5, v30, 3
	s_add_u32 s0, s4, s0
	v_readlane_b32 s6, v30, 4
	v_readlane_b32 s7, v30, 5
	s_addc_u32 s1, s5, s1
	s_load_dwordx4 s[4:7], s[0:1], 0x0
	v_subb_co_u32_e64 v5, s[0:1], 0, 0, vcc
	v_readlane_b32 s8, v30, 6
	v_readlane_b32 s9, v30, 7
	s_waitcnt lgkmcnt(0)
	s_sub_u32 s0, s6, s71
	s_subb_u32 s1, s7, 0
	v_lshl_add_u64 v[4:5], s[4:5], 0, v[4:5]
	v_cmp_gt_i64_e32 vcc, s[0:1], v[4:5]
	v_readlane_b32 s10, v30, 8
	v_readlane_b32 s11, v30, 9
	s_and_saveexec_b64 s[2:3], vcc
	s_cbranch_execz .LBB194_38
; %bb.26:
	s_mov_b64 s[4:5], 0
	s_movk_i32 s18, 0x89
	s_mov_b64 s[6:7], 0x400
	s_branch .LBB194_29
.LBB194_27:                             ;   in Loop: Header=BB194_29 Depth=1
	s_or_b64 exec, exec, s[10:11]
.LBB194_28:                             ;   in Loop: Header=BB194_29 Depth=1
	s_or_b64 exec, exec, s[8:9]
	v_lshl_add_u32 v8, v8, 3, 0
	s_waitcnt vmcnt(0)
	v_mul_f64 v[6:7], v[2:3], v[6:7]
	v_add_u32_e32 v8, 0x10000, v8
	ds_add_f64 v8, v[6:7]
	v_lshl_add_u64 v[4:5], v[4:5], 0, s[6:7]
	v_cmp_le_i64_e32 vcc, s[0:1], v[4:5]
	s_or_b64 s[4:5], vcc, s[4:5]
	s_andn2_b64 exec, exec, s[4:5]
	s_cbranch_execz .LBB194_38
.LBB194_29:                             ; =>This Loop Header: Depth=1
                                        ;     Child Loop BB194_32 Depth 2
	v_readlane_b32 s8, v30, 2
	v_readlane_b32 s10, v30, 4
	;; [unrolled: 1-line block ×5, first 2 shown]
	v_lshl_add_u64 v[6:7], v[4:5], 2, s[10:11]
	global_load_dword v8, v[6:7], off
	v_lshl_add_u64 v[6:7], v[4:5], 3, s[12:13]
	global_load_dwordx2 v[6:7], v[6:7], off
	v_readlane_b32 s9, v30, 3
	v_readlane_b32 s14, v30, 8
	;; [unrolled: 1-line block ×3, first 2 shown]
	s_waitcnt vmcnt(1)
	v_subrev_u32_e32 v9, s71, v8
	v_mul_lo_u32 v8, v9, s18
	v_and_b32_e32 v8, 0x3fff, v8
	v_lshl_add_u32 v10, v8, 2, 0
	ds_read_b32 v11, v10
	s_waitcnt lgkmcnt(0)
	v_cmp_ne_u32_e32 vcc, v11, v9
	s_and_saveexec_b64 s[8:9], vcc
	s_cbranch_execz .LBB194_28
; %bb.30:                               ;   in Loop: Header=BB194_29 Depth=1
	s_mov_b64 s[10:11], 0
	s_branch .LBB194_32
.LBB194_31:                             ;   in Loop: Header=BB194_32 Depth=2
	s_or_b64 exec, exec, s[16:17]
	s_and_b64 s[12:13], exec, s[14:15]
	s_or_b64 s[10:11], s[12:13], s[10:11]
	s_andn2_b64 exec, exec, s[10:11]
	s_cbranch_execz .LBB194_27
.LBB194_32:                             ;   Parent Loop BB194_29 Depth=1
                                        ; =>  This Inner Loop Header: Depth=2
	v_cmp_ne_u32_e32 vcc, s33, v11
	s_mov_b64 s[12:13], 0
	s_and_saveexec_b64 s[14:15], vcc
	s_xor_b64 s[14:15], exec, s[14:15]
	s_cbranch_execz .LBB194_34
; %bb.33:                               ;   in Loop: Header=BB194_32 Depth=2
	v_add_u32_e32 v8, 1, v8
	s_mov_b64 s[12:13], exec
	v_and_b32_e32 v8, 0x3fff, v8
                                        ; implicit-def: $vgpr10
	s_andn2_saveexec_b64 s[14:15], s[14:15]
	s_cbranch_execz .LBB194_36
	s_branch .LBB194_35
.LBB194_34:                             ;   in Loop: Header=BB194_32 Depth=2
	s_andn2_saveexec_b64 s[14:15], s[14:15]
	s_cbranch_execz .LBB194_36
.LBB194_35:                             ;   in Loop: Header=BB194_32 Depth=2
	v_mov_b32_e32 v11, s33
	ds_cmpst_rtn_b32 v10, v10, v11, v9
	s_andn2_b64 s[12:13], s[12:13], exec
	s_waitcnt lgkmcnt(0)
	v_cmp_ne_u32_e32 vcc, s33, v10
	s_and_b64 s[16:17], vcc, exec
	s_or_b64 s[12:13], s[12:13], s[16:17]
.LBB194_36:                             ;   in Loop: Header=BB194_32 Depth=2
	s_or_b64 exec, exec, s[14:15]
	s_mov_b64 s[14:15], -1
                                        ; implicit-def: $vgpr10
                                        ; implicit-def: $vgpr11
	s_and_saveexec_b64 s[16:17], s[12:13]
	s_cbranch_execz .LBB194_31
; %bb.37:                               ;   in Loop: Header=BB194_32 Depth=2
	v_lshl_add_u32 v10, v8, 2, 0
	ds_read_b32 v11, v10
	s_waitcnt lgkmcnt(0)
	v_cmp_eq_u32_e32 vcc, v11, v9
	s_orn2_b64 s[14:15], vcc, exec
	s_branch .LBB194_31
.LBB194_38:
	s_or_b64 exec, exec, s[2:3]
.LBB194_39:
	s_add_i32 s0, 0, 0x30000
	s_waitcnt vmcnt(0)
	v_lshrrev_b32_e32 v4, 3, v0
	v_writelane_b32 v30, s0, 12
	s_add_i32 s60, 0, 0x30004
	v_mbcnt_lo_u32_b32 v2, -1, 0
	v_and_b32_e32 v4, 0x7c, v4
	v_writelane_b32 v30, s60, 13
	s_add_i32 s60, 0, 0x30008
	v_mbcnt_hi_u32_b32 v2, -1, v2
	v_add_u32_e32 v6, s0, v4
	s_movk_i32 s0, 0x3ff
	v_writelane_b32 v30, s60, 14
	s_add_i32 s60, 0, 0x3000c
	v_sub_u32_e32 v2, 63, v2
	v_cmp_eq_u32_e32 vcc, s0, v0
	s_movk_i32 s0, 0x5f
	s_movk_i32 s2, 0x7f
	;; [unrolled: 1-line block ×29, first 2 shown]
	v_writelane_b32 v30, s60, 15
	s_add_i32 s60, 0, 0x30014
	v_lshrrev_b64 v[2:3], v2, -1
	v_cmp_lt_u32_e64 s[0:1], s0, v0
	v_cmp_lt_u32_e64 s[2:3], s2, v0
	;; [unrolled: 1-line block ×29, first 2 shown]
	v_mov_b32_e32 v7, 0
	s_add_i32 s79, 0, 0x30010
	v_writelane_b32 v30, s60, 16
	s_add_i32 s82, 0, 0x30018
	s_add_i32 s83, 0, 0x3001c
	;; [unrolled: 1-line block ×26, first 2 shown]
	v_cmp_lt_u32_e64 s[60:61], 31, v0
	v_cmp_lt_u32_e64 s[62:63], 63, v0
	s_mov_b64 s[68:69], 0
	s_waitcnt lgkmcnt(0)
	s_barrier
	s_branch .LBB194_41
.LBB194_40:                             ;   in Loop: Header=BB194_41 Depth=1
	s_or_b64 exec, exec, s[64:65]
	v_mov_b32_e32 v4, s78
	s_waitcnt lgkmcnt(0)
	s_barrier
	ds_read_b32 v4, v4
	v_add_u32_e32 v1, 0x400, v1
	s_movk_i32 s64, 0x3bff
	v_cmp_lt_u32_e64 s[64:65], s64, v1
	v_add_u32_e32 v18, 0x2000, v18
	s_waitcnt lgkmcnt(0)
	v_add_u32_e32 v7, v4, v7
	s_or_b64 s[68:69], s[64:65], s[68:69]
	v_add_u32_e32 v19, 0x1000, v19
	s_andn2_b64 exec, exec, s[68:69]
	s_cbranch_execz .LBB194_107
.LBB194_41:                             ; =>This Inner Loop Header: Depth=1
	ds_read_b32 v8, v19
	ds_read_b64 v[4:5], v18
	s_waitcnt lgkmcnt(0)
	s_barrier
	v_cmp_gt_i32_e64 s[64:65], s33, v8
	s_bcnt1_i32_b64 s76, s[64:65]
	s_nop 0
	v_and_b32_e32 v10, s64, v2
	v_and_b32_e32 v9, s65, v3
	v_bcnt_u32_b32 v10, v10, 0
	v_bcnt_u32_b32 v9, v9, v10
	v_mov_b32_e32 v10, s76
	ds_write_b32 v6, v10
	s_waitcnt lgkmcnt(0)
	s_barrier
	s_and_saveexec_b64 s[76:77], s[60:61]
	s_cbranch_execz .LBB194_74
; %bb.42:                               ;   in Loop: Header=BB194_41 Depth=1
	v_readlane_b32 s80, v30, 12
	s_nop 1
	v_mov_b32_e32 v10, s80
	ds_read_b32 v10, v10
	s_waitcnt lgkmcnt(0)
	v_add_u32_e32 v9, v10, v9
	s_or_b64 exec, exec, s[76:77]
	s_and_saveexec_b64 s[76:77], s[62:63]
	s_cbranch_execnz .LBB194_75
.LBB194_43:                             ;   in Loop: Header=BB194_41 Depth=1
	s_or_b64 exec, exec, s[76:77]
	s_and_saveexec_b64 s[76:77], s[0:1]
	s_cbranch_execz .LBB194_76
.LBB194_44:                             ;   in Loop: Header=BB194_41 Depth=1
	v_readlane_b32 s80, v30, 14
	s_nop 1
	v_mov_b32_e32 v10, s80
	ds_read_b32 v10, v10
	s_waitcnt lgkmcnt(0)
	v_add_u32_e32 v9, v10, v9
	s_or_b64 exec, exec, s[76:77]
	s_and_saveexec_b64 s[76:77], s[2:3]
	s_cbranch_execnz .LBB194_77
.LBB194_45:                             ;   in Loop: Header=BB194_41 Depth=1
	s_or_b64 exec, exec, s[76:77]
	s_and_saveexec_b64 s[76:77], s[4:5]
	s_cbranch_execz .LBB194_78
.LBB194_46:                             ;   in Loop: Header=BB194_41 Depth=1
	v_mov_b32_e32 v10, s79
	ds_read_b32 v10, v10
	s_waitcnt lgkmcnt(0)
	v_add_u32_e32 v9, v10, v9
	s_or_b64 exec, exec, s[76:77]
	s_and_saveexec_b64 s[76:77], s[6:7]
	s_cbranch_execnz .LBB194_79
.LBB194_47:                             ;   in Loop: Header=BB194_41 Depth=1
	s_or_b64 exec, exec, s[76:77]
	s_and_saveexec_b64 s[76:77], s[8:9]
	s_cbranch_execz .LBB194_80
.LBB194_48:                             ;   in Loop: Header=BB194_41 Depth=1
	v_mov_b32_e32 v10, s82
	ds_read_b32 v10, v10
	s_waitcnt lgkmcnt(0)
	v_add_u32_e32 v9, v10, v9
	s_or_b64 exec, exec, s[76:77]
	s_and_saveexec_b64 s[76:77], s[10:11]
	s_cbranch_execnz .LBB194_81
.LBB194_49:                             ;   in Loop: Header=BB194_41 Depth=1
	s_or_b64 exec, exec, s[76:77]
	s_and_saveexec_b64 s[76:77], s[12:13]
	s_cbranch_execz .LBB194_82
.LBB194_50:                             ;   in Loop: Header=BB194_41 Depth=1
	v_mov_b32_e32 v10, s84
	ds_read_b32 v10, v10
	s_waitcnt lgkmcnt(0)
	v_add_u32_e32 v9, v10, v9
	s_or_b64 exec, exec, s[76:77]
	s_and_saveexec_b64 s[76:77], s[14:15]
	s_cbranch_execnz .LBB194_83
.LBB194_51:                             ;   in Loop: Header=BB194_41 Depth=1
	s_or_b64 exec, exec, s[76:77]
	s_and_saveexec_b64 s[76:77], s[16:17]
	s_cbranch_execz .LBB194_84
.LBB194_52:                             ;   in Loop: Header=BB194_41 Depth=1
	v_mov_b32_e32 v10, s86
	ds_read_b32 v10, v10
	s_waitcnt lgkmcnt(0)
	v_add_u32_e32 v9, v10, v9
	s_or_b64 exec, exec, s[76:77]
	s_and_saveexec_b64 s[76:77], s[18:19]
	s_cbranch_execnz .LBB194_85
.LBB194_53:                             ;   in Loop: Header=BB194_41 Depth=1
	s_or_b64 exec, exec, s[76:77]
	s_and_saveexec_b64 s[76:77], s[20:21]
	s_cbranch_execz .LBB194_86
.LBB194_54:                             ;   in Loop: Header=BB194_41 Depth=1
	v_mov_b32_e32 v10, s88
	ds_read_b32 v10, v10
	s_waitcnt lgkmcnt(0)
	v_add_u32_e32 v9, v10, v9
	s_or_b64 exec, exec, s[76:77]
	s_and_saveexec_b64 s[76:77], s[22:23]
	s_cbranch_execnz .LBB194_87
.LBB194_55:                             ;   in Loop: Header=BB194_41 Depth=1
	s_or_b64 exec, exec, s[76:77]
	s_and_saveexec_b64 s[76:77], s[24:25]
	s_cbranch_execz .LBB194_88
.LBB194_56:                             ;   in Loop: Header=BB194_41 Depth=1
	v_mov_b32_e32 v10, s90
	ds_read_b32 v10, v10
	s_waitcnt lgkmcnt(0)
	v_add_u32_e32 v9, v10, v9
	s_or_b64 exec, exec, s[76:77]
	s_and_saveexec_b64 s[76:77], s[26:27]
	s_cbranch_execnz .LBB194_89
.LBB194_57:                             ;   in Loop: Header=BB194_41 Depth=1
	s_or_b64 exec, exec, s[76:77]
	s_and_saveexec_b64 s[76:77], s[28:29]
	s_cbranch_execz .LBB194_90
.LBB194_58:                             ;   in Loop: Header=BB194_41 Depth=1
	v_mov_b32_e32 v10, s92
	ds_read_b32 v10, v10
	s_waitcnt lgkmcnt(0)
	v_add_u32_e32 v9, v10, v9
	s_or_b64 exec, exec, s[76:77]
	s_and_saveexec_b64 s[76:77], s[30:31]
	s_cbranch_execnz .LBB194_91
.LBB194_59:                             ;   in Loop: Header=BB194_41 Depth=1
	s_or_b64 exec, exec, s[76:77]
	s_and_saveexec_b64 s[76:77], s[34:35]
	s_cbranch_execz .LBB194_92
.LBB194_60:                             ;   in Loop: Header=BB194_41 Depth=1
	v_mov_b32_e32 v10, s94
	ds_read_b32 v10, v10
	s_waitcnt lgkmcnt(0)
	v_add_u32_e32 v9, v10, v9
	s_or_b64 exec, exec, s[76:77]
	s_and_saveexec_b64 s[76:77], s[36:37]
	s_cbranch_execnz .LBB194_93
.LBB194_61:                             ;   in Loop: Header=BB194_41 Depth=1
	s_or_b64 exec, exec, s[76:77]
	s_and_saveexec_b64 s[76:77], s[38:39]
	s_cbranch_execz .LBB194_94
.LBB194_62:                             ;   in Loop: Header=BB194_41 Depth=1
	v_mov_b32_e32 v10, s96
	ds_read_b32 v10, v10
	s_waitcnt lgkmcnt(0)
	v_add_u32_e32 v9, v10, v9
	s_or_b64 exec, exec, s[76:77]
	s_and_saveexec_b64 s[76:77], s[40:41]
	s_cbranch_execnz .LBB194_95
.LBB194_63:                             ;   in Loop: Header=BB194_41 Depth=1
	s_or_b64 exec, exec, s[76:77]
	s_and_saveexec_b64 s[76:77], s[42:43]
	s_cbranch_execz .LBB194_96
.LBB194_64:                             ;   in Loop: Header=BB194_41 Depth=1
	v_mov_b32_e32 v10, s98
	ds_read_b32 v10, v10
	s_waitcnt lgkmcnt(0)
	v_add_u32_e32 v9, v10, v9
	s_or_b64 exec, exec, s[76:77]
	s_and_saveexec_b64 s[76:77], s[44:45]
	s_cbranch_execnz .LBB194_97
.LBB194_65:                             ;   in Loop: Header=BB194_41 Depth=1
	s_or_b64 exec, exec, s[76:77]
	s_and_saveexec_b64 s[76:77], s[46:47]
	s_cbranch_execz .LBB194_98
.LBB194_66:                             ;   in Loop: Header=BB194_41 Depth=1
	v_mov_b32_e32 v10, s74
	ds_read_b32 v10, v10
	s_waitcnt lgkmcnt(0)
	v_add_u32_e32 v9, v10, v9
	s_or_b64 exec, exec, s[76:77]
	s_and_saveexec_b64 s[76:77], s[48:49]
	s_cbranch_execnz .LBB194_99
.LBB194_67:                             ;   in Loop: Header=BB194_41 Depth=1
	s_or_b64 exec, exec, s[76:77]
	s_and_saveexec_b64 s[76:77], s[50:51]
	s_cbranch_execz .LBB194_100
.LBB194_68:                             ;   in Loop: Header=BB194_41 Depth=1
	v_mov_b32_e32 v10, s73
	ds_read_b32 v10, v10
	s_waitcnt lgkmcnt(0)
	v_add_u32_e32 v9, v10, v9
	s_or_b64 exec, exec, s[76:77]
	s_and_saveexec_b64 s[76:77], s[52:53]
	s_cbranch_execnz .LBB194_101
.LBB194_69:                             ;   in Loop: Header=BB194_41 Depth=1
	s_or_b64 exec, exec, s[76:77]
	s_and_saveexec_b64 s[76:77], s[54:55]
	s_cbranch_execz .LBB194_102
.LBB194_70:                             ;   in Loop: Header=BB194_41 Depth=1
	v_mov_b32_e32 v10, s67
	ds_read_b32 v10, v10
	s_waitcnt lgkmcnt(0)
	v_add_u32_e32 v9, v10, v9
	s_or_b64 exec, exec, s[76:77]
	s_and_saveexec_b64 s[76:77], s[56:57]
	s_cbranch_execnz .LBB194_103
.LBB194_71:                             ;   in Loop: Header=BB194_41 Depth=1
	s_or_b64 exec, exec, s[76:77]
	s_and_saveexec_b64 s[76:77], s[58:59]
	s_cbranch_execz .LBB194_104
.LBB194_72:                             ;   in Loop: Header=BB194_41 Depth=1
	v_mov_b32_e32 v10, s75
	ds_read_b32 v10, v10
	s_waitcnt lgkmcnt(0)
	v_add_u32_e32 v9, v10, v9
	s_or_b64 exec, exec, s[76:77]
	s_and_saveexec_b64 s[76:77], s[64:65]
	s_cbranch_execnz .LBB194_105
.LBB194_73:                             ;   in Loop: Header=BB194_41 Depth=1
	s_or_b64 exec, exec, s[76:77]
	s_and_saveexec_b64 s[64:65], vcc
	s_cbranch_execz .LBB194_40
	s_branch .LBB194_106
.LBB194_74:                             ;   in Loop: Header=BB194_41 Depth=1
	s_or_b64 exec, exec, s[76:77]
	s_and_saveexec_b64 s[76:77], s[62:63]
	s_cbranch_execz .LBB194_43
.LBB194_75:                             ;   in Loop: Header=BB194_41 Depth=1
	v_readlane_b32 s80, v30, 13
	s_nop 1
	v_mov_b32_e32 v10, s80
	ds_read_b32 v10, v10
	s_waitcnt lgkmcnt(0)
	v_add_u32_e32 v9, v10, v9
	s_or_b64 exec, exec, s[76:77]
	s_and_saveexec_b64 s[76:77], s[0:1]
	s_cbranch_execnz .LBB194_44
.LBB194_76:                             ;   in Loop: Header=BB194_41 Depth=1
	s_or_b64 exec, exec, s[76:77]
	s_and_saveexec_b64 s[76:77], s[2:3]
	s_cbranch_execz .LBB194_45
.LBB194_77:                             ;   in Loop: Header=BB194_41 Depth=1
	v_readlane_b32 s80, v30, 15
	s_nop 1
	v_mov_b32_e32 v10, s80
	ds_read_b32 v10, v10
	s_waitcnt lgkmcnt(0)
	v_add_u32_e32 v9, v10, v9
	s_or_b64 exec, exec, s[76:77]
	s_and_saveexec_b64 s[76:77], s[4:5]
	s_cbranch_execnz .LBB194_46
.LBB194_78:                             ;   in Loop: Header=BB194_41 Depth=1
	s_or_b64 exec, exec, s[76:77]
	s_and_saveexec_b64 s[76:77], s[6:7]
	s_cbranch_execz .LBB194_47
.LBB194_79:                             ;   in Loop: Header=BB194_41 Depth=1
	v_readlane_b32 s80, v30, 16
	s_nop 1
	v_mov_b32_e32 v10, s80
	ds_read_b32 v10, v10
	s_waitcnt lgkmcnt(0)
	v_add_u32_e32 v9, v10, v9
	s_or_b64 exec, exec, s[76:77]
	s_and_saveexec_b64 s[76:77], s[8:9]
	s_cbranch_execnz .LBB194_48
.LBB194_80:                             ;   in Loop: Header=BB194_41 Depth=1
	s_or_b64 exec, exec, s[76:77]
	s_and_saveexec_b64 s[76:77], s[10:11]
	s_cbranch_execz .LBB194_49
.LBB194_81:                             ;   in Loop: Header=BB194_41 Depth=1
	v_mov_b32_e32 v10, s83
	ds_read_b32 v10, v10
	s_waitcnt lgkmcnt(0)
	v_add_u32_e32 v9, v10, v9
	s_or_b64 exec, exec, s[76:77]
	s_and_saveexec_b64 s[76:77], s[12:13]
	s_cbranch_execnz .LBB194_50
.LBB194_82:                             ;   in Loop: Header=BB194_41 Depth=1
	s_or_b64 exec, exec, s[76:77]
	s_and_saveexec_b64 s[76:77], s[14:15]
	s_cbranch_execz .LBB194_51
.LBB194_83:                             ;   in Loop: Header=BB194_41 Depth=1
	v_mov_b32_e32 v10, s85
	ds_read_b32 v10, v10
	s_waitcnt lgkmcnt(0)
	v_add_u32_e32 v9, v10, v9
	s_or_b64 exec, exec, s[76:77]
	s_and_saveexec_b64 s[76:77], s[16:17]
	s_cbranch_execnz .LBB194_52
.LBB194_84:                             ;   in Loop: Header=BB194_41 Depth=1
	s_or_b64 exec, exec, s[76:77]
	s_and_saveexec_b64 s[76:77], s[18:19]
	s_cbranch_execz .LBB194_53
.LBB194_85:                             ;   in Loop: Header=BB194_41 Depth=1
	v_mov_b32_e32 v10, s87
	ds_read_b32 v10, v10
	s_waitcnt lgkmcnt(0)
	v_add_u32_e32 v9, v10, v9
	s_or_b64 exec, exec, s[76:77]
	s_and_saveexec_b64 s[76:77], s[20:21]
	s_cbranch_execnz .LBB194_54
.LBB194_86:                             ;   in Loop: Header=BB194_41 Depth=1
	s_or_b64 exec, exec, s[76:77]
	s_and_saveexec_b64 s[76:77], s[22:23]
	s_cbranch_execz .LBB194_55
.LBB194_87:                             ;   in Loop: Header=BB194_41 Depth=1
	v_mov_b32_e32 v10, s89
	ds_read_b32 v10, v10
	s_waitcnt lgkmcnt(0)
	v_add_u32_e32 v9, v10, v9
	s_or_b64 exec, exec, s[76:77]
	s_and_saveexec_b64 s[76:77], s[24:25]
	s_cbranch_execnz .LBB194_56
.LBB194_88:                             ;   in Loop: Header=BB194_41 Depth=1
	s_or_b64 exec, exec, s[76:77]
	s_and_saveexec_b64 s[76:77], s[26:27]
	s_cbranch_execz .LBB194_57
.LBB194_89:                             ;   in Loop: Header=BB194_41 Depth=1
	v_mov_b32_e32 v10, s91
	ds_read_b32 v10, v10
	s_waitcnt lgkmcnt(0)
	v_add_u32_e32 v9, v10, v9
	s_or_b64 exec, exec, s[76:77]
	s_and_saveexec_b64 s[76:77], s[28:29]
	s_cbranch_execnz .LBB194_58
.LBB194_90:                             ;   in Loop: Header=BB194_41 Depth=1
	s_or_b64 exec, exec, s[76:77]
	s_and_saveexec_b64 s[76:77], s[30:31]
	s_cbranch_execz .LBB194_59
.LBB194_91:                             ;   in Loop: Header=BB194_41 Depth=1
	v_mov_b32_e32 v10, s93
	ds_read_b32 v10, v10
	s_waitcnt lgkmcnt(0)
	v_add_u32_e32 v9, v10, v9
	s_or_b64 exec, exec, s[76:77]
	s_and_saveexec_b64 s[76:77], s[34:35]
	s_cbranch_execnz .LBB194_60
.LBB194_92:                             ;   in Loop: Header=BB194_41 Depth=1
	s_or_b64 exec, exec, s[76:77]
	s_and_saveexec_b64 s[76:77], s[36:37]
	s_cbranch_execz .LBB194_61
.LBB194_93:                             ;   in Loop: Header=BB194_41 Depth=1
	v_mov_b32_e32 v10, s95
	ds_read_b32 v10, v10
	s_waitcnt lgkmcnt(0)
	v_add_u32_e32 v9, v10, v9
	s_or_b64 exec, exec, s[76:77]
	s_and_saveexec_b64 s[76:77], s[38:39]
	s_cbranch_execnz .LBB194_62
.LBB194_94:                             ;   in Loop: Header=BB194_41 Depth=1
	s_or_b64 exec, exec, s[76:77]
	s_and_saveexec_b64 s[76:77], s[40:41]
	s_cbranch_execz .LBB194_63
.LBB194_95:                             ;   in Loop: Header=BB194_41 Depth=1
	v_mov_b32_e32 v10, s97
	ds_read_b32 v10, v10
	s_waitcnt lgkmcnt(0)
	v_add_u32_e32 v9, v10, v9
	s_or_b64 exec, exec, s[76:77]
	s_and_saveexec_b64 s[76:77], s[42:43]
	s_cbranch_execnz .LBB194_64
.LBB194_96:                             ;   in Loop: Header=BB194_41 Depth=1
	s_or_b64 exec, exec, s[76:77]
	s_and_saveexec_b64 s[76:77], s[44:45]
	s_cbranch_execz .LBB194_65
.LBB194_97:                             ;   in Loop: Header=BB194_41 Depth=1
	v_mov_b32_e32 v10, s99
	ds_read_b32 v10, v10
	s_waitcnt lgkmcnt(0)
	v_add_u32_e32 v9, v10, v9
	s_or_b64 exec, exec, s[76:77]
	s_and_saveexec_b64 s[76:77], s[46:47]
	s_cbranch_execnz .LBB194_66
.LBB194_98:                             ;   in Loop: Header=BB194_41 Depth=1
	s_or_b64 exec, exec, s[76:77]
	s_and_saveexec_b64 s[76:77], s[48:49]
	s_cbranch_execz .LBB194_67
.LBB194_99:                             ;   in Loop: Header=BB194_41 Depth=1
	v_mov_b32_e32 v10, s72
	ds_read_b32 v10, v10
	s_waitcnt lgkmcnt(0)
	v_add_u32_e32 v9, v10, v9
	s_or_b64 exec, exec, s[76:77]
	s_and_saveexec_b64 s[76:77], s[50:51]
	s_cbranch_execnz .LBB194_68
.LBB194_100:                            ;   in Loop: Header=BB194_41 Depth=1
	s_or_b64 exec, exec, s[76:77]
	s_and_saveexec_b64 s[76:77], s[52:53]
	s_cbranch_execz .LBB194_69
.LBB194_101:                            ;   in Loop: Header=BB194_41 Depth=1
	v_mov_b32_e32 v10, s66
	ds_read_b32 v10, v10
	s_waitcnt lgkmcnt(0)
	v_add_u32_e32 v9, v10, v9
	s_or_b64 exec, exec, s[76:77]
	s_and_saveexec_b64 s[76:77], s[54:55]
	s_cbranch_execnz .LBB194_70
.LBB194_102:                            ;   in Loop: Header=BB194_41 Depth=1
	s_or_b64 exec, exec, s[76:77]
	s_and_saveexec_b64 s[76:77], s[56:57]
	s_cbranch_execz .LBB194_71
.LBB194_103:                            ;   in Loop: Header=BB194_41 Depth=1
	v_mov_b32_e32 v10, s71
	ds_read_b32 v10, v10
	s_waitcnt lgkmcnt(0)
	v_add_u32_e32 v9, v10, v9
	s_or_b64 exec, exec, s[76:77]
	s_and_saveexec_b64 s[76:77], s[58:59]
	s_cbranch_execnz .LBB194_72
.LBB194_104:                            ;   in Loop: Header=BB194_41 Depth=1
	s_or_b64 exec, exec, s[76:77]
	s_and_saveexec_b64 s[76:77], s[64:65]
	s_cbranch_execz .LBB194_73
.LBB194_105:                            ;   in Loop: Header=BB194_41 Depth=1
	v_add3_u32 v10, v7, -1, v9
	v_lshl_add_u32 v10, v10, 2, 0
	v_add_u32_e32 v11, v7, v9
	v_lshl_add_u32 v11, v11, 3, 0
	ds_write_b32 v10, v8
	ds_write_b64 v11, v[4:5] offset:65528
	s_or_b64 exec, exec, s[76:77]
	s_and_saveexec_b64 s[64:65], vcc
	s_cbranch_execz .LBB194_40
.LBB194_106:                            ;   in Loop: Header=BB194_41 Depth=1
	v_mov_b32_e32 v4, s78
	ds_write_b32 v4, v9
	s_branch .LBB194_40
.LBB194_107:
	s_or_b64 exec, exec, s[68:69]
	v_readlane_b32 s0, v30, 10
	v_readlane_b32 s1, v30, 11
	;; [unrolled: 1-line block ×3, first 2 shown]
	s_ashr_i32 s1, s0, 31
	v_readlane_b32 s6, v30, 4
	v_readlane_b32 s7, v30, 5
	;; [unrolled: 1-line block ×4, first 2 shown]
	s_lshl_b64 s[0:1], s[0:1], 3
	s_mov_b64 s[6:7], s[10:11]
	v_readlane_b32 s5, v30, 3
	s_add_u32 s4, s6, s0
	s_addc_u32 s5, s7, s1
	s_load_dwordx4 s[0:3], s[4:5], 0x0
	v_readlane_b32 s8, v30, 6
	v_readlane_b32 s9, v30, 7
	s_waitcnt lgkmcnt(0)
	s_sub_i32 s8, s2, s0
	v_cmp_gt_i32_e32 vcc, s8, v0
	s_and_saveexec_b64 s[4:5], vcc
	s_cbranch_execz .LBB194_117
; %bb.108:
	s_sub_u32 s4, s0, s70
	s_subb_u32 s5, s1, 0
	s_and_b32 s10, s8, 7
	s_sub_i32 s0, s0, s2
	s_cmp_lt_u32 s0, -7
	s_cselect_b64 s[0:1], -1, 0
	s_and_b32 s11, s8, -8
	s_cmp_lg_u32 s10, 0
	v_cndmask_b32_e64 v1, 0, 1, s[0:1]
	s_cselect_b64 s[2:3], -1, 0
	v_cmp_ne_u32_e64 s[0:1], 1, v1
	v_cndmask_b32_e64 v1, 0, 1, s[2:3]
	s_mov_b32 s9, 0
	s_mov_b64 s[6:7], 0
	v_cmp_ne_u32_e64 s[2:3], 1, v1
	s_branch .LBB194_110
.LBB194_109:                            ;   in Loop: Header=BB194_110 Depth=1
	v_readlane_b32 s12, v30, 0
	v_add_u32_e32 v0, 0x400, v0
	v_readlane_b32 s13, v30, 1
	v_cmp_le_i32_e32 vcc, s8, v0
	s_or_b64 s[6:7], vcc, s[6:7]
	v_lshl_add_u64 v[4:5], v[4:5], 3, s[12:13]
	s_waitcnt lgkmcnt(0)
	global_store_dwordx2 v[4:5], v[2:3], off
	s_andn2_b64 exec, exec, s[6:7]
	s_cbranch_execz .LBB194_117
.LBB194_110:                            ; =>This Loop Header: Depth=1
                                        ;     Child Loop BB194_112 Depth 2
                                        ;     Child Loop BB194_116 Depth 2
	v_lshl_add_u32 v2, v0, 3, 0
	v_lshl_add_u32 v1, v0, 2, 0
	v_add_u32_e32 v2, 0x10000, v2
	ds_read_b32 v1, v1
	ds_read_b64 v[2:3], v2
	s_and_b64 vcc, exec, s[0:1]
	v_mov_b64_e32 v[4:5], s[4:5]
	s_mov_b32 s12, 0
	s_cbranch_vccnz .LBB194_114
; %bb.111:                              ;   in Loop: Header=BB194_110 Depth=1
	s_mov_b32 s13, 0
	v_mov_b64_e32 v[4:5], s[4:5]
.LBB194_112:                            ;   Parent Loop BB194_110 Depth=1
                                        ; =>  This Inner Loop Header: Depth=2
	v_mov_b32_e32 v6, s13
	ds_read2_b32 v[22:23], v6 offset1:1
	ds_read2_b32 v[24:25], v6 offset0:2 offset1:3
	ds_read2_b32 v[26:27], v6 offset0:4 offset1:5
	;; [unrolled: 1-line block ×3, first 2 shown]
	v_mov_b32_e32 v7, s9
	s_waitcnt lgkmcnt(3)
	v_cmp_gt_i32_e32 vcc, v1, v22
	v_mov_b32_e32 v9, s9
	v_mov_b32_e32 v11, s9
	v_cndmask_b32_e64 v6, 0, 1, vcc
	v_cmp_gt_i32_e32 vcc, v1, v23
	v_lshl_add_u64 v[4:5], v[4:5], 0, v[6:7]
	v_mov_b32_e32 v13, s9
	v_cndmask_b32_e64 v8, 0, 1, vcc
	s_waitcnt lgkmcnt(2)
	v_cmp_gt_i32_e32 vcc, v1, v24
	v_lshl_add_u64 v[4:5], v[4:5], 0, v[8:9]
	v_mov_b32_e32 v15, s9
	v_cndmask_b32_e64 v10, 0, 1, vcc
	v_cmp_gt_i32_e32 vcc, v1, v25
	v_lshl_add_u64 v[4:5], v[4:5], 0, v[10:11]
	v_mov_b32_e32 v17, s9
	v_cndmask_b32_e64 v12, 0, 1, vcc
	s_waitcnt lgkmcnt(1)
	v_cmp_gt_i32_e32 vcc, v1, v26
	v_lshl_add_u64 v[4:5], v[4:5], 0, v[12:13]
	;; [unrolled: 9-line block ×3, first 2 shown]
	s_add_i32 s12, s12, 8
	v_cndmask_b32_e64 v18, 0, 1, vcc
	v_cmp_gt_i32_e32 vcc, v1, v29
	s_add_i32 s13, s13, 32
	v_lshl_add_u64 v[4:5], v[4:5], 0, v[18:19]
	v_cndmask_b32_e64 v20, 0, 1, vcc
	s_cmp_eq_u32 s11, s12
	v_lshl_add_u64 v[4:5], v[4:5], 0, v[20:21]
	s_cbranch_scc0 .LBB194_112
; %bb.113:                              ;   in Loop: Header=BB194_110 Depth=1
	s_mov_b32 s12, s11
.LBB194_114:                            ;   in Loop: Header=BB194_110 Depth=1
	s_and_b64 vcc, exec, s[2:3]
	s_cbranch_vccnz .LBB194_109
; %bb.115:                              ;   in Loop: Header=BB194_110 Depth=1
	s_lshl_b32 s12, s12, 2
	s_add_i32 s12, s12, 0
	s_mov_b32 s13, s10
.LBB194_116:                            ;   Parent Loop BB194_110 Depth=1
                                        ; =>  This Inner Loop Header: Depth=2
	v_mov_b32_e32 v6, s12
	ds_read_b32 v6, v6
	v_mov_b32_e32 v7, s9
	s_add_i32 s12, s12, 4
	s_add_i32 s13, s13, -1
	s_cmp_lg_u32 s13, 0
	s_waitcnt lgkmcnt(0)
	v_cmp_gt_i32_e32 vcc, v1, v6
	s_nop 1
	v_cndmask_b32_e64 v6, 0, 1, vcc
	v_lshl_add_u64 v[4:5], v[4:5], 0, v[6:7]
	s_cbranch_scc1 .LBB194_116
	s_branch .LBB194_109
.LBB194_117:
	s_endpgm
	.section	.rodata,"a",@progbits
	.p2align	6, 0x0
	.amdhsa_kernel _ZN9rocsparseL41csrgemm_numeric_fill_block_per_row_kernelILj1024ELj64ELj16384ELj137ELj32ElidEEvT5_PKS1_S3_NS_24const_host_device_scalarIT6_EEPKT4_S3_PKS5_S9_S3_SB_S6_S9_S3_SB_S9_S3_PS5_21rocsparse_index_base_SD_SD_SD_bbb
		.amdhsa_group_segment_fixed_size 0
		.amdhsa_private_segment_fixed_size 0
		.amdhsa_kernarg_size 156
		.amdhsa_user_sgpr_count 2
		.amdhsa_user_sgpr_dispatch_ptr 0
		.amdhsa_user_sgpr_queue_ptr 0
		.amdhsa_user_sgpr_kernarg_segment_ptr 1
		.amdhsa_user_sgpr_dispatch_id 0
		.amdhsa_user_sgpr_kernarg_preload_length 0
		.amdhsa_user_sgpr_kernarg_preload_offset 0
		.amdhsa_user_sgpr_private_segment_size 0
		.amdhsa_uses_dynamic_stack 0
		.amdhsa_enable_private_segment 0
		.amdhsa_system_sgpr_workgroup_id_x 1
		.amdhsa_system_sgpr_workgroup_id_y 0
		.amdhsa_system_sgpr_workgroup_id_z 0
		.amdhsa_system_sgpr_workgroup_info 0
		.amdhsa_system_vgpr_workitem_id 0
		.amdhsa_next_free_vgpr 31
		.amdhsa_next_free_sgpr 100
		.amdhsa_accum_offset 32
		.amdhsa_reserve_vcc 1
		.amdhsa_float_round_mode_32 0
		.amdhsa_float_round_mode_16_64 0
		.amdhsa_float_denorm_mode_32 3
		.amdhsa_float_denorm_mode_16_64 3
		.amdhsa_dx10_clamp 1
		.amdhsa_ieee_mode 1
		.amdhsa_fp16_overflow 0
		.amdhsa_tg_split 0
		.amdhsa_exception_fp_ieee_invalid_op 0
		.amdhsa_exception_fp_denorm_src 0
		.amdhsa_exception_fp_ieee_div_zero 0
		.amdhsa_exception_fp_ieee_overflow 0
		.amdhsa_exception_fp_ieee_underflow 0
		.amdhsa_exception_fp_ieee_inexact 0
		.amdhsa_exception_int_div_zero 0
	.end_amdhsa_kernel
	.section	.text._ZN9rocsparseL41csrgemm_numeric_fill_block_per_row_kernelILj1024ELj64ELj16384ELj137ELj32ElidEEvT5_PKS1_S3_NS_24const_host_device_scalarIT6_EEPKT4_S3_PKS5_S9_S3_SB_S6_S9_S3_SB_S9_S3_PS5_21rocsparse_index_base_SD_SD_SD_bbb,"axG",@progbits,_ZN9rocsparseL41csrgemm_numeric_fill_block_per_row_kernelILj1024ELj64ELj16384ELj137ELj32ElidEEvT5_PKS1_S3_NS_24const_host_device_scalarIT6_EEPKT4_S3_PKS5_S9_S3_SB_S6_S9_S3_SB_S9_S3_PS5_21rocsparse_index_base_SD_SD_SD_bbb,comdat
.Lfunc_end194:
	.size	_ZN9rocsparseL41csrgemm_numeric_fill_block_per_row_kernelILj1024ELj64ELj16384ELj137ELj32ElidEEvT5_PKS1_S3_NS_24const_host_device_scalarIT6_EEPKT4_S3_PKS5_S9_S3_SB_S6_S9_S3_SB_S9_S3_PS5_21rocsparse_index_base_SD_SD_SD_bbb, .Lfunc_end194-_ZN9rocsparseL41csrgemm_numeric_fill_block_per_row_kernelILj1024ELj64ELj16384ELj137ELj32ElidEEvT5_PKS1_S3_NS_24const_host_device_scalarIT6_EEPKT4_S3_PKS5_S9_S3_SB_S6_S9_S3_SB_S9_S3_PS5_21rocsparse_index_base_SD_SD_SD_bbb
                                        ; -- End function
	.set _ZN9rocsparseL41csrgemm_numeric_fill_block_per_row_kernelILj1024ELj64ELj16384ELj137ELj32ElidEEvT5_PKS1_S3_NS_24const_host_device_scalarIT6_EEPKT4_S3_PKS5_S9_S3_SB_S6_S9_S3_SB_S9_S3_PS5_21rocsparse_index_base_SD_SD_SD_bbb.num_vgpr, 31
	.set _ZN9rocsparseL41csrgemm_numeric_fill_block_per_row_kernelILj1024ELj64ELj16384ELj137ELj32ElidEEvT5_PKS1_S3_NS_24const_host_device_scalarIT6_EEPKT4_S3_PKS5_S9_S3_SB_S6_S9_S3_SB_S9_S3_PS5_21rocsparse_index_base_SD_SD_SD_bbb.num_agpr, 0
	.set _ZN9rocsparseL41csrgemm_numeric_fill_block_per_row_kernelILj1024ELj64ELj16384ELj137ELj32ElidEEvT5_PKS1_S3_NS_24const_host_device_scalarIT6_EEPKT4_S3_PKS5_S9_S3_SB_S6_S9_S3_SB_S9_S3_PS5_21rocsparse_index_base_SD_SD_SD_bbb.numbered_sgpr, 100
	.set _ZN9rocsparseL41csrgemm_numeric_fill_block_per_row_kernelILj1024ELj64ELj16384ELj137ELj32ElidEEvT5_PKS1_S3_NS_24const_host_device_scalarIT6_EEPKT4_S3_PKS5_S9_S3_SB_S6_S9_S3_SB_S9_S3_PS5_21rocsparse_index_base_SD_SD_SD_bbb.num_named_barrier, 0
	.set _ZN9rocsparseL41csrgemm_numeric_fill_block_per_row_kernelILj1024ELj64ELj16384ELj137ELj32ElidEEvT5_PKS1_S3_NS_24const_host_device_scalarIT6_EEPKT4_S3_PKS5_S9_S3_SB_S6_S9_S3_SB_S9_S3_PS5_21rocsparse_index_base_SD_SD_SD_bbb.private_seg_size, 0
	.set _ZN9rocsparseL41csrgemm_numeric_fill_block_per_row_kernelILj1024ELj64ELj16384ELj137ELj32ElidEEvT5_PKS1_S3_NS_24const_host_device_scalarIT6_EEPKT4_S3_PKS5_S9_S3_SB_S6_S9_S3_SB_S9_S3_PS5_21rocsparse_index_base_SD_SD_SD_bbb.uses_vcc, 1
	.set _ZN9rocsparseL41csrgemm_numeric_fill_block_per_row_kernelILj1024ELj64ELj16384ELj137ELj32ElidEEvT5_PKS1_S3_NS_24const_host_device_scalarIT6_EEPKT4_S3_PKS5_S9_S3_SB_S6_S9_S3_SB_S9_S3_PS5_21rocsparse_index_base_SD_SD_SD_bbb.uses_flat_scratch, 0
	.set _ZN9rocsparseL41csrgemm_numeric_fill_block_per_row_kernelILj1024ELj64ELj16384ELj137ELj32ElidEEvT5_PKS1_S3_NS_24const_host_device_scalarIT6_EEPKT4_S3_PKS5_S9_S3_SB_S6_S9_S3_SB_S9_S3_PS5_21rocsparse_index_base_SD_SD_SD_bbb.has_dyn_sized_stack, 0
	.set _ZN9rocsparseL41csrgemm_numeric_fill_block_per_row_kernelILj1024ELj64ELj16384ELj137ELj32ElidEEvT5_PKS1_S3_NS_24const_host_device_scalarIT6_EEPKT4_S3_PKS5_S9_S3_SB_S6_S9_S3_SB_S9_S3_PS5_21rocsparse_index_base_SD_SD_SD_bbb.has_recursion, 0
	.set _ZN9rocsparseL41csrgemm_numeric_fill_block_per_row_kernelILj1024ELj64ELj16384ELj137ELj32ElidEEvT5_PKS1_S3_NS_24const_host_device_scalarIT6_EEPKT4_S3_PKS5_S9_S3_SB_S6_S9_S3_SB_S9_S3_PS5_21rocsparse_index_base_SD_SD_SD_bbb.has_indirect_call, 0
	.section	.AMDGPU.csdata,"",@progbits
; Kernel info:
; codeLenInByte = 4804
; TotalNumSgprs: 106
; NumVgprs: 31
; NumAgprs: 0
; TotalNumVgprs: 31
; ScratchSize: 0
; MemoryBound: 0
; FloatMode: 240
; IeeeMode: 1
; LDSByteSize: 0 bytes/workgroup (compile time only)
; SGPRBlocks: 13
; VGPRBlocks: 3
; NumSGPRsForWavesPerEU: 106
; NumVGPRsForWavesPerEU: 31
; AccumOffset: 32
; Occupancy: 7
; WaveLimiterHint : 1
; COMPUTE_PGM_RSRC2:SCRATCH_EN: 0
; COMPUTE_PGM_RSRC2:USER_SGPR: 2
; COMPUTE_PGM_RSRC2:TRAP_HANDLER: 0
; COMPUTE_PGM_RSRC2:TGID_X_EN: 1
; COMPUTE_PGM_RSRC2:TGID_Y_EN: 0
; COMPUTE_PGM_RSRC2:TGID_Z_EN: 0
; COMPUTE_PGM_RSRC2:TIDIG_COMP_CNT: 0
; COMPUTE_PGM_RSRC3_GFX90A:ACCUM_OFFSET: 7
; COMPUTE_PGM_RSRC3_GFX90A:TG_SPLIT: 0
	.section	.text._ZN9rocsparseL41csrgemm_numeric_fill_block_per_row_kernelILj1024ELj64ELj16384ELj137ELj64ElidEEvT5_PKS1_S3_NS_24const_host_device_scalarIT6_EEPKT4_S3_PKS5_S9_S3_SB_S6_S9_S3_SB_S9_S3_PS5_21rocsparse_index_base_SD_SD_SD_bbb,"axG",@progbits,_ZN9rocsparseL41csrgemm_numeric_fill_block_per_row_kernelILj1024ELj64ELj16384ELj137ELj64ElidEEvT5_PKS1_S3_NS_24const_host_device_scalarIT6_EEPKT4_S3_PKS5_S9_S3_SB_S6_S9_S3_SB_S9_S3_PS5_21rocsparse_index_base_SD_SD_SD_bbb,comdat
	.globl	_ZN9rocsparseL41csrgemm_numeric_fill_block_per_row_kernelILj1024ELj64ELj16384ELj137ELj64ElidEEvT5_PKS1_S3_NS_24const_host_device_scalarIT6_EEPKT4_S3_PKS5_S9_S3_SB_S6_S9_S3_SB_S9_S3_PS5_21rocsparse_index_base_SD_SD_SD_bbb ; -- Begin function _ZN9rocsparseL41csrgemm_numeric_fill_block_per_row_kernelILj1024ELj64ELj16384ELj137ELj64ElidEEvT5_PKS1_S3_NS_24const_host_device_scalarIT6_EEPKT4_S3_PKS5_S9_S3_SB_S6_S9_S3_SB_S9_S3_PS5_21rocsparse_index_base_SD_SD_SD_bbb
	.p2align	8
	.type	_ZN9rocsparseL41csrgemm_numeric_fill_block_per_row_kernelILj1024ELj64ELj16384ELj137ELj64ElidEEvT5_PKS1_S3_NS_24const_host_device_scalarIT6_EEPKT4_S3_PKS5_S9_S3_SB_S6_S9_S3_SB_S9_S3_PS5_21rocsparse_index_base_SD_SD_SD_bbb,@function
_ZN9rocsparseL41csrgemm_numeric_fill_block_per_row_kernelILj1024ELj64ELj16384ELj137ELj64ElidEEvT5_PKS1_S3_NS_24const_host_device_scalarIT6_EEPKT4_S3_PKS5_S9_S3_SB_S6_S9_S3_SB_S9_S3_PS5_21rocsparse_index_base_SD_SD_SD_bbb: ; @_ZN9rocsparseL41csrgemm_numeric_fill_block_per_row_kernelILj1024ELj64ELj16384ELj137ELj64ElidEEvT5_PKS1_S3_NS_24const_host_device_scalarIT6_EEPKT4_S3_PKS5_S9_S3_SB_S6_S9_S3_SB_S9_S3_PS5_21rocsparse_index_base_SD_SD_SD_bbb
; %bb.0:
	s_load_dword s3, s[0:1], 0x98
	s_load_dwordx4 s[44:47], s[0:1], 0x88
	s_load_dwordx2 s[4:5], s[0:1], 0x18
	s_load_dwordx2 s[24:25], s[0:1], 0x50
	s_waitcnt lgkmcnt(0)
	s_bitcmp1_b32 s3, 0
	s_cselect_b64 s[22:23], -1, 0
	s_bitcmp1_b32 s3, 16
	s_cselect_b64 s[26:27], -1, 0
	s_xor_b64 s[6:7], s[22:23], -1
	s_or_b64 s[6:7], s[26:27], s[6:7]
	s_and_b64 s[8:9], s[22:23], exec
	s_cselect_b32 s9, s5, 0
	s_cselect_b32 s8, s4, 0
	s_and_b64 vcc, exec, s[6:7]
	v_mov_b64_e32 v[4:5], s[8:9]
	s_cbranch_vccnz .LBB195_2
; %bb.1:
	v_mov_b64_e32 v[2:3], s[4:5]
	flat_load_dwordx2 v[4:5], v[2:3]
.LBB195_2:
	s_load_dwordx2 s[34:35], s[0:1], 0x80
	s_load_dwordx8 s[36:43], s[0:1], 0x58
	s_load_dwordx4 s[12:15], s[0:1], 0x40
	s_load_dwordx4 s[16:19], s[0:1], 0x8
	s_load_dwordx8 s[4:11], s[0:1], 0x20
	s_bitcmp1_b32 s3, 8
	s_cselect_b64 s[20:21], -1, 0
	s_xor_b64 s[28:29], s[20:21], -1
	s_or_b64 s[26:27], s[26:27], s[28:29]
	s_and_b64 s[28:29], s[20:21], exec
	s_cselect_b32 s29, s25, 0
	s_cselect_b32 s28, s24, 0
	s_and_b64 vcc, exec, s[26:27]
	v_mov_b64_e32 v[2:3], s[28:29]
	s_cbranch_vccnz .LBB195_4
; %bb.3:
	v_mov_b64_e32 v[2:3], s[24:25]
	flat_load_dwordx2 v[2:3], v[2:3]
.LBB195_4:
	s_load_dword s33, s[0:1], 0x0
	v_lshl_add_u32 v7, v0, 3, 0
	v_or_b32_e32 v1, 0xfffffc00, v0
	v_mov_b32_e32 v6, 0
	v_add_u32_e32 v18, 0x10000, v7
	v_lshl_add_u32 v19, v0, 2, 0
	s_mov_b64 s[0:1], 0
	s_waitcnt lgkmcnt(0)
	v_mov_b32_e32 v11, s33
	v_mov_b32_e32 v7, v6
	s_movk_i32 s3, 0x3bff
	v_mov_b32_e32 v8, v19
	v_mov_b32_e32 v9, v18
	v_mov_b32_e32 v10, v1
.LBB195_5:                              ; =>This Inner Loop Header: Depth=1
	v_add_u32_e32 v10, 0x400, v10
	v_cmp_lt_u32_e32 vcc, s3, v10
	ds_write_b32 v8, v11
	ds_write_b64 v9, v[6:7]
	v_add_u32_e32 v9, 0x2000, v9
	s_or_b64 s[0:1], vcc, s[0:1]
	v_add_u32_e32 v8, 0x1000, v8
	s_andn2_b64 exec, exec, s[0:1]
	s_cbranch_execnz .LBB195_5
; %bb.6:
	s_or_b64 exec, exec, s[0:1]
	s_waitcnt lgkmcnt(0)
	s_barrier
	s_load_dword s0, s[16:17], 0x0
	s_mov_b32 s1, 0
	v_lshrrev_b32_e32 v20, 6, v0
	s_waitcnt lgkmcnt(0)
	s_add_i32 s0, s0, s2
	s_lshl_b64 s[0:1], s[0:1], 2
	s_add_u32 s0, s18, s0
	s_addc_u32 s1, s19, s1
	s_load_dword s48, s[0:1], 0x0
	s_and_b64 vcc, exec, s[22:23]
	s_cbranch_vccz .LBB195_24
; %bb.7:
	s_waitcnt lgkmcnt(0)
	s_ashr_i32 s49, s48, 31
	s_lshl_b64 s[0:1], s[48:49], 3
	s_add_u32 s0, s4, s0
	s_addc_u32 s1, s5, s1
	s_load_dwordx4 s[16:19], s[0:1], 0x0
	v_subrev_co_u32_e32 v6, vcc, s44, v20
	s_nop 1
	v_subb_co_u32_e64 v7, s[0:1], 0, 0, vcc
	s_waitcnt lgkmcnt(0)
	s_sub_u32 s0, s18, s44
	s_subb_u32 s1, s19, 0
	v_lshl_add_u64 v[6:7], s[16:17], 0, v[6:7]
	v_cmp_gt_i64_e32 vcc, s[0:1], v[6:7]
	s_and_saveexec_b64 s[2:3], vcc
	s_cbranch_execz .LBB195_23
; %bb.8:
	v_and_b32_e32 v8, 63, v0
	v_subrev_co_u32_e32 v8, vcc, s45, v8
	s_mov_b32 s49, s45
	s_nop 0
	v_subb_co_u32_e64 v9, s[4:5], 0, 0, vcc
	s_mov_b64 s[4:5], 0
	s_movk_i32 s50, 0x89
	s_branch .LBB195_10
.LBB195_9:                              ;   in Loop: Header=BB195_10 Depth=1
	s_or_b64 exec, exec, s[16:17]
	v_lshl_add_u64 v[6:7], v[6:7], 0, 16
	v_cmp_le_i64_e32 vcc, s[0:1], v[6:7]
	s_or_b64 s[4:5], vcc, s[4:5]
	s_andn2_b64 exec, exec, s[4:5]
	s_cbranch_execz .LBB195_23
.LBB195_10:                             ; =>This Loop Header: Depth=1
                                        ;     Child Loop BB195_14 Depth 2
                                        ;       Child Loop BB195_17 Depth 3
	v_lshl_add_u64 v[10:11], v[6:7], 2, s[6:7]
	global_load_dword v10, v[10:11], off
	s_waitcnt vmcnt(0)
	v_subrev_u32_e32 v10, s44, v10
	v_ashrrev_i32_e32 v11, 31, v10
	v_lshl_add_u64 v[10:11], v[10:11], 3, s[10:11]
	global_load_dwordx4 v[12:15], v[10:11], off
	s_waitcnt vmcnt(0)
	v_subrev_co_u32_e32 v10, vcc, s49, v14
	s_nop 1
	v_subbrev_co_u32_e32 v11, vcc, 0, v15, vcc
	v_lshl_add_u64 v[12:13], v[12:13], 0, v[8:9]
	v_cmp_lt_i64_e32 vcc, v[12:13], v[10:11]
	s_and_saveexec_b64 s[16:17], vcc
	s_cbranch_execz .LBB195_9
; %bb.11:                               ;   in Loop: Header=BB195_10 Depth=1
	v_lshl_add_u64 v[14:15], v[6:7], 3, s[8:9]
	global_load_dwordx2 v[14:15], v[14:15], off
	s_mov_b64 s[18:19], 0
	s_waitcnt vmcnt(0)
	v_mul_f64 v[14:15], v[4:5], v[14:15]
	s_branch .LBB195_14
.LBB195_12:                             ;   in Loop: Header=BB195_14 Depth=2
	s_or_b64 exec, exec, s[24:25]
.LBB195_13:                             ;   in Loop: Header=BB195_14 Depth=2
	s_or_b64 exec, exec, s[22:23]
	v_lshl_add_u32 v21, v21, 3, 0
	s_waitcnt vmcnt(0)
	v_mul_f64 v[16:17], v[14:15], v[16:17]
	v_add_u32_e32 v21, 0x10000, v21
	ds_add_f64 v21, v[16:17]
	v_lshl_add_u64 v[12:13], v[12:13], 0, 64
	v_cmp_ge_i64_e32 vcc, v[12:13], v[10:11]
	s_or_b64 s[18:19], vcc, s[18:19]
	s_andn2_b64 exec, exec, s[18:19]
	s_cbranch_execz .LBB195_9
.LBB195_14:                             ;   Parent Loop BB195_10 Depth=1
                                        ; =>  This Loop Header: Depth=2
                                        ;       Child Loop BB195_17 Depth 3
	v_lshl_add_u64 v[16:17], v[12:13], 2, s[12:13]
	global_load_dword v21, v[16:17], off
	v_lshl_add_u64 v[16:17], v[12:13], 3, s[14:15]
	global_load_dwordx2 v[16:17], v[16:17], off
	s_waitcnt vmcnt(1)
	v_subrev_u32_e32 v22, s45, v21
	v_mul_lo_u32 v21, v22, s50
	v_and_b32_e32 v21, 0x3fff, v21
	v_lshl_add_u32 v23, v21, 2, 0
	ds_read_b32 v24, v23
	s_waitcnt lgkmcnt(0)
	v_cmp_ne_u32_e32 vcc, v24, v22
	s_and_saveexec_b64 s[22:23], vcc
	s_cbranch_execz .LBB195_13
; %bb.15:                               ;   in Loop: Header=BB195_14 Depth=2
	s_mov_b64 s[24:25], 0
	s_branch .LBB195_17
.LBB195_16:                             ;   in Loop: Header=BB195_17 Depth=3
	s_or_b64 exec, exec, s[30:31]
	s_and_b64 s[26:27], exec, s[28:29]
	s_or_b64 s[24:25], s[26:27], s[24:25]
	s_andn2_b64 exec, exec, s[24:25]
	s_cbranch_execz .LBB195_12
.LBB195_17:                             ;   Parent Loop BB195_10 Depth=1
                                        ;     Parent Loop BB195_14 Depth=2
                                        ; =>    This Inner Loop Header: Depth=3
	v_cmp_ne_u32_e32 vcc, s33, v24
	s_mov_b64 s[26:27], 0
	s_and_saveexec_b64 s[28:29], vcc
	s_xor_b64 s[28:29], exec, s[28:29]
	s_cbranch_execz .LBB195_19
; %bb.18:                               ;   in Loop: Header=BB195_17 Depth=3
	v_add_u32_e32 v21, 1, v21
	s_mov_b64 s[26:27], exec
	v_and_b32_e32 v21, 0x3fff, v21
                                        ; implicit-def: $vgpr23
	s_andn2_saveexec_b64 s[28:29], s[28:29]
	s_cbranch_execz .LBB195_21
	s_branch .LBB195_20
.LBB195_19:                             ;   in Loop: Header=BB195_17 Depth=3
	s_andn2_saveexec_b64 s[28:29], s[28:29]
	s_cbranch_execz .LBB195_21
.LBB195_20:                             ;   in Loop: Header=BB195_17 Depth=3
	v_mov_b32_e32 v24, s33
	ds_cmpst_rtn_b32 v23, v23, v24, v22
	s_andn2_b64 s[26:27], s[26:27], exec
	s_waitcnt lgkmcnt(0)
	v_cmp_ne_u32_e32 vcc, s33, v23
	s_and_b64 s[30:31], vcc, exec
	s_or_b64 s[26:27], s[26:27], s[30:31]
.LBB195_21:                             ;   in Loop: Header=BB195_17 Depth=3
	s_or_b64 exec, exec, s[28:29]
	s_mov_b64 s[28:29], -1
                                        ; implicit-def: $vgpr23
                                        ; implicit-def: $vgpr24
	s_and_saveexec_b64 s[30:31], s[26:27]
	s_cbranch_execz .LBB195_16
; %bb.22:                               ;   in Loop: Header=BB195_17 Depth=3
	v_lshl_add_u32 v23, v21, 2, 0
	ds_read_b32 v24, v23
	s_waitcnt lgkmcnt(0)
	v_cmp_eq_u32_e32 vcc, v24, v22
	s_orn2_b64 s[28:29], vcc, exec
	s_branch .LBB195_16
.LBB195_23:
	s_or_b64 exec, exec, s[2:3]
.LBB195_24:
	s_andn2_b64 vcc, exec, s[20:21]
	s_cbranch_vccnz .LBB195_39
; %bb.25:
	s_waitcnt lgkmcnt(0)
	s_ashr_i32 s49, s48, 31
	s_lshl_b64 s[0:1], s[48:49], 3
	s_add_u32 s0, s36, s0
	s_addc_u32 s1, s37, s1
	s_load_dwordx4 s[4:7], s[0:1], 0x0
	s_waitcnt vmcnt(0)
	v_subrev_co_u32_e32 v4, vcc, s47, v0
	s_nop 1
	v_subb_co_u32_e64 v5, s[0:1], 0, 0, vcc
	s_waitcnt lgkmcnt(0)
	s_sub_u32 s0, s6, s47
	s_subb_u32 s1, s7, 0
	v_lshl_add_u64 v[4:5], s[4:5], 0, v[4:5]
	v_cmp_gt_i64_e32 vcc, s[0:1], v[4:5]
	s_and_saveexec_b64 s[2:3], vcc
	s_cbranch_execz .LBB195_38
; %bb.26:
	s_mov_b64 s[4:5], 0
	s_movk_i32 s18, 0x89
	s_mov_b64 s[6:7], 0x400
	s_branch .LBB195_29
.LBB195_27:                             ;   in Loop: Header=BB195_29 Depth=1
	s_or_b64 exec, exec, s[10:11]
.LBB195_28:                             ;   in Loop: Header=BB195_29 Depth=1
	s_or_b64 exec, exec, s[8:9]
	v_lshl_add_u32 v8, v8, 3, 0
	s_waitcnt vmcnt(0)
	v_mul_f64 v[6:7], v[2:3], v[6:7]
	v_add_u32_e32 v8, 0x10000, v8
	ds_add_f64 v8, v[6:7]
	v_lshl_add_u64 v[4:5], v[4:5], 0, s[6:7]
	v_cmp_le_i64_e32 vcc, s[0:1], v[4:5]
	s_or_b64 s[4:5], vcc, s[4:5]
	s_andn2_b64 exec, exec, s[4:5]
	s_cbranch_execz .LBB195_38
.LBB195_29:                             ; =>This Loop Header: Depth=1
                                        ;     Child Loop BB195_32 Depth 2
	v_lshl_add_u64 v[6:7], v[4:5], 2, s[38:39]
	global_load_dword v8, v[6:7], off
	v_lshl_add_u64 v[6:7], v[4:5], 3, s[40:41]
	global_load_dwordx2 v[6:7], v[6:7], off
	s_waitcnt vmcnt(1)
	v_subrev_u32_e32 v9, s47, v8
	v_mul_lo_u32 v8, v9, s18
	v_and_b32_e32 v8, 0x3fff, v8
	v_lshl_add_u32 v10, v8, 2, 0
	ds_read_b32 v11, v10
	s_waitcnt lgkmcnt(0)
	v_cmp_ne_u32_e32 vcc, v11, v9
	s_and_saveexec_b64 s[8:9], vcc
	s_cbranch_execz .LBB195_28
; %bb.30:                               ;   in Loop: Header=BB195_29 Depth=1
	s_mov_b64 s[10:11], 0
	s_branch .LBB195_32
.LBB195_31:                             ;   in Loop: Header=BB195_32 Depth=2
	s_or_b64 exec, exec, s[16:17]
	s_and_b64 s[12:13], exec, s[14:15]
	s_or_b64 s[10:11], s[12:13], s[10:11]
	s_andn2_b64 exec, exec, s[10:11]
	s_cbranch_execz .LBB195_27
.LBB195_32:                             ;   Parent Loop BB195_29 Depth=1
                                        ; =>  This Inner Loop Header: Depth=2
	v_cmp_ne_u32_e32 vcc, s33, v11
	s_mov_b64 s[12:13], 0
	s_and_saveexec_b64 s[14:15], vcc
	s_xor_b64 s[14:15], exec, s[14:15]
	s_cbranch_execz .LBB195_34
; %bb.33:                               ;   in Loop: Header=BB195_32 Depth=2
	v_add_u32_e32 v8, 1, v8
	s_mov_b64 s[12:13], exec
	v_and_b32_e32 v8, 0x3fff, v8
                                        ; implicit-def: $vgpr10
	s_andn2_saveexec_b64 s[14:15], s[14:15]
	s_cbranch_execz .LBB195_36
	s_branch .LBB195_35
.LBB195_34:                             ;   in Loop: Header=BB195_32 Depth=2
	s_andn2_saveexec_b64 s[14:15], s[14:15]
	s_cbranch_execz .LBB195_36
.LBB195_35:                             ;   in Loop: Header=BB195_32 Depth=2
	v_mov_b32_e32 v11, s33
	ds_cmpst_rtn_b32 v10, v10, v11, v9
	s_andn2_b64 s[12:13], s[12:13], exec
	s_waitcnt lgkmcnt(0)
	v_cmp_ne_u32_e32 vcc, s33, v10
	s_and_b64 s[16:17], vcc, exec
	s_or_b64 s[12:13], s[12:13], s[16:17]
.LBB195_36:                             ;   in Loop: Header=BB195_32 Depth=2
	s_or_b64 exec, exec, s[14:15]
	s_mov_b64 s[14:15], -1
                                        ; implicit-def: $vgpr10
                                        ; implicit-def: $vgpr11
	s_and_saveexec_b64 s[16:17], s[12:13]
	s_cbranch_execz .LBB195_31
; %bb.37:                               ;   in Loop: Header=BB195_32 Depth=2
	v_lshl_add_u32 v10, v8, 2, 0
	ds_read_b32 v11, v10
	s_waitcnt lgkmcnt(0)
	v_cmp_eq_u32_e32 vcc, v11, v9
	s_orn2_b64 s[14:15], vcc, exec
	s_branch .LBB195_31
.LBB195_38:
	s_or_b64 exec, exec, s[2:3]
.LBB195_39:
	s_waitcnt vmcnt(0)
	v_mbcnt_lo_u32_b32 v2, -1, 0
	v_mbcnt_hi_u32_b32 v2, -1, v2
	v_sub_u32_e32 v2, 63, v2
	s_add_i32 s40, 0, 0x30000
	s_movk_i32 s0, 0x3ff
	s_movk_i32 s2, 0x7f
	;; [unrolled: 1-line block ×15, first 2 shown]
	s_add_i32 s59, 0, 0x3003c
	v_lshrrev_b64 v[2:3], v2, -1
	v_lshl_add_u32 v6, v20, 2, s40
	v_cmp_eq_u32_e32 vcc, s0, v0
	v_cmp_lt_u32_e64 s[0:1], 63, v0
	v_cmp_lt_u32_e64 s[2:3], s2, v0
	;; [unrolled: 1-line block ×15, first 2 shown]
	s_mov_b64 s[36:37], 0
	v_mov_b32_e32 v7, 0
	s_add_i32 s41, 0, 0x30004
	s_add_i32 s44, 0, 0x30008
	;; [unrolled: 1-line block ×14, first 2 shown]
	v_mov_b32_e32 v8, s59
	s_movk_i32 s60, 0x3bff
	s_waitcnt lgkmcnt(0)
	s_barrier
	s_branch .LBB195_41
.LBB195_40:                             ;   in Loop: Header=BB195_41 Depth=1
	s_or_b64 exec, exec, s[30:31]
	s_waitcnt lgkmcnt(0)
	s_barrier
	ds_read_b32 v4, v8
	v_add_u32_e32 v1, 0x400, v1
	v_cmp_lt_u32_e64 s[30:31], s60, v1
	v_add_u32_e32 v18, 0x2000, v18
	s_or_b64 s[36:37], s[30:31], s[36:37]
	s_waitcnt lgkmcnt(0)
	v_add_u32_e32 v7, v4, v7
	v_add_u32_e32 v19, 0x1000, v19
	s_andn2_b64 exec, exec, s[36:37]
	s_cbranch_execz .LBB195_75
.LBB195_41:                             ; =>This Inner Loop Header: Depth=1
	ds_read_b32 v9, v19
	ds_read_b64 v[4:5], v18
	s_waitcnt lgkmcnt(0)
	s_barrier
	v_cmp_gt_i32_e64 s[30:31], s33, v9
	s_bcnt1_i32_b64 s38, s[30:31]
	s_nop 0
	v_and_b32_e32 v11, s30, v2
	v_and_b32_e32 v10, s31, v3
	v_bcnt_u32_b32 v11, v11, 0
	v_bcnt_u32_b32 v10, v10, v11
	v_mov_b32_e32 v11, s38
	ds_write_b32 v6, v11
	s_waitcnt lgkmcnt(0)
	s_barrier
	s_and_saveexec_b64 s[38:39], s[0:1]
	s_cbranch_execz .LBB195_58
; %bb.42:                               ;   in Loop: Header=BB195_41 Depth=1
	v_mov_b32_e32 v11, s40
	ds_read_b32 v11, v11
	s_waitcnt lgkmcnt(0)
	v_add_u32_e32 v10, v11, v10
	s_or_b64 exec, exec, s[38:39]
	s_and_saveexec_b64 s[38:39], s[2:3]
	s_cbranch_execnz .LBB195_59
.LBB195_43:                             ;   in Loop: Header=BB195_41 Depth=1
	s_or_b64 exec, exec, s[38:39]
	s_and_saveexec_b64 s[38:39], s[4:5]
	s_cbranch_execz .LBB195_60
.LBB195_44:                             ;   in Loop: Header=BB195_41 Depth=1
	v_mov_b32_e32 v11, s44
	ds_read_b32 v11, v11
	s_waitcnt lgkmcnt(0)
	v_add_u32_e32 v10, v11, v10
	s_or_b64 exec, exec, s[38:39]
	s_and_saveexec_b64 s[38:39], s[6:7]
	s_cbranch_execnz .LBB195_61
.LBB195_45:                             ;   in Loop: Header=BB195_41 Depth=1
	s_or_b64 exec, exec, s[38:39]
	s_and_saveexec_b64 s[38:39], s[8:9]
	s_cbranch_execz .LBB195_62
.LBB195_46:                             ;   in Loop: Header=BB195_41 Depth=1
	v_mov_b32_e32 v11, s47
	ds_read_b32 v11, v11
	s_waitcnt lgkmcnt(0)
	v_add_u32_e32 v10, v11, v10
	s_or_b64 exec, exec, s[38:39]
	s_and_saveexec_b64 s[38:39], s[10:11]
	s_cbranch_execnz .LBB195_63
.LBB195_47:                             ;   in Loop: Header=BB195_41 Depth=1
	s_or_b64 exec, exec, s[38:39]
	s_and_saveexec_b64 s[38:39], s[12:13]
	s_cbranch_execz .LBB195_64
.LBB195_48:                             ;   in Loop: Header=BB195_41 Depth=1
	v_mov_b32_e32 v11, s50
	ds_read_b32 v11, v11
	s_waitcnt lgkmcnt(0)
	v_add_u32_e32 v10, v11, v10
	s_or_b64 exec, exec, s[38:39]
	s_and_saveexec_b64 s[38:39], s[14:15]
	s_cbranch_execnz .LBB195_65
.LBB195_49:                             ;   in Loop: Header=BB195_41 Depth=1
	s_or_b64 exec, exec, s[38:39]
	s_and_saveexec_b64 s[38:39], s[16:17]
	s_cbranch_execz .LBB195_66
.LBB195_50:                             ;   in Loop: Header=BB195_41 Depth=1
	v_mov_b32_e32 v11, s52
	ds_read_b32 v11, v11
	s_waitcnt lgkmcnt(0)
	v_add_u32_e32 v10, v11, v10
	s_or_b64 exec, exec, s[38:39]
	s_and_saveexec_b64 s[38:39], s[18:19]
	s_cbranch_execnz .LBB195_67
.LBB195_51:                             ;   in Loop: Header=BB195_41 Depth=1
	s_or_b64 exec, exec, s[38:39]
	s_and_saveexec_b64 s[38:39], s[20:21]
	s_cbranch_execz .LBB195_68
.LBB195_52:                             ;   in Loop: Header=BB195_41 Depth=1
	v_mov_b32_e32 v11, s54
	ds_read_b32 v11, v11
	s_waitcnt lgkmcnt(0)
	v_add_u32_e32 v10, v11, v10
	s_or_b64 exec, exec, s[38:39]
	s_and_saveexec_b64 s[38:39], s[22:23]
	s_cbranch_execnz .LBB195_69
.LBB195_53:                             ;   in Loop: Header=BB195_41 Depth=1
	s_or_b64 exec, exec, s[38:39]
	s_and_saveexec_b64 s[38:39], s[24:25]
	s_cbranch_execz .LBB195_70
.LBB195_54:                             ;   in Loop: Header=BB195_41 Depth=1
	v_mov_b32_e32 v11, s56
	ds_read_b32 v11, v11
	s_waitcnt lgkmcnt(0)
	v_add_u32_e32 v10, v11, v10
	s_or_b64 exec, exec, s[38:39]
	s_and_saveexec_b64 s[38:39], s[26:27]
	s_cbranch_execnz .LBB195_71
.LBB195_55:                             ;   in Loop: Header=BB195_41 Depth=1
	s_or_b64 exec, exec, s[38:39]
	s_and_saveexec_b64 s[38:39], s[28:29]
	s_cbranch_execz .LBB195_72
.LBB195_56:                             ;   in Loop: Header=BB195_41 Depth=1
	v_mov_b32_e32 v11, s58
	ds_read_b32 v11, v11
	s_waitcnt lgkmcnt(0)
	v_add_u32_e32 v10, v11, v10
	s_or_b64 exec, exec, s[38:39]
	s_and_saveexec_b64 s[38:39], s[30:31]
	s_cbranch_execnz .LBB195_73
.LBB195_57:                             ;   in Loop: Header=BB195_41 Depth=1
	s_or_b64 exec, exec, s[38:39]
	s_and_saveexec_b64 s[30:31], vcc
	s_cbranch_execz .LBB195_40
	s_branch .LBB195_74
.LBB195_58:                             ;   in Loop: Header=BB195_41 Depth=1
	s_or_b64 exec, exec, s[38:39]
	s_and_saveexec_b64 s[38:39], s[2:3]
	s_cbranch_execz .LBB195_43
.LBB195_59:                             ;   in Loop: Header=BB195_41 Depth=1
	v_mov_b32_e32 v11, s41
	ds_read_b32 v11, v11
	s_waitcnt lgkmcnt(0)
	v_add_u32_e32 v10, v11, v10
	s_or_b64 exec, exec, s[38:39]
	s_and_saveexec_b64 s[38:39], s[4:5]
	s_cbranch_execnz .LBB195_44
.LBB195_60:                             ;   in Loop: Header=BB195_41 Depth=1
	s_or_b64 exec, exec, s[38:39]
	s_and_saveexec_b64 s[38:39], s[6:7]
	s_cbranch_execz .LBB195_45
.LBB195_61:                             ;   in Loop: Header=BB195_41 Depth=1
	v_mov_b32_e32 v11, s45
	ds_read_b32 v11, v11
	s_waitcnt lgkmcnt(0)
	v_add_u32_e32 v10, v11, v10
	s_or_b64 exec, exec, s[38:39]
	s_and_saveexec_b64 s[38:39], s[8:9]
	s_cbranch_execnz .LBB195_46
.LBB195_62:                             ;   in Loop: Header=BB195_41 Depth=1
	s_or_b64 exec, exec, s[38:39]
	s_and_saveexec_b64 s[38:39], s[10:11]
	s_cbranch_execz .LBB195_47
.LBB195_63:                             ;   in Loop: Header=BB195_41 Depth=1
	v_mov_b32_e32 v11, s49
	ds_read_b32 v11, v11
	s_waitcnt lgkmcnt(0)
	v_add_u32_e32 v10, v11, v10
	s_or_b64 exec, exec, s[38:39]
	s_and_saveexec_b64 s[38:39], s[12:13]
	s_cbranch_execnz .LBB195_48
.LBB195_64:                             ;   in Loop: Header=BB195_41 Depth=1
	s_or_b64 exec, exec, s[38:39]
	s_and_saveexec_b64 s[38:39], s[14:15]
	s_cbranch_execz .LBB195_49
.LBB195_65:                             ;   in Loop: Header=BB195_41 Depth=1
	v_mov_b32_e32 v11, s51
	ds_read_b32 v11, v11
	s_waitcnt lgkmcnt(0)
	v_add_u32_e32 v10, v11, v10
	s_or_b64 exec, exec, s[38:39]
	s_and_saveexec_b64 s[38:39], s[16:17]
	s_cbranch_execnz .LBB195_50
.LBB195_66:                             ;   in Loop: Header=BB195_41 Depth=1
	s_or_b64 exec, exec, s[38:39]
	s_and_saveexec_b64 s[38:39], s[18:19]
	s_cbranch_execz .LBB195_51
.LBB195_67:                             ;   in Loop: Header=BB195_41 Depth=1
	v_mov_b32_e32 v11, s53
	ds_read_b32 v11, v11
	s_waitcnt lgkmcnt(0)
	v_add_u32_e32 v10, v11, v10
	s_or_b64 exec, exec, s[38:39]
	s_and_saveexec_b64 s[38:39], s[20:21]
	s_cbranch_execnz .LBB195_52
.LBB195_68:                             ;   in Loop: Header=BB195_41 Depth=1
	s_or_b64 exec, exec, s[38:39]
	s_and_saveexec_b64 s[38:39], s[22:23]
	s_cbranch_execz .LBB195_53
.LBB195_69:                             ;   in Loop: Header=BB195_41 Depth=1
	v_mov_b32_e32 v11, s55
	ds_read_b32 v11, v11
	s_waitcnt lgkmcnt(0)
	v_add_u32_e32 v10, v11, v10
	s_or_b64 exec, exec, s[38:39]
	s_and_saveexec_b64 s[38:39], s[24:25]
	s_cbranch_execnz .LBB195_54
.LBB195_70:                             ;   in Loop: Header=BB195_41 Depth=1
	s_or_b64 exec, exec, s[38:39]
	s_and_saveexec_b64 s[38:39], s[26:27]
	s_cbranch_execz .LBB195_55
.LBB195_71:                             ;   in Loop: Header=BB195_41 Depth=1
	v_mov_b32_e32 v11, s57
	ds_read_b32 v11, v11
	s_waitcnt lgkmcnt(0)
	v_add_u32_e32 v10, v11, v10
	s_or_b64 exec, exec, s[38:39]
	s_and_saveexec_b64 s[38:39], s[28:29]
	s_cbranch_execnz .LBB195_56
.LBB195_72:                             ;   in Loop: Header=BB195_41 Depth=1
	s_or_b64 exec, exec, s[38:39]
	s_and_saveexec_b64 s[38:39], s[30:31]
	s_cbranch_execz .LBB195_57
.LBB195_73:                             ;   in Loop: Header=BB195_41 Depth=1
	v_add3_u32 v11, v7, -1, v10
	v_lshl_add_u32 v11, v11, 2, 0
	v_add_u32_e32 v12, v7, v10
	v_lshl_add_u32 v12, v12, 3, 0
	ds_write_b32 v11, v9
	ds_write_b64 v12, v[4:5] offset:65528
	s_or_b64 exec, exec, s[38:39]
	s_and_saveexec_b64 s[30:31], vcc
	s_cbranch_execz .LBB195_40
.LBB195_74:                             ;   in Loop: Header=BB195_41 Depth=1
	v_mov_b32_e32 v4, s59
	ds_write_b32 v4, v10
	s_branch .LBB195_40
.LBB195_75:
	s_or_b64 exec, exec, s[36:37]
	s_ashr_i32 s49, s48, 31
	s_lshl_b64 s[0:1], s[48:49], 3
	s_add_u32 s4, s42, s0
	s_addc_u32 s5, s43, s1
	s_load_dwordx4 s[0:3], s[4:5], 0x0
	s_waitcnt lgkmcnt(0)
	s_sub_i32 s8, s2, s0
	v_cmp_gt_i32_e32 vcc, s8, v0
	s_and_saveexec_b64 s[4:5], vcc
	s_cbranch_execz .LBB195_85
; %bb.76:
	s_sub_u32 s4, s0, s46
	s_subb_u32 s5, s1, 0
	s_and_b32 s10, s8, 7
	s_sub_i32 s0, s0, s2
	s_cmp_lt_u32 s0, -7
	s_cselect_b64 s[0:1], -1, 0
	s_and_b32 s11, s8, -8
	s_cmp_lg_u32 s10, 0
	v_cndmask_b32_e64 v1, 0, 1, s[0:1]
	s_cselect_b64 s[2:3], -1, 0
	v_cmp_ne_u32_e64 s[0:1], 1, v1
	v_cndmask_b32_e64 v1, 0, 1, s[2:3]
	s_mov_b32 s9, 0
	s_mov_b64 s[6:7], 0
	v_cmp_ne_u32_e64 s[2:3], 1, v1
	s_branch .LBB195_78
.LBB195_77:                             ;   in Loop: Header=BB195_78 Depth=1
	v_add_u32_e32 v0, 0x400, v0
	v_cmp_le_i32_e32 vcc, s8, v0
	v_lshl_add_u64 v[4:5], v[4:5], 3, s[34:35]
	s_or_b64 s[6:7], vcc, s[6:7]
	s_waitcnt lgkmcnt(0)
	global_store_dwordx2 v[4:5], v[2:3], off
	s_andn2_b64 exec, exec, s[6:7]
	s_cbranch_execz .LBB195_85
.LBB195_78:                             ; =>This Loop Header: Depth=1
                                        ;     Child Loop BB195_80 Depth 2
                                        ;     Child Loop BB195_84 Depth 2
	v_lshl_add_u32 v2, v0, 3, 0
	v_lshl_add_u32 v1, v0, 2, 0
	v_add_u32_e32 v2, 0x10000, v2
	ds_read_b32 v1, v1
	ds_read_b64 v[2:3], v2
	s_and_b64 vcc, exec, s[0:1]
	v_mov_b64_e32 v[4:5], s[4:5]
	s_mov_b32 s12, 0
	s_cbranch_vccnz .LBB195_82
; %bb.79:                               ;   in Loop: Header=BB195_78 Depth=1
	s_mov_b32 s13, 0
	v_mov_b64_e32 v[4:5], s[4:5]
.LBB195_80:                             ;   Parent Loop BB195_78 Depth=1
                                        ; =>  This Inner Loop Header: Depth=2
	v_mov_b32_e32 v6, s13
	ds_read2_b32 v[22:23], v6 offset1:1
	ds_read2_b32 v[24:25], v6 offset0:2 offset1:3
	ds_read2_b32 v[26:27], v6 offset0:4 offset1:5
	;; [unrolled: 1-line block ×3, first 2 shown]
	v_mov_b32_e32 v7, s9
	s_waitcnt lgkmcnt(3)
	v_cmp_gt_i32_e32 vcc, v1, v22
	v_mov_b32_e32 v9, s9
	v_mov_b32_e32 v11, s9
	v_cndmask_b32_e64 v6, 0, 1, vcc
	v_cmp_gt_i32_e32 vcc, v1, v23
	v_lshl_add_u64 v[4:5], v[4:5], 0, v[6:7]
	v_mov_b32_e32 v13, s9
	v_cndmask_b32_e64 v8, 0, 1, vcc
	s_waitcnt lgkmcnt(2)
	v_cmp_gt_i32_e32 vcc, v1, v24
	v_lshl_add_u64 v[4:5], v[4:5], 0, v[8:9]
	v_mov_b32_e32 v15, s9
	v_cndmask_b32_e64 v10, 0, 1, vcc
	v_cmp_gt_i32_e32 vcc, v1, v25
	v_lshl_add_u64 v[4:5], v[4:5], 0, v[10:11]
	v_mov_b32_e32 v17, s9
	v_cndmask_b32_e64 v12, 0, 1, vcc
	s_waitcnt lgkmcnt(1)
	v_cmp_gt_i32_e32 vcc, v1, v26
	v_lshl_add_u64 v[4:5], v[4:5], 0, v[12:13]
	;; [unrolled: 9-line block ×3, first 2 shown]
	s_add_i32 s12, s12, 8
	v_cndmask_b32_e64 v18, 0, 1, vcc
	v_cmp_gt_i32_e32 vcc, v1, v29
	s_add_i32 s13, s13, 32
	v_lshl_add_u64 v[4:5], v[4:5], 0, v[18:19]
	v_cndmask_b32_e64 v20, 0, 1, vcc
	s_cmp_eq_u32 s11, s12
	v_lshl_add_u64 v[4:5], v[4:5], 0, v[20:21]
	s_cbranch_scc0 .LBB195_80
; %bb.81:                               ;   in Loop: Header=BB195_78 Depth=1
	s_mov_b32 s12, s11
.LBB195_82:                             ;   in Loop: Header=BB195_78 Depth=1
	s_and_b64 vcc, exec, s[2:3]
	s_cbranch_vccnz .LBB195_77
; %bb.83:                               ;   in Loop: Header=BB195_78 Depth=1
	s_lshl_b32 s12, s12, 2
	s_add_i32 s12, s12, 0
	s_mov_b32 s13, s10
.LBB195_84:                             ;   Parent Loop BB195_78 Depth=1
                                        ; =>  This Inner Loop Header: Depth=2
	v_mov_b32_e32 v6, s12
	ds_read_b32 v6, v6
	v_mov_b32_e32 v7, s9
	s_add_i32 s12, s12, 4
	s_add_i32 s13, s13, -1
	s_cmp_lg_u32 s13, 0
	s_waitcnt lgkmcnt(0)
	v_cmp_gt_i32_e32 vcc, v1, v6
	s_nop 1
	v_cndmask_b32_e64 v6, 0, 1, vcc
	v_lshl_add_u64 v[4:5], v[4:5], 0, v[6:7]
	s_cbranch_scc1 .LBB195_84
	s_branch .LBB195_77
.LBB195_85:
	s_endpgm
	.section	.rodata,"a",@progbits
	.p2align	6, 0x0
	.amdhsa_kernel _ZN9rocsparseL41csrgemm_numeric_fill_block_per_row_kernelILj1024ELj64ELj16384ELj137ELj64ElidEEvT5_PKS1_S3_NS_24const_host_device_scalarIT6_EEPKT4_S3_PKS5_S9_S3_SB_S6_S9_S3_SB_S9_S3_PS5_21rocsparse_index_base_SD_SD_SD_bbb
		.amdhsa_group_segment_fixed_size 0
		.amdhsa_private_segment_fixed_size 0
		.amdhsa_kernarg_size 156
		.amdhsa_user_sgpr_count 2
		.amdhsa_user_sgpr_dispatch_ptr 0
		.amdhsa_user_sgpr_queue_ptr 0
		.amdhsa_user_sgpr_kernarg_segment_ptr 1
		.amdhsa_user_sgpr_dispatch_id 0
		.amdhsa_user_sgpr_kernarg_preload_length 0
		.amdhsa_user_sgpr_kernarg_preload_offset 0
		.amdhsa_user_sgpr_private_segment_size 0
		.amdhsa_uses_dynamic_stack 0
		.amdhsa_enable_private_segment 0
		.amdhsa_system_sgpr_workgroup_id_x 1
		.amdhsa_system_sgpr_workgroup_id_y 0
		.amdhsa_system_sgpr_workgroup_id_z 0
		.amdhsa_system_sgpr_workgroup_info 0
		.amdhsa_system_vgpr_workitem_id 0
		.amdhsa_next_free_vgpr 30
		.amdhsa_next_free_sgpr 61
		.amdhsa_accum_offset 32
		.amdhsa_reserve_vcc 1
		.amdhsa_float_round_mode_32 0
		.amdhsa_float_round_mode_16_64 0
		.amdhsa_float_denorm_mode_32 3
		.amdhsa_float_denorm_mode_16_64 3
		.amdhsa_dx10_clamp 1
		.amdhsa_ieee_mode 1
		.amdhsa_fp16_overflow 0
		.amdhsa_tg_split 0
		.amdhsa_exception_fp_ieee_invalid_op 0
		.amdhsa_exception_fp_denorm_src 0
		.amdhsa_exception_fp_ieee_div_zero 0
		.amdhsa_exception_fp_ieee_overflow 0
		.amdhsa_exception_fp_ieee_underflow 0
		.amdhsa_exception_fp_ieee_inexact 0
		.amdhsa_exception_int_div_zero 0
	.end_amdhsa_kernel
	.section	.text._ZN9rocsparseL41csrgemm_numeric_fill_block_per_row_kernelILj1024ELj64ELj16384ELj137ELj64ElidEEvT5_PKS1_S3_NS_24const_host_device_scalarIT6_EEPKT4_S3_PKS5_S9_S3_SB_S6_S9_S3_SB_S9_S3_PS5_21rocsparse_index_base_SD_SD_SD_bbb,"axG",@progbits,_ZN9rocsparseL41csrgemm_numeric_fill_block_per_row_kernelILj1024ELj64ELj16384ELj137ELj64ElidEEvT5_PKS1_S3_NS_24const_host_device_scalarIT6_EEPKT4_S3_PKS5_S9_S3_SB_S6_S9_S3_SB_S9_S3_PS5_21rocsparse_index_base_SD_SD_SD_bbb,comdat
.Lfunc_end195:
	.size	_ZN9rocsparseL41csrgemm_numeric_fill_block_per_row_kernelILj1024ELj64ELj16384ELj137ELj64ElidEEvT5_PKS1_S3_NS_24const_host_device_scalarIT6_EEPKT4_S3_PKS5_S9_S3_SB_S6_S9_S3_SB_S9_S3_PS5_21rocsparse_index_base_SD_SD_SD_bbb, .Lfunc_end195-_ZN9rocsparseL41csrgemm_numeric_fill_block_per_row_kernelILj1024ELj64ELj16384ELj137ELj64ElidEEvT5_PKS1_S3_NS_24const_host_device_scalarIT6_EEPKT4_S3_PKS5_S9_S3_SB_S6_S9_S3_SB_S9_S3_PS5_21rocsparse_index_base_SD_SD_SD_bbb
                                        ; -- End function
	.set _ZN9rocsparseL41csrgemm_numeric_fill_block_per_row_kernelILj1024ELj64ELj16384ELj137ELj64ElidEEvT5_PKS1_S3_NS_24const_host_device_scalarIT6_EEPKT4_S3_PKS5_S9_S3_SB_S6_S9_S3_SB_S9_S3_PS5_21rocsparse_index_base_SD_SD_SD_bbb.num_vgpr, 30
	.set _ZN9rocsparseL41csrgemm_numeric_fill_block_per_row_kernelILj1024ELj64ELj16384ELj137ELj64ElidEEvT5_PKS1_S3_NS_24const_host_device_scalarIT6_EEPKT4_S3_PKS5_S9_S3_SB_S6_S9_S3_SB_S9_S3_PS5_21rocsparse_index_base_SD_SD_SD_bbb.num_agpr, 0
	.set _ZN9rocsparseL41csrgemm_numeric_fill_block_per_row_kernelILj1024ELj64ELj16384ELj137ELj64ElidEEvT5_PKS1_S3_NS_24const_host_device_scalarIT6_EEPKT4_S3_PKS5_S9_S3_SB_S6_S9_S3_SB_S9_S3_PS5_21rocsparse_index_base_SD_SD_SD_bbb.numbered_sgpr, 61
	.set _ZN9rocsparseL41csrgemm_numeric_fill_block_per_row_kernelILj1024ELj64ELj16384ELj137ELj64ElidEEvT5_PKS1_S3_NS_24const_host_device_scalarIT6_EEPKT4_S3_PKS5_S9_S3_SB_S6_S9_S3_SB_S9_S3_PS5_21rocsparse_index_base_SD_SD_SD_bbb.num_named_barrier, 0
	.set _ZN9rocsparseL41csrgemm_numeric_fill_block_per_row_kernelILj1024ELj64ELj16384ELj137ELj64ElidEEvT5_PKS1_S3_NS_24const_host_device_scalarIT6_EEPKT4_S3_PKS5_S9_S3_SB_S6_S9_S3_SB_S9_S3_PS5_21rocsparse_index_base_SD_SD_SD_bbb.private_seg_size, 0
	.set _ZN9rocsparseL41csrgemm_numeric_fill_block_per_row_kernelILj1024ELj64ELj16384ELj137ELj64ElidEEvT5_PKS1_S3_NS_24const_host_device_scalarIT6_EEPKT4_S3_PKS5_S9_S3_SB_S6_S9_S3_SB_S9_S3_PS5_21rocsparse_index_base_SD_SD_SD_bbb.uses_vcc, 1
	.set _ZN9rocsparseL41csrgemm_numeric_fill_block_per_row_kernelILj1024ELj64ELj16384ELj137ELj64ElidEEvT5_PKS1_S3_NS_24const_host_device_scalarIT6_EEPKT4_S3_PKS5_S9_S3_SB_S6_S9_S3_SB_S9_S3_PS5_21rocsparse_index_base_SD_SD_SD_bbb.uses_flat_scratch, 0
	.set _ZN9rocsparseL41csrgemm_numeric_fill_block_per_row_kernelILj1024ELj64ELj16384ELj137ELj64ElidEEvT5_PKS1_S3_NS_24const_host_device_scalarIT6_EEPKT4_S3_PKS5_S9_S3_SB_S6_S9_S3_SB_S9_S3_PS5_21rocsparse_index_base_SD_SD_SD_bbb.has_dyn_sized_stack, 0
	.set _ZN9rocsparseL41csrgemm_numeric_fill_block_per_row_kernelILj1024ELj64ELj16384ELj137ELj64ElidEEvT5_PKS1_S3_NS_24const_host_device_scalarIT6_EEPKT4_S3_PKS5_S9_S3_SB_S6_S9_S3_SB_S9_S3_PS5_21rocsparse_index_base_SD_SD_SD_bbb.has_recursion, 0
	.set _ZN9rocsparseL41csrgemm_numeric_fill_block_per_row_kernelILj1024ELj64ELj16384ELj137ELj64ElidEEvT5_PKS1_S3_NS_24const_host_device_scalarIT6_EEPKT4_S3_PKS5_S9_S3_SB_S6_S9_S3_SB_S9_S3_PS5_21rocsparse_index_base_SD_SD_SD_bbb.has_indirect_call, 0
	.section	.AMDGPU.csdata,"",@progbits
; Kernel info:
; codeLenInByte = 3276
; TotalNumSgprs: 67
; NumVgprs: 30
; NumAgprs: 0
; TotalNumVgprs: 30
; ScratchSize: 0
; MemoryBound: 0
; FloatMode: 240
; IeeeMode: 1
; LDSByteSize: 0 bytes/workgroup (compile time only)
; SGPRBlocks: 8
; VGPRBlocks: 3
; NumSGPRsForWavesPerEU: 67
; NumVGPRsForWavesPerEU: 30
; AccumOffset: 32
; Occupancy: 8
; WaveLimiterHint : 1
; COMPUTE_PGM_RSRC2:SCRATCH_EN: 0
; COMPUTE_PGM_RSRC2:USER_SGPR: 2
; COMPUTE_PGM_RSRC2:TRAP_HANDLER: 0
; COMPUTE_PGM_RSRC2:TGID_X_EN: 1
; COMPUTE_PGM_RSRC2:TGID_Y_EN: 0
; COMPUTE_PGM_RSRC2:TGID_Z_EN: 0
; COMPUTE_PGM_RSRC2:TIDIG_COMP_CNT: 0
; COMPUTE_PGM_RSRC3_GFX90A:ACCUM_OFFSET: 7
; COMPUTE_PGM_RSRC3_GFX90A:TG_SPLIT: 0
	.section	.text._ZN9rocsparseL41csrgemm_numeric_fill_block_per_row_kernelILj1024ELj64ELj32768ELj137ELj32ElidEEvT5_PKS1_S3_NS_24const_host_device_scalarIT6_EEPKT4_S3_PKS5_S9_S3_SB_S6_S9_S3_SB_S9_S3_PS5_21rocsparse_index_base_SD_SD_SD_bbb,"axG",@progbits,_ZN9rocsparseL41csrgemm_numeric_fill_block_per_row_kernelILj1024ELj64ELj32768ELj137ELj32ElidEEvT5_PKS1_S3_NS_24const_host_device_scalarIT6_EEPKT4_S3_PKS5_S9_S3_SB_S6_S9_S3_SB_S9_S3_PS5_21rocsparse_index_base_SD_SD_SD_bbb,comdat
	.globl	_ZN9rocsparseL41csrgemm_numeric_fill_block_per_row_kernelILj1024ELj64ELj32768ELj137ELj32ElidEEvT5_PKS1_S3_NS_24const_host_device_scalarIT6_EEPKT4_S3_PKS5_S9_S3_SB_S6_S9_S3_SB_S9_S3_PS5_21rocsparse_index_base_SD_SD_SD_bbb ; -- Begin function _ZN9rocsparseL41csrgemm_numeric_fill_block_per_row_kernelILj1024ELj64ELj32768ELj137ELj32ElidEEvT5_PKS1_S3_NS_24const_host_device_scalarIT6_EEPKT4_S3_PKS5_S9_S3_SB_S6_S9_S3_SB_S9_S3_PS5_21rocsparse_index_base_SD_SD_SD_bbb
	.p2align	8
	.type	_ZN9rocsparseL41csrgemm_numeric_fill_block_per_row_kernelILj1024ELj64ELj32768ELj137ELj32ElidEEvT5_PKS1_S3_NS_24const_host_device_scalarIT6_EEPKT4_S3_PKS5_S9_S3_SB_S6_S9_S3_SB_S9_S3_PS5_21rocsparse_index_base_SD_SD_SD_bbb,@function
_ZN9rocsparseL41csrgemm_numeric_fill_block_per_row_kernelILj1024ELj64ELj32768ELj137ELj32ElidEEvT5_PKS1_S3_NS_24const_host_device_scalarIT6_EEPKT4_S3_PKS5_S9_S3_SB_S6_S9_S3_SB_S9_S3_PS5_21rocsparse_index_base_SD_SD_SD_bbb: ; @_ZN9rocsparseL41csrgemm_numeric_fill_block_per_row_kernelILj1024ELj64ELj32768ELj137ELj32ElidEEvT5_PKS1_S3_NS_24const_host_device_scalarIT6_EEPKT4_S3_PKS5_S9_S3_SB_S6_S9_S3_SB_S9_S3_PS5_21rocsparse_index_base_SD_SD_SD_bbb
; %bb.0:
	s_load_dword s3, s[0:1], 0x98
	s_load_dwordx4 s[68:71], s[0:1], 0x88
	s_load_dwordx2 s[4:5], s[0:1], 0x18
	s_load_dwordx2 s[24:25], s[0:1], 0x50
	s_waitcnt lgkmcnt(0)
	s_bitcmp1_b32 s3, 0
	s_cselect_b64 s[22:23], -1, 0
	s_bitcmp1_b32 s3, 16
	s_cselect_b64 s[26:27], -1, 0
	s_xor_b64 s[6:7], s[22:23], -1
	s_or_b64 s[6:7], s[26:27], s[6:7]
	s_and_b64 s[8:9], s[22:23], exec
	s_cselect_b32 s9, s5, 0
	s_cselect_b32 s8, s4, 0
	s_and_b64 vcc, exec, s[6:7]
	v_mov_b64_e32 v[4:5], s[8:9]
	s_cbranch_vccnz .LBB196_2
; %bb.1:
	v_mov_b64_e32 v[2:3], s[4:5]
	flat_load_dwordx2 v[4:5], v[2:3]
.LBB196_2:
	s_load_dwordx2 s[4:5], s[0:1], 0x80
                                        ; implicit-def: $vgpr30 : SGPR spill to VGPR lane
	s_bitcmp1_b32 s3, 8
	s_cselect_b64 s[20:21], -1, 0
	s_xor_b64 s[28:29], s[20:21], -1
	s_or_b64 s[26:27], s[26:27], s[28:29]
	s_waitcnt lgkmcnt(0)
	v_writelane_b32 v30, s4, 0
	s_and_b64 s[28:29], s[20:21], exec
	s_cselect_b32 s29, s25, 0
	v_writelane_b32 v30, s5, 1
	s_load_dwordx8 s[4:11], s[0:1], 0x58
	s_cselect_b32 s28, s24, 0
	s_and_b64 vcc, exec, s[26:27]
	v_mov_b64_e32 v[2:3], s[28:29]
	s_waitcnt lgkmcnt(0)
	v_writelane_b32 v30, s4, 2
	s_nop 1
	v_writelane_b32 v30, s5, 3
	v_writelane_b32 v30, s6, 4
	v_writelane_b32 v30, s7, 5
	v_writelane_b32 v30, s8, 6
	v_writelane_b32 v30, s9, 7
	v_writelane_b32 v30, s10, 8
	v_writelane_b32 v30, s11, 9
	s_load_dwordx4 s[12:15], s[0:1], 0x40
	s_load_dwordx4 s[16:19], s[0:1], 0x8
	s_load_dwordx8 s[4:11], s[0:1], 0x20
	s_cbranch_vccnz .LBB196_4
; %bb.3:
	v_mov_b64_e32 v[2:3], s[24:25]
	flat_load_dwordx2 v[2:3], v[2:3]
.LBB196_4:
	s_load_dword s33, s[0:1], 0x0
	v_lshl_add_u32 v7, v0, 3, 0
	v_or_b32_e32 v1, 0xfffffc00, v0
	v_mov_b32_e32 v6, 0
	v_add_u32_e32 v18, 0x20000, v7
	v_lshl_add_u32 v19, v0, 2, 0
	s_mov_b64 s[0:1], 0
	s_waitcnt lgkmcnt(0)
	v_mov_b32_e32 v11, s33
	v_mov_b32_e32 v7, v6
	s_movk_i32 s3, 0x7bff
	v_mov_b32_e32 v8, v19
	v_mov_b32_e32 v9, v18
	v_mov_b32_e32 v10, v1
.LBB196_5:                              ; =>This Inner Loop Header: Depth=1
	v_add_u32_e32 v10, 0x400, v10
	v_cmp_lt_u32_e32 vcc, s3, v10
	ds_write_b32 v8, v11
	ds_write_b64 v9, v[6:7]
	v_add_u32_e32 v9, 0x2000, v9
	s_or_b64 s[0:1], vcc, s[0:1]
	v_add_u32_e32 v8, 0x1000, v8
	s_andn2_b64 exec, exec, s[0:1]
	s_cbranch_execnz .LBB196_5
; %bb.6:
	s_or_b64 exec, exec, s[0:1]
	s_waitcnt lgkmcnt(0)
	s_barrier
	s_load_dword s0, s[16:17], 0x0
	s_mov_b32 s1, 0
	s_waitcnt lgkmcnt(0)
	s_add_i32 s0, s0, s2
	s_lshl_b64 s[0:1], s[0:1], 2
	s_add_u32 s0, s18, s0
	s_addc_u32 s1, s19, s1
	s_load_dword s0, s[0:1], 0x0
	s_and_b64 vcc, exec, s[22:23]
	s_waitcnt lgkmcnt(0)
	v_writelane_b32 v30, s0, 10
	s_nop 1
	v_writelane_b32 v30, s1, 11
	s_cbranch_vccz .LBB196_24
; %bb.7:
	v_readlane_b32 s0, v30, 10
	v_readlane_b32 s1, v30, 11
	s_mov_b32 s2, s0
	s_ashr_i32 s3, s0, 31
	v_writelane_b32 v30, s0, 10
	v_lshrrev_b32_e32 v6, 6, v0
	v_subrev_co_u32_e32 v6, vcc, s68, v6
	v_writelane_b32 v30, s1, 11
	s_lshl_b64 s[0:1], s[2:3], 3
	s_add_u32 s0, s4, s0
	s_addc_u32 s1, s5, s1
	s_load_dwordx4 s[16:19], s[0:1], 0x0
	v_subb_co_u32_e64 v7, s[2:3], 0, 0, vcc
	s_waitcnt lgkmcnt(0)
	s_sub_u32 s0, s18, s68
	s_subb_u32 s1, s19, 0
	v_lshl_add_u64 v[6:7], s[16:17], 0, v[6:7]
	v_cmp_gt_i64_e32 vcc, s[0:1], v[6:7]
	s_and_saveexec_b64 s[2:3], vcc
	s_cbranch_execz .LBB196_23
; %bb.8:
	v_and_b32_e32 v8, 63, v0
	v_subrev_co_u32_e32 v8, vcc, s69, v8
	s_mov_b32 s34, s69
	s_nop 0
	v_subb_co_u32_e64 v9, s[4:5], 0, 0, vcc
	s_mov_b64 s[4:5], 0
	s_movk_i32 s35, 0x89
	s_branch .LBB196_10
.LBB196_9:                              ;   in Loop: Header=BB196_10 Depth=1
	s_or_b64 exec, exec, s[16:17]
	v_lshl_add_u64 v[6:7], v[6:7], 0, 16
	v_cmp_le_i64_e32 vcc, s[0:1], v[6:7]
	s_or_b64 s[4:5], vcc, s[4:5]
	s_andn2_b64 exec, exec, s[4:5]
	s_cbranch_execz .LBB196_23
.LBB196_10:                             ; =>This Loop Header: Depth=1
                                        ;     Child Loop BB196_14 Depth 2
                                        ;       Child Loop BB196_17 Depth 3
	v_lshl_add_u64 v[10:11], v[6:7], 2, s[6:7]
	global_load_dword v10, v[10:11], off
	s_waitcnt vmcnt(0)
	v_subrev_u32_e32 v10, s68, v10
	v_ashrrev_i32_e32 v11, 31, v10
	v_lshl_add_u64 v[10:11], v[10:11], 3, s[10:11]
	global_load_dwordx4 v[12:15], v[10:11], off
	s_waitcnt vmcnt(0)
	v_subrev_co_u32_e32 v10, vcc, s34, v14
	s_nop 1
	v_subbrev_co_u32_e32 v11, vcc, 0, v15, vcc
	v_lshl_add_u64 v[12:13], v[12:13], 0, v[8:9]
	v_cmp_lt_i64_e32 vcc, v[12:13], v[10:11]
	s_and_saveexec_b64 s[16:17], vcc
	s_cbranch_execz .LBB196_9
; %bb.11:                               ;   in Loop: Header=BB196_10 Depth=1
	v_lshl_add_u64 v[14:15], v[6:7], 3, s[8:9]
	global_load_dwordx2 v[14:15], v[14:15], off
	s_mov_b64 s[18:19], 0
	s_waitcnt vmcnt(0)
	v_mul_f64 v[14:15], v[4:5], v[14:15]
	s_branch .LBB196_14
.LBB196_12:                             ;   in Loop: Header=BB196_14 Depth=2
	s_or_b64 exec, exec, s[24:25]
.LBB196_13:                             ;   in Loop: Header=BB196_14 Depth=2
	s_or_b64 exec, exec, s[22:23]
	v_lshl_add_u32 v20, v20, 3, 0
	s_waitcnt vmcnt(0)
	v_mul_f64 v[16:17], v[14:15], v[16:17]
	v_add_u32_e32 v20, 0x20000, v20
	ds_add_f64 v20, v[16:17]
	v_lshl_add_u64 v[12:13], v[12:13], 0, 64
	v_cmp_ge_i64_e32 vcc, v[12:13], v[10:11]
	s_or_b64 s[18:19], vcc, s[18:19]
	s_andn2_b64 exec, exec, s[18:19]
	s_cbranch_execz .LBB196_9
.LBB196_14:                             ;   Parent Loop BB196_10 Depth=1
                                        ; =>  This Loop Header: Depth=2
                                        ;       Child Loop BB196_17 Depth 3
	v_lshl_add_u64 v[16:17], v[12:13], 2, s[12:13]
	global_load_dword v20, v[16:17], off
	v_lshl_add_u64 v[16:17], v[12:13], 3, s[14:15]
	global_load_dwordx2 v[16:17], v[16:17], off
	s_waitcnt vmcnt(1)
	v_subrev_u32_e32 v21, s69, v20
	v_mul_lo_u32 v20, v21, s35
	v_and_b32_e32 v20, 0x7fff, v20
	v_lshl_add_u32 v22, v20, 2, 0
	ds_read_b32 v23, v22
	s_waitcnt lgkmcnt(0)
	v_cmp_ne_u32_e32 vcc, v23, v21
	s_and_saveexec_b64 s[22:23], vcc
	s_cbranch_execz .LBB196_13
; %bb.15:                               ;   in Loop: Header=BB196_14 Depth=2
	s_mov_b64 s[24:25], 0
	s_branch .LBB196_17
.LBB196_16:                             ;   in Loop: Header=BB196_17 Depth=3
	s_or_b64 exec, exec, s[30:31]
	s_and_b64 s[26:27], exec, s[28:29]
	s_or_b64 s[24:25], s[26:27], s[24:25]
	s_andn2_b64 exec, exec, s[24:25]
	s_cbranch_execz .LBB196_12
.LBB196_17:                             ;   Parent Loop BB196_10 Depth=1
                                        ;     Parent Loop BB196_14 Depth=2
                                        ; =>    This Inner Loop Header: Depth=3
	v_cmp_ne_u32_e32 vcc, s33, v23
	s_mov_b64 s[26:27], 0
	s_and_saveexec_b64 s[28:29], vcc
	s_xor_b64 s[28:29], exec, s[28:29]
	s_cbranch_execz .LBB196_19
; %bb.18:                               ;   in Loop: Header=BB196_17 Depth=3
	v_add_u32_e32 v20, 1, v20
	s_mov_b64 s[26:27], exec
	v_and_b32_e32 v20, 0x7fff, v20
                                        ; implicit-def: $vgpr22
	s_andn2_saveexec_b64 s[28:29], s[28:29]
	s_cbranch_execz .LBB196_21
	s_branch .LBB196_20
.LBB196_19:                             ;   in Loop: Header=BB196_17 Depth=3
	s_andn2_saveexec_b64 s[28:29], s[28:29]
	s_cbranch_execz .LBB196_21
.LBB196_20:                             ;   in Loop: Header=BB196_17 Depth=3
	v_mov_b32_e32 v23, s33
	ds_cmpst_rtn_b32 v22, v22, v23, v21
	s_andn2_b64 s[26:27], s[26:27], exec
	s_waitcnt lgkmcnt(0)
	v_cmp_ne_u32_e32 vcc, s33, v22
	s_and_b64 s[30:31], vcc, exec
	s_or_b64 s[26:27], s[26:27], s[30:31]
.LBB196_21:                             ;   in Loop: Header=BB196_17 Depth=3
	s_or_b64 exec, exec, s[28:29]
	s_mov_b64 s[28:29], -1
                                        ; implicit-def: $vgpr22
                                        ; implicit-def: $vgpr23
	s_and_saveexec_b64 s[30:31], s[26:27]
	s_cbranch_execz .LBB196_16
; %bb.22:                               ;   in Loop: Header=BB196_17 Depth=3
	v_lshl_add_u32 v22, v20, 2, 0
	ds_read_b32 v23, v22
	s_waitcnt lgkmcnt(0)
	v_cmp_eq_u32_e32 vcc, v23, v21
	s_orn2_b64 s[28:29], vcc, exec
	s_branch .LBB196_16
.LBB196_23:
	s_or_b64 exec, exec, s[2:3]
.LBB196_24:
	s_andn2_b64 vcc, exec, s[20:21]
	s_cbranch_vccnz .LBB196_39
; %bb.25:
	v_readlane_b32 s0, v30, 10
	v_readlane_b32 s1, v30, 11
	s_mov_b32 s2, s0
	s_ashr_i32 s3, s0, 31
	v_writelane_b32 v30, s0, 10
	s_waitcnt vmcnt(0)
	v_subrev_co_u32_e32 v4, vcc, s71, v0
	v_writelane_b32 v30, s1, 11
	s_lshl_b64 s[0:1], s[2:3], 3
	v_readlane_b32 s4, v30, 2
	v_readlane_b32 s5, v30, 3
	s_add_u32 s0, s4, s0
	v_readlane_b32 s6, v30, 4
	v_readlane_b32 s7, v30, 5
	s_addc_u32 s1, s5, s1
	s_load_dwordx4 s[4:7], s[0:1], 0x0
	v_subb_co_u32_e64 v5, s[0:1], 0, 0, vcc
	v_readlane_b32 s8, v30, 6
	v_readlane_b32 s9, v30, 7
	s_waitcnt lgkmcnt(0)
	s_sub_u32 s0, s6, s71
	s_subb_u32 s1, s7, 0
	v_lshl_add_u64 v[4:5], s[4:5], 0, v[4:5]
	v_cmp_gt_i64_e32 vcc, s[0:1], v[4:5]
	v_readlane_b32 s10, v30, 8
	v_readlane_b32 s11, v30, 9
	s_and_saveexec_b64 s[2:3], vcc
	s_cbranch_execz .LBB196_38
; %bb.26:
	s_mov_b64 s[4:5], 0
	s_movk_i32 s18, 0x89
	s_mov_b64 s[6:7], 0x400
	s_branch .LBB196_29
.LBB196_27:                             ;   in Loop: Header=BB196_29 Depth=1
	s_or_b64 exec, exec, s[10:11]
.LBB196_28:                             ;   in Loop: Header=BB196_29 Depth=1
	s_or_b64 exec, exec, s[8:9]
	v_lshl_add_u32 v8, v8, 3, 0
	s_waitcnt vmcnt(0)
	v_mul_f64 v[6:7], v[2:3], v[6:7]
	v_add_u32_e32 v8, 0x20000, v8
	ds_add_f64 v8, v[6:7]
	v_lshl_add_u64 v[4:5], v[4:5], 0, s[6:7]
	v_cmp_le_i64_e32 vcc, s[0:1], v[4:5]
	s_or_b64 s[4:5], vcc, s[4:5]
	s_andn2_b64 exec, exec, s[4:5]
	s_cbranch_execz .LBB196_38
.LBB196_29:                             ; =>This Loop Header: Depth=1
                                        ;     Child Loop BB196_32 Depth 2
	v_readlane_b32 s8, v30, 2
	v_readlane_b32 s10, v30, 4
	;; [unrolled: 1-line block ×5, first 2 shown]
	v_lshl_add_u64 v[6:7], v[4:5], 2, s[10:11]
	global_load_dword v8, v[6:7], off
	v_lshl_add_u64 v[6:7], v[4:5], 3, s[12:13]
	global_load_dwordx2 v[6:7], v[6:7], off
	v_readlane_b32 s9, v30, 3
	v_readlane_b32 s14, v30, 8
	;; [unrolled: 1-line block ×3, first 2 shown]
	s_waitcnt vmcnt(1)
	v_subrev_u32_e32 v9, s71, v8
	v_mul_lo_u32 v8, v9, s18
	v_and_b32_e32 v8, 0x7fff, v8
	v_lshl_add_u32 v10, v8, 2, 0
	ds_read_b32 v11, v10
	s_waitcnt lgkmcnt(0)
	v_cmp_ne_u32_e32 vcc, v11, v9
	s_and_saveexec_b64 s[8:9], vcc
	s_cbranch_execz .LBB196_28
; %bb.30:                               ;   in Loop: Header=BB196_29 Depth=1
	s_mov_b64 s[10:11], 0
	s_branch .LBB196_32
.LBB196_31:                             ;   in Loop: Header=BB196_32 Depth=2
	s_or_b64 exec, exec, s[16:17]
	s_and_b64 s[12:13], exec, s[14:15]
	s_or_b64 s[10:11], s[12:13], s[10:11]
	s_andn2_b64 exec, exec, s[10:11]
	s_cbranch_execz .LBB196_27
.LBB196_32:                             ;   Parent Loop BB196_29 Depth=1
                                        ; =>  This Inner Loop Header: Depth=2
	v_cmp_ne_u32_e32 vcc, s33, v11
	s_mov_b64 s[12:13], 0
	s_and_saveexec_b64 s[14:15], vcc
	s_xor_b64 s[14:15], exec, s[14:15]
	s_cbranch_execz .LBB196_34
; %bb.33:                               ;   in Loop: Header=BB196_32 Depth=2
	v_add_u32_e32 v8, 1, v8
	s_mov_b64 s[12:13], exec
	v_and_b32_e32 v8, 0x7fff, v8
                                        ; implicit-def: $vgpr10
	s_andn2_saveexec_b64 s[14:15], s[14:15]
	s_cbranch_execz .LBB196_36
	s_branch .LBB196_35
.LBB196_34:                             ;   in Loop: Header=BB196_32 Depth=2
	s_andn2_saveexec_b64 s[14:15], s[14:15]
	s_cbranch_execz .LBB196_36
.LBB196_35:                             ;   in Loop: Header=BB196_32 Depth=2
	v_mov_b32_e32 v11, s33
	ds_cmpst_rtn_b32 v10, v10, v11, v9
	s_andn2_b64 s[12:13], s[12:13], exec
	s_waitcnt lgkmcnt(0)
	v_cmp_ne_u32_e32 vcc, s33, v10
	s_and_b64 s[16:17], vcc, exec
	s_or_b64 s[12:13], s[12:13], s[16:17]
.LBB196_36:                             ;   in Loop: Header=BB196_32 Depth=2
	s_or_b64 exec, exec, s[14:15]
	s_mov_b64 s[14:15], -1
                                        ; implicit-def: $vgpr10
                                        ; implicit-def: $vgpr11
	s_and_saveexec_b64 s[16:17], s[12:13]
	s_cbranch_execz .LBB196_31
; %bb.37:                               ;   in Loop: Header=BB196_32 Depth=2
	v_lshl_add_u32 v10, v8, 2, 0
	ds_read_b32 v11, v10
	s_waitcnt lgkmcnt(0)
	v_cmp_eq_u32_e32 vcc, v11, v9
	s_orn2_b64 s[14:15], vcc, exec
	s_branch .LBB196_31
.LBB196_38:
	s_or_b64 exec, exec, s[2:3]
.LBB196_39:
	s_add_i32 s0, 0, 0x60000
	s_waitcnt vmcnt(0)
	v_lshrrev_b32_e32 v4, 3, v0
	v_writelane_b32 v30, s0, 12
	s_add_i32 s60, 0, 0x60004
	v_mbcnt_lo_u32_b32 v2, -1, 0
	v_and_b32_e32 v4, 0x7c, v4
	v_writelane_b32 v30, s60, 13
	s_add_i32 s60, 0, 0x60008
	v_mbcnt_hi_u32_b32 v2, -1, v2
	v_add_u32_e32 v6, s0, v4
	s_movk_i32 s0, 0x3ff
	v_writelane_b32 v30, s60, 14
	s_add_i32 s60, 0, 0x6000c
	v_sub_u32_e32 v2, 63, v2
	v_cmp_eq_u32_e32 vcc, s0, v0
	s_movk_i32 s0, 0x5f
	s_movk_i32 s2, 0x7f
	;; [unrolled: 1-line block ×29, first 2 shown]
	v_writelane_b32 v30, s60, 15
	s_add_i32 s60, 0, 0x60014
	v_lshrrev_b64 v[2:3], v2, -1
	v_cmp_lt_u32_e64 s[0:1], s0, v0
	v_cmp_lt_u32_e64 s[2:3], s2, v0
	;; [unrolled: 1-line block ×29, first 2 shown]
	v_mov_b32_e32 v7, 0
	s_add_i32 s79, 0, 0x60010
	v_writelane_b32 v30, s60, 16
	s_add_i32 s82, 0, 0x60018
	s_add_i32 s83, 0, 0x6001c
	;; [unrolled: 1-line block ×26, first 2 shown]
	v_cmp_lt_u32_e64 s[60:61], 31, v0
	v_cmp_lt_u32_e64 s[62:63], 63, v0
	s_mov_b64 s[68:69], 0
	s_waitcnt lgkmcnt(0)
	s_barrier
	s_branch .LBB196_41
.LBB196_40:                             ;   in Loop: Header=BB196_41 Depth=1
	s_or_b64 exec, exec, s[64:65]
	v_mov_b32_e32 v4, s78
	s_waitcnt lgkmcnt(0)
	s_barrier
	ds_read_b32 v4, v4
	v_add_u32_e32 v1, 0x400, v1
	s_movk_i32 s64, 0x7bff
	v_cmp_lt_u32_e64 s[64:65], s64, v1
	v_add_u32_e32 v18, 0x2000, v18
	s_waitcnt lgkmcnt(0)
	v_add_u32_e32 v7, v4, v7
	s_or_b64 s[68:69], s[64:65], s[68:69]
	v_add_u32_e32 v19, 0x1000, v19
	s_andn2_b64 exec, exec, s[68:69]
	s_cbranch_execz .LBB196_107
.LBB196_41:                             ; =>This Inner Loop Header: Depth=1
	ds_read_b32 v8, v19
	ds_read_b64 v[4:5], v18
	s_waitcnt lgkmcnt(0)
	s_barrier
	v_cmp_gt_i32_e64 s[64:65], s33, v8
	s_bcnt1_i32_b64 s76, s[64:65]
	s_nop 0
	v_and_b32_e32 v10, s64, v2
	v_and_b32_e32 v9, s65, v3
	v_bcnt_u32_b32 v10, v10, 0
	v_bcnt_u32_b32 v9, v9, v10
	v_mov_b32_e32 v10, s76
	ds_write_b32 v6, v10
	s_waitcnt lgkmcnt(0)
	s_barrier
	s_and_saveexec_b64 s[76:77], s[60:61]
	s_cbranch_execz .LBB196_74
; %bb.42:                               ;   in Loop: Header=BB196_41 Depth=1
	v_readlane_b32 s80, v30, 12
	s_nop 1
	v_mov_b32_e32 v10, s80
	ds_read_b32 v10, v10
	s_waitcnt lgkmcnt(0)
	v_add_u32_e32 v9, v10, v9
	s_or_b64 exec, exec, s[76:77]
	s_and_saveexec_b64 s[76:77], s[62:63]
	s_cbranch_execnz .LBB196_75
.LBB196_43:                             ;   in Loop: Header=BB196_41 Depth=1
	s_or_b64 exec, exec, s[76:77]
	s_and_saveexec_b64 s[76:77], s[0:1]
	s_cbranch_execz .LBB196_76
.LBB196_44:                             ;   in Loop: Header=BB196_41 Depth=1
	v_readlane_b32 s80, v30, 14
	s_nop 1
	v_mov_b32_e32 v10, s80
	ds_read_b32 v10, v10
	s_waitcnt lgkmcnt(0)
	v_add_u32_e32 v9, v10, v9
	s_or_b64 exec, exec, s[76:77]
	s_and_saveexec_b64 s[76:77], s[2:3]
	s_cbranch_execnz .LBB196_77
.LBB196_45:                             ;   in Loop: Header=BB196_41 Depth=1
	s_or_b64 exec, exec, s[76:77]
	s_and_saveexec_b64 s[76:77], s[4:5]
	s_cbranch_execz .LBB196_78
.LBB196_46:                             ;   in Loop: Header=BB196_41 Depth=1
	v_mov_b32_e32 v10, s79
	ds_read_b32 v10, v10
	s_waitcnt lgkmcnt(0)
	v_add_u32_e32 v9, v10, v9
	s_or_b64 exec, exec, s[76:77]
	s_and_saveexec_b64 s[76:77], s[6:7]
	s_cbranch_execnz .LBB196_79
.LBB196_47:                             ;   in Loop: Header=BB196_41 Depth=1
	s_or_b64 exec, exec, s[76:77]
	s_and_saveexec_b64 s[76:77], s[8:9]
	s_cbranch_execz .LBB196_80
.LBB196_48:                             ;   in Loop: Header=BB196_41 Depth=1
	v_mov_b32_e32 v10, s82
	ds_read_b32 v10, v10
	s_waitcnt lgkmcnt(0)
	v_add_u32_e32 v9, v10, v9
	s_or_b64 exec, exec, s[76:77]
	s_and_saveexec_b64 s[76:77], s[10:11]
	s_cbranch_execnz .LBB196_81
.LBB196_49:                             ;   in Loop: Header=BB196_41 Depth=1
	s_or_b64 exec, exec, s[76:77]
	s_and_saveexec_b64 s[76:77], s[12:13]
	s_cbranch_execz .LBB196_82
.LBB196_50:                             ;   in Loop: Header=BB196_41 Depth=1
	v_mov_b32_e32 v10, s84
	ds_read_b32 v10, v10
	s_waitcnt lgkmcnt(0)
	v_add_u32_e32 v9, v10, v9
	s_or_b64 exec, exec, s[76:77]
	s_and_saveexec_b64 s[76:77], s[14:15]
	s_cbranch_execnz .LBB196_83
.LBB196_51:                             ;   in Loop: Header=BB196_41 Depth=1
	s_or_b64 exec, exec, s[76:77]
	s_and_saveexec_b64 s[76:77], s[16:17]
	s_cbranch_execz .LBB196_84
.LBB196_52:                             ;   in Loop: Header=BB196_41 Depth=1
	v_mov_b32_e32 v10, s86
	ds_read_b32 v10, v10
	s_waitcnt lgkmcnt(0)
	v_add_u32_e32 v9, v10, v9
	s_or_b64 exec, exec, s[76:77]
	s_and_saveexec_b64 s[76:77], s[18:19]
	s_cbranch_execnz .LBB196_85
.LBB196_53:                             ;   in Loop: Header=BB196_41 Depth=1
	s_or_b64 exec, exec, s[76:77]
	s_and_saveexec_b64 s[76:77], s[20:21]
	s_cbranch_execz .LBB196_86
.LBB196_54:                             ;   in Loop: Header=BB196_41 Depth=1
	v_mov_b32_e32 v10, s88
	ds_read_b32 v10, v10
	s_waitcnt lgkmcnt(0)
	v_add_u32_e32 v9, v10, v9
	s_or_b64 exec, exec, s[76:77]
	s_and_saveexec_b64 s[76:77], s[22:23]
	s_cbranch_execnz .LBB196_87
.LBB196_55:                             ;   in Loop: Header=BB196_41 Depth=1
	s_or_b64 exec, exec, s[76:77]
	s_and_saveexec_b64 s[76:77], s[24:25]
	s_cbranch_execz .LBB196_88
.LBB196_56:                             ;   in Loop: Header=BB196_41 Depth=1
	v_mov_b32_e32 v10, s90
	ds_read_b32 v10, v10
	s_waitcnt lgkmcnt(0)
	v_add_u32_e32 v9, v10, v9
	s_or_b64 exec, exec, s[76:77]
	s_and_saveexec_b64 s[76:77], s[26:27]
	s_cbranch_execnz .LBB196_89
.LBB196_57:                             ;   in Loop: Header=BB196_41 Depth=1
	s_or_b64 exec, exec, s[76:77]
	s_and_saveexec_b64 s[76:77], s[28:29]
	s_cbranch_execz .LBB196_90
.LBB196_58:                             ;   in Loop: Header=BB196_41 Depth=1
	v_mov_b32_e32 v10, s92
	ds_read_b32 v10, v10
	s_waitcnt lgkmcnt(0)
	v_add_u32_e32 v9, v10, v9
	s_or_b64 exec, exec, s[76:77]
	s_and_saveexec_b64 s[76:77], s[30:31]
	s_cbranch_execnz .LBB196_91
.LBB196_59:                             ;   in Loop: Header=BB196_41 Depth=1
	s_or_b64 exec, exec, s[76:77]
	s_and_saveexec_b64 s[76:77], s[34:35]
	s_cbranch_execz .LBB196_92
.LBB196_60:                             ;   in Loop: Header=BB196_41 Depth=1
	v_mov_b32_e32 v10, s94
	ds_read_b32 v10, v10
	s_waitcnt lgkmcnt(0)
	v_add_u32_e32 v9, v10, v9
	s_or_b64 exec, exec, s[76:77]
	s_and_saveexec_b64 s[76:77], s[36:37]
	s_cbranch_execnz .LBB196_93
.LBB196_61:                             ;   in Loop: Header=BB196_41 Depth=1
	s_or_b64 exec, exec, s[76:77]
	s_and_saveexec_b64 s[76:77], s[38:39]
	s_cbranch_execz .LBB196_94
.LBB196_62:                             ;   in Loop: Header=BB196_41 Depth=1
	v_mov_b32_e32 v10, s96
	ds_read_b32 v10, v10
	s_waitcnt lgkmcnt(0)
	v_add_u32_e32 v9, v10, v9
	s_or_b64 exec, exec, s[76:77]
	s_and_saveexec_b64 s[76:77], s[40:41]
	s_cbranch_execnz .LBB196_95
.LBB196_63:                             ;   in Loop: Header=BB196_41 Depth=1
	s_or_b64 exec, exec, s[76:77]
	s_and_saveexec_b64 s[76:77], s[42:43]
	s_cbranch_execz .LBB196_96
.LBB196_64:                             ;   in Loop: Header=BB196_41 Depth=1
	v_mov_b32_e32 v10, s98
	ds_read_b32 v10, v10
	s_waitcnt lgkmcnt(0)
	v_add_u32_e32 v9, v10, v9
	s_or_b64 exec, exec, s[76:77]
	s_and_saveexec_b64 s[76:77], s[44:45]
	s_cbranch_execnz .LBB196_97
.LBB196_65:                             ;   in Loop: Header=BB196_41 Depth=1
	s_or_b64 exec, exec, s[76:77]
	s_and_saveexec_b64 s[76:77], s[46:47]
	s_cbranch_execz .LBB196_98
.LBB196_66:                             ;   in Loop: Header=BB196_41 Depth=1
	v_mov_b32_e32 v10, s74
	ds_read_b32 v10, v10
	s_waitcnt lgkmcnt(0)
	v_add_u32_e32 v9, v10, v9
	s_or_b64 exec, exec, s[76:77]
	s_and_saveexec_b64 s[76:77], s[48:49]
	s_cbranch_execnz .LBB196_99
.LBB196_67:                             ;   in Loop: Header=BB196_41 Depth=1
	s_or_b64 exec, exec, s[76:77]
	s_and_saveexec_b64 s[76:77], s[50:51]
	s_cbranch_execz .LBB196_100
.LBB196_68:                             ;   in Loop: Header=BB196_41 Depth=1
	v_mov_b32_e32 v10, s73
	ds_read_b32 v10, v10
	s_waitcnt lgkmcnt(0)
	v_add_u32_e32 v9, v10, v9
	s_or_b64 exec, exec, s[76:77]
	s_and_saveexec_b64 s[76:77], s[52:53]
	s_cbranch_execnz .LBB196_101
.LBB196_69:                             ;   in Loop: Header=BB196_41 Depth=1
	s_or_b64 exec, exec, s[76:77]
	s_and_saveexec_b64 s[76:77], s[54:55]
	s_cbranch_execz .LBB196_102
.LBB196_70:                             ;   in Loop: Header=BB196_41 Depth=1
	v_mov_b32_e32 v10, s67
	ds_read_b32 v10, v10
	s_waitcnt lgkmcnt(0)
	v_add_u32_e32 v9, v10, v9
	s_or_b64 exec, exec, s[76:77]
	s_and_saveexec_b64 s[76:77], s[56:57]
	s_cbranch_execnz .LBB196_103
.LBB196_71:                             ;   in Loop: Header=BB196_41 Depth=1
	s_or_b64 exec, exec, s[76:77]
	s_and_saveexec_b64 s[76:77], s[58:59]
	s_cbranch_execz .LBB196_104
.LBB196_72:                             ;   in Loop: Header=BB196_41 Depth=1
	v_mov_b32_e32 v10, s75
	ds_read_b32 v10, v10
	s_waitcnt lgkmcnt(0)
	v_add_u32_e32 v9, v10, v9
	s_or_b64 exec, exec, s[76:77]
	s_and_saveexec_b64 s[76:77], s[64:65]
	s_cbranch_execnz .LBB196_105
.LBB196_73:                             ;   in Loop: Header=BB196_41 Depth=1
	s_or_b64 exec, exec, s[76:77]
	s_and_saveexec_b64 s[64:65], vcc
	s_cbranch_execz .LBB196_40
	s_branch .LBB196_106
.LBB196_74:                             ;   in Loop: Header=BB196_41 Depth=1
	s_or_b64 exec, exec, s[76:77]
	s_and_saveexec_b64 s[76:77], s[62:63]
	s_cbranch_execz .LBB196_43
.LBB196_75:                             ;   in Loop: Header=BB196_41 Depth=1
	v_readlane_b32 s80, v30, 13
	s_nop 1
	v_mov_b32_e32 v10, s80
	ds_read_b32 v10, v10
	s_waitcnt lgkmcnt(0)
	v_add_u32_e32 v9, v10, v9
	s_or_b64 exec, exec, s[76:77]
	s_and_saveexec_b64 s[76:77], s[0:1]
	s_cbranch_execnz .LBB196_44
.LBB196_76:                             ;   in Loop: Header=BB196_41 Depth=1
	s_or_b64 exec, exec, s[76:77]
	s_and_saveexec_b64 s[76:77], s[2:3]
	s_cbranch_execz .LBB196_45
.LBB196_77:                             ;   in Loop: Header=BB196_41 Depth=1
	v_readlane_b32 s80, v30, 15
	s_nop 1
	v_mov_b32_e32 v10, s80
	ds_read_b32 v10, v10
	s_waitcnt lgkmcnt(0)
	v_add_u32_e32 v9, v10, v9
	s_or_b64 exec, exec, s[76:77]
	s_and_saveexec_b64 s[76:77], s[4:5]
	s_cbranch_execnz .LBB196_46
.LBB196_78:                             ;   in Loop: Header=BB196_41 Depth=1
	s_or_b64 exec, exec, s[76:77]
	s_and_saveexec_b64 s[76:77], s[6:7]
	s_cbranch_execz .LBB196_47
.LBB196_79:                             ;   in Loop: Header=BB196_41 Depth=1
	v_readlane_b32 s80, v30, 16
	s_nop 1
	v_mov_b32_e32 v10, s80
	ds_read_b32 v10, v10
	s_waitcnt lgkmcnt(0)
	v_add_u32_e32 v9, v10, v9
	s_or_b64 exec, exec, s[76:77]
	s_and_saveexec_b64 s[76:77], s[8:9]
	s_cbranch_execnz .LBB196_48
.LBB196_80:                             ;   in Loop: Header=BB196_41 Depth=1
	s_or_b64 exec, exec, s[76:77]
	s_and_saveexec_b64 s[76:77], s[10:11]
	s_cbranch_execz .LBB196_49
.LBB196_81:                             ;   in Loop: Header=BB196_41 Depth=1
	v_mov_b32_e32 v10, s83
	ds_read_b32 v10, v10
	s_waitcnt lgkmcnt(0)
	v_add_u32_e32 v9, v10, v9
	s_or_b64 exec, exec, s[76:77]
	s_and_saveexec_b64 s[76:77], s[12:13]
	s_cbranch_execnz .LBB196_50
.LBB196_82:                             ;   in Loop: Header=BB196_41 Depth=1
	s_or_b64 exec, exec, s[76:77]
	s_and_saveexec_b64 s[76:77], s[14:15]
	s_cbranch_execz .LBB196_51
.LBB196_83:                             ;   in Loop: Header=BB196_41 Depth=1
	v_mov_b32_e32 v10, s85
	ds_read_b32 v10, v10
	s_waitcnt lgkmcnt(0)
	v_add_u32_e32 v9, v10, v9
	s_or_b64 exec, exec, s[76:77]
	s_and_saveexec_b64 s[76:77], s[16:17]
	s_cbranch_execnz .LBB196_52
.LBB196_84:                             ;   in Loop: Header=BB196_41 Depth=1
	s_or_b64 exec, exec, s[76:77]
	s_and_saveexec_b64 s[76:77], s[18:19]
	s_cbranch_execz .LBB196_53
.LBB196_85:                             ;   in Loop: Header=BB196_41 Depth=1
	v_mov_b32_e32 v10, s87
	ds_read_b32 v10, v10
	s_waitcnt lgkmcnt(0)
	v_add_u32_e32 v9, v10, v9
	s_or_b64 exec, exec, s[76:77]
	s_and_saveexec_b64 s[76:77], s[20:21]
	s_cbranch_execnz .LBB196_54
.LBB196_86:                             ;   in Loop: Header=BB196_41 Depth=1
	s_or_b64 exec, exec, s[76:77]
	s_and_saveexec_b64 s[76:77], s[22:23]
	s_cbranch_execz .LBB196_55
.LBB196_87:                             ;   in Loop: Header=BB196_41 Depth=1
	v_mov_b32_e32 v10, s89
	ds_read_b32 v10, v10
	s_waitcnt lgkmcnt(0)
	v_add_u32_e32 v9, v10, v9
	s_or_b64 exec, exec, s[76:77]
	s_and_saveexec_b64 s[76:77], s[24:25]
	s_cbranch_execnz .LBB196_56
.LBB196_88:                             ;   in Loop: Header=BB196_41 Depth=1
	s_or_b64 exec, exec, s[76:77]
	s_and_saveexec_b64 s[76:77], s[26:27]
	s_cbranch_execz .LBB196_57
.LBB196_89:                             ;   in Loop: Header=BB196_41 Depth=1
	v_mov_b32_e32 v10, s91
	ds_read_b32 v10, v10
	s_waitcnt lgkmcnt(0)
	v_add_u32_e32 v9, v10, v9
	s_or_b64 exec, exec, s[76:77]
	s_and_saveexec_b64 s[76:77], s[28:29]
	s_cbranch_execnz .LBB196_58
.LBB196_90:                             ;   in Loop: Header=BB196_41 Depth=1
	s_or_b64 exec, exec, s[76:77]
	s_and_saveexec_b64 s[76:77], s[30:31]
	s_cbranch_execz .LBB196_59
.LBB196_91:                             ;   in Loop: Header=BB196_41 Depth=1
	v_mov_b32_e32 v10, s93
	ds_read_b32 v10, v10
	s_waitcnt lgkmcnt(0)
	v_add_u32_e32 v9, v10, v9
	s_or_b64 exec, exec, s[76:77]
	s_and_saveexec_b64 s[76:77], s[34:35]
	s_cbranch_execnz .LBB196_60
.LBB196_92:                             ;   in Loop: Header=BB196_41 Depth=1
	s_or_b64 exec, exec, s[76:77]
	s_and_saveexec_b64 s[76:77], s[36:37]
	s_cbranch_execz .LBB196_61
.LBB196_93:                             ;   in Loop: Header=BB196_41 Depth=1
	v_mov_b32_e32 v10, s95
	ds_read_b32 v10, v10
	s_waitcnt lgkmcnt(0)
	v_add_u32_e32 v9, v10, v9
	s_or_b64 exec, exec, s[76:77]
	s_and_saveexec_b64 s[76:77], s[38:39]
	s_cbranch_execnz .LBB196_62
.LBB196_94:                             ;   in Loop: Header=BB196_41 Depth=1
	s_or_b64 exec, exec, s[76:77]
	s_and_saveexec_b64 s[76:77], s[40:41]
	s_cbranch_execz .LBB196_63
.LBB196_95:                             ;   in Loop: Header=BB196_41 Depth=1
	v_mov_b32_e32 v10, s97
	ds_read_b32 v10, v10
	s_waitcnt lgkmcnt(0)
	v_add_u32_e32 v9, v10, v9
	s_or_b64 exec, exec, s[76:77]
	s_and_saveexec_b64 s[76:77], s[42:43]
	s_cbranch_execnz .LBB196_64
.LBB196_96:                             ;   in Loop: Header=BB196_41 Depth=1
	s_or_b64 exec, exec, s[76:77]
	s_and_saveexec_b64 s[76:77], s[44:45]
	s_cbranch_execz .LBB196_65
.LBB196_97:                             ;   in Loop: Header=BB196_41 Depth=1
	v_mov_b32_e32 v10, s99
	ds_read_b32 v10, v10
	s_waitcnt lgkmcnt(0)
	v_add_u32_e32 v9, v10, v9
	s_or_b64 exec, exec, s[76:77]
	s_and_saveexec_b64 s[76:77], s[46:47]
	s_cbranch_execnz .LBB196_66
.LBB196_98:                             ;   in Loop: Header=BB196_41 Depth=1
	s_or_b64 exec, exec, s[76:77]
	s_and_saveexec_b64 s[76:77], s[48:49]
	s_cbranch_execz .LBB196_67
.LBB196_99:                             ;   in Loop: Header=BB196_41 Depth=1
	v_mov_b32_e32 v10, s72
	ds_read_b32 v10, v10
	s_waitcnt lgkmcnt(0)
	v_add_u32_e32 v9, v10, v9
	s_or_b64 exec, exec, s[76:77]
	s_and_saveexec_b64 s[76:77], s[50:51]
	s_cbranch_execnz .LBB196_68
.LBB196_100:                            ;   in Loop: Header=BB196_41 Depth=1
	s_or_b64 exec, exec, s[76:77]
	s_and_saveexec_b64 s[76:77], s[52:53]
	s_cbranch_execz .LBB196_69
.LBB196_101:                            ;   in Loop: Header=BB196_41 Depth=1
	v_mov_b32_e32 v10, s66
	ds_read_b32 v10, v10
	s_waitcnt lgkmcnt(0)
	v_add_u32_e32 v9, v10, v9
	s_or_b64 exec, exec, s[76:77]
	s_and_saveexec_b64 s[76:77], s[54:55]
	s_cbranch_execnz .LBB196_70
.LBB196_102:                            ;   in Loop: Header=BB196_41 Depth=1
	s_or_b64 exec, exec, s[76:77]
	s_and_saveexec_b64 s[76:77], s[56:57]
	s_cbranch_execz .LBB196_71
.LBB196_103:                            ;   in Loop: Header=BB196_41 Depth=1
	v_mov_b32_e32 v10, s71
	ds_read_b32 v10, v10
	s_waitcnt lgkmcnt(0)
	v_add_u32_e32 v9, v10, v9
	s_or_b64 exec, exec, s[76:77]
	s_and_saveexec_b64 s[76:77], s[58:59]
	s_cbranch_execnz .LBB196_72
.LBB196_104:                            ;   in Loop: Header=BB196_41 Depth=1
	s_or_b64 exec, exec, s[76:77]
	s_and_saveexec_b64 s[76:77], s[64:65]
	s_cbranch_execz .LBB196_73
.LBB196_105:                            ;   in Loop: Header=BB196_41 Depth=1
	v_add3_u32 v10, v7, -1, v9
	v_lshl_add_u32 v11, v10, 2, 0
	v_lshl_add_u32 v10, v10, 3, 0
	v_add_u32_e32 v10, 0x20000, v10
	ds_write_b32 v11, v8
	ds_write_b64 v10, v[4:5]
	s_or_b64 exec, exec, s[76:77]
	s_and_saveexec_b64 s[64:65], vcc
	s_cbranch_execz .LBB196_40
.LBB196_106:                            ;   in Loop: Header=BB196_41 Depth=1
	v_mov_b32_e32 v4, s78
	ds_write_b32 v4, v9
	s_branch .LBB196_40
.LBB196_107:
	s_or_b64 exec, exec, s[68:69]
	v_readlane_b32 s0, v30, 10
	v_readlane_b32 s1, v30, 11
	;; [unrolled: 1-line block ×3, first 2 shown]
	s_ashr_i32 s1, s0, 31
	v_readlane_b32 s6, v30, 4
	v_readlane_b32 s7, v30, 5
	;; [unrolled: 1-line block ×4, first 2 shown]
	s_lshl_b64 s[0:1], s[0:1], 3
	s_mov_b64 s[6:7], s[10:11]
	v_readlane_b32 s5, v30, 3
	s_add_u32 s4, s6, s0
	s_addc_u32 s5, s7, s1
	s_load_dwordx4 s[0:3], s[4:5], 0x0
	v_readlane_b32 s8, v30, 6
	v_readlane_b32 s9, v30, 7
	s_waitcnt lgkmcnt(0)
	s_sub_i32 s8, s2, s0
	v_cmp_gt_i32_e32 vcc, s8, v0
	s_and_saveexec_b64 s[4:5], vcc
	s_cbranch_execz .LBB196_117
; %bb.108:
	s_sub_u32 s4, s0, s70
	s_subb_u32 s5, s1, 0
	s_and_b32 s10, s8, 7
	s_sub_i32 s0, s0, s2
	s_cmp_lt_u32 s0, -7
	s_cselect_b64 s[0:1], -1, 0
	s_and_b32 s11, s8, -8
	s_cmp_lg_u32 s10, 0
	v_cndmask_b32_e64 v1, 0, 1, s[0:1]
	s_cselect_b64 s[2:3], -1, 0
	v_cmp_ne_u32_e64 s[0:1], 1, v1
	v_cndmask_b32_e64 v1, 0, 1, s[2:3]
	s_mov_b32 s9, 0
	s_mov_b64 s[6:7], 0
	v_cmp_ne_u32_e64 s[2:3], 1, v1
	s_branch .LBB196_110
.LBB196_109:                            ;   in Loop: Header=BB196_110 Depth=1
	v_readlane_b32 s12, v30, 0
	v_add_u32_e32 v0, 0x400, v0
	v_readlane_b32 s13, v30, 1
	v_cmp_le_i32_e32 vcc, s8, v0
	s_or_b64 s[6:7], vcc, s[6:7]
	v_lshl_add_u64 v[4:5], v[4:5], 3, s[12:13]
	s_waitcnt lgkmcnt(0)
	global_store_dwordx2 v[4:5], v[2:3], off
	s_andn2_b64 exec, exec, s[6:7]
	s_cbranch_execz .LBB196_117
.LBB196_110:                            ; =>This Loop Header: Depth=1
                                        ;     Child Loop BB196_112 Depth 2
                                        ;     Child Loop BB196_116 Depth 2
	v_lshl_add_u32 v2, v0, 3, 0
	v_lshl_add_u32 v1, v0, 2, 0
	v_add_u32_e32 v2, 0x20000, v2
	ds_read_b32 v1, v1
	ds_read_b64 v[2:3], v2
	s_and_b64 vcc, exec, s[0:1]
	v_mov_b64_e32 v[4:5], s[4:5]
	s_mov_b32 s12, 0
	s_cbranch_vccnz .LBB196_114
; %bb.111:                              ;   in Loop: Header=BB196_110 Depth=1
	s_mov_b32 s13, 0
	v_mov_b64_e32 v[4:5], s[4:5]
.LBB196_112:                            ;   Parent Loop BB196_110 Depth=1
                                        ; =>  This Inner Loop Header: Depth=2
	v_mov_b32_e32 v6, s13
	ds_read2_b32 v[22:23], v6 offset1:1
	ds_read2_b32 v[24:25], v6 offset0:2 offset1:3
	ds_read2_b32 v[26:27], v6 offset0:4 offset1:5
	;; [unrolled: 1-line block ×3, first 2 shown]
	v_mov_b32_e32 v7, s9
	s_waitcnt lgkmcnt(3)
	v_cmp_gt_i32_e32 vcc, v1, v22
	v_mov_b32_e32 v9, s9
	v_mov_b32_e32 v11, s9
	v_cndmask_b32_e64 v6, 0, 1, vcc
	v_cmp_gt_i32_e32 vcc, v1, v23
	v_lshl_add_u64 v[4:5], v[4:5], 0, v[6:7]
	v_mov_b32_e32 v13, s9
	v_cndmask_b32_e64 v8, 0, 1, vcc
	s_waitcnt lgkmcnt(2)
	v_cmp_gt_i32_e32 vcc, v1, v24
	v_lshl_add_u64 v[4:5], v[4:5], 0, v[8:9]
	v_mov_b32_e32 v15, s9
	v_cndmask_b32_e64 v10, 0, 1, vcc
	v_cmp_gt_i32_e32 vcc, v1, v25
	v_lshl_add_u64 v[4:5], v[4:5], 0, v[10:11]
	v_mov_b32_e32 v17, s9
	v_cndmask_b32_e64 v12, 0, 1, vcc
	s_waitcnt lgkmcnt(1)
	v_cmp_gt_i32_e32 vcc, v1, v26
	v_lshl_add_u64 v[4:5], v[4:5], 0, v[12:13]
	;; [unrolled: 9-line block ×3, first 2 shown]
	s_add_i32 s12, s12, 8
	v_cndmask_b32_e64 v18, 0, 1, vcc
	v_cmp_gt_i32_e32 vcc, v1, v29
	s_add_i32 s13, s13, 32
	v_lshl_add_u64 v[4:5], v[4:5], 0, v[18:19]
	v_cndmask_b32_e64 v20, 0, 1, vcc
	s_cmp_eq_u32 s11, s12
	v_lshl_add_u64 v[4:5], v[4:5], 0, v[20:21]
	s_cbranch_scc0 .LBB196_112
; %bb.113:                              ;   in Loop: Header=BB196_110 Depth=1
	s_mov_b32 s12, s11
.LBB196_114:                            ;   in Loop: Header=BB196_110 Depth=1
	s_and_b64 vcc, exec, s[2:3]
	s_cbranch_vccnz .LBB196_109
; %bb.115:                              ;   in Loop: Header=BB196_110 Depth=1
	s_lshl_b32 s12, s12, 2
	s_add_i32 s12, s12, 0
	s_mov_b32 s13, s10
.LBB196_116:                            ;   Parent Loop BB196_110 Depth=1
                                        ; =>  This Inner Loop Header: Depth=2
	v_mov_b32_e32 v6, s12
	ds_read_b32 v6, v6
	v_mov_b32_e32 v7, s9
	s_add_i32 s12, s12, 4
	s_add_i32 s13, s13, -1
	s_cmp_lg_u32 s13, 0
	s_waitcnt lgkmcnt(0)
	v_cmp_gt_i32_e32 vcc, v1, v6
	s_nop 1
	v_cndmask_b32_e64 v6, 0, 1, vcc
	v_lshl_add_u64 v[4:5], v[4:5], 0, v[6:7]
	s_cbranch_scc1 .LBB196_116
	s_branch .LBB196_109
.LBB196_117:
	s_endpgm
	.section	.rodata,"a",@progbits
	.p2align	6, 0x0
	.amdhsa_kernel _ZN9rocsparseL41csrgemm_numeric_fill_block_per_row_kernelILj1024ELj64ELj32768ELj137ELj32ElidEEvT5_PKS1_S3_NS_24const_host_device_scalarIT6_EEPKT4_S3_PKS5_S9_S3_SB_S6_S9_S3_SB_S9_S3_PS5_21rocsparse_index_base_SD_SD_SD_bbb
		.amdhsa_group_segment_fixed_size 0
		.amdhsa_private_segment_fixed_size 0
		.amdhsa_kernarg_size 156
		.amdhsa_user_sgpr_count 2
		.amdhsa_user_sgpr_dispatch_ptr 0
		.amdhsa_user_sgpr_queue_ptr 0
		.amdhsa_user_sgpr_kernarg_segment_ptr 1
		.amdhsa_user_sgpr_dispatch_id 0
		.amdhsa_user_sgpr_kernarg_preload_length 0
		.amdhsa_user_sgpr_kernarg_preload_offset 0
		.amdhsa_user_sgpr_private_segment_size 0
		.amdhsa_uses_dynamic_stack 0
		.amdhsa_enable_private_segment 0
		.amdhsa_system_sgpr_workgroup_id_x 1
		.amdhsa_system_sgpr_workgroup_id_y 0
		.amdhsa_system_sgpr_workgroup_id_z 0
		.amdhsa_system_sgpr_workgroup_info 0
		.amdhsa_system_vgpr_workitem_id 0
		.amdhsa_next_free_vgpr 31
		.amdhsa_next_free_sgpr 100
		.amdhsa_accum_offset 32
		.amdhsa_reserve_vcc 1
		.amdhsa_float_round_mode_32 0
		.amdhsa_float_round_mode_16_64 0
		.amdhsa_float_denorm_mode_32 3
		.amdhsa_float_denorm_mode_16_64 3
		.amdhsa_dx10_clamp 1
		.amdhsa_ieee_mode 1
		.amdhsa_fp16_overflow 0
		.amdhsa_tg_split 0
		.amdhsa_exception_fp_ieee_invalid_op 0
		.amdhsa_exception_fp_denorm_src 0
		.amdhsa_exception_fp_ieee_div_zero 0
		.amdhsa_exception_fp_ieee_overflow 0
		.amdhsa_exception_fp_ieee_underflow 0
		.amdhsa_exception_fp_ieee_inexact 0
		.amdhsa_exception_int_div_zero 0
	.end_amdhsa_kernel
	.section	.text._ZN9rocsparseL41csrgemm_numeric_fill_block_per_row_kernelILj1024ELj64ELj32768ELj137ELj32ElidEEvT5_PKS1_S3_NS_24const_host_device_scalarIT6_EEPKT4_S3_PKS5_S9_S3_SB_S6_S9_S3_SB_S9_S3_PS5_21rocsparse_index_base_SD_SD_SD_bbb,"axG",@progbits,_ZN9rocsparseL41csrgemm_numeric_fill_block_per_row_kernelILj1024ELj64ELj32768ELj137ELj32ElidEEvT5_PKS1_S3_NS_24const_host_device_scalarIT6_EEPKT4_S3_PKS5_S9_S3_SB_S6_S9_S3_SB_S9_S3_PS5_21rocsparse_index_base_SD_SD_SD_bbb,comdat
.Lfunc_end196:
	.size	_ZN9rocsparseL41csrgemm_numeric_fill_block_per_row_kernelILj1024ELj64ELj32768ELj137ELj32ElidEEvT5_PKS1_S3_NS_24const_host_device_scalarIT6_EEPKT4_S3_PKS5_S9_S3_SB_S6_S9_S3_SB_S9_S3_PS5_21rocsparse_index_base_SD_SD_SD_bbb, .Lfunc_end196-_ZN9rocsparseL41csrgemm_numeric_fill_block_per_row_kernelILj1024ELj64ELj32768ELj137ELj32ElidEEvT5_PKS1_S3_NS_24const_host_device_scalarIT6_EEPKT4_S3_PKS5_S9_S3_SB_S6_S9_S3_SB_S9_S3_PS5_21rocsparse_index_base_SD_SD_SD_bbb
                                        ; -- End function
	.set _ZN9rocsparseL41csrgemm_numeric_fill_block_per_row_kernelILj1024ELj64ELj32768ELj137ELj32ElidEEvT5_PKS1_S3_NS_24const_host_device_scalarIT6_EEPKT4_S3_PKS5_S9_S3_SB_S6_S9_S3_SB_S9_S3_PS5_21rocsparse_index_base_SD_SD_SD_bbb.num_vgpr, 31
	.set _ZN9rocsparseL41csrgemm_numeric_fill_block_per_row_kernelILj1024ELj64ELj32768ELj137ELj32ElidEEvT5_PKS1_S3_NS_24const_host_device_scalarIT6_EEPKT4_S3_PKS5_S9_S3_SB_S6_S9_S3_SB_S9_S3_PS5_21rocsparse_index_base_SD_SD_SD_bbb.num_agpr, 0
	.set _ZN9rocsparseL41csrgemm_numeric_fill_block_per_row_kernelILj1024ELj64ELj32768ELj137ELj32ElidEEvT5_PKS1_S3_NS_24const_host_device_scalarIT6_EEPKT4_S3_PKS5_S9_S3_SB_S6_S9_S3_SB_S9_S3_PS5_21rocsparse_index_base_SD_SD_SD_bbb.numbered_sgpr, 100
	.set _ZN9rocsparseL41csrgemm_numeric_fill_block_per_row_kernelILj1024ELj64ELj32768ELj137ELj32ElidEEvT5_PKS1_S3_NS_24const_host_device_scalarIT6_EEPKT4_S3_PKS5_S9_S3_SB_S6_S9_S3_SB_S9_S3_PS5_21rocsparse_index_base_SD_SD_SD_bbb.num_named_barrier, 0
	.set _ZN9rocsparseL41csrgemm_numeric_fill_block_per_row_kernelILj1024ELj64ELj32768ELj137ELj32ElidEEvT5_PKS1_S3_NS_24const_host_device_scalarIT6_EEPKT4_S3_PKS5_S9_S3_SB_S6_S9_S3_SB_S9_S3_PS5_21rocsparse_index_base_SD_SD_SD_bbb.private_seg_size, 0
	.set _ZN9rocsparseL41csrgemm_numeric_fill_block_per_row_kernelILj1024ELj64ELj32768ELj137ELj32ElidEEvT5_PKS1_S3_NS_24const_host_device_scalarIT6_EEPKT4_S3_PKS5_S9_S3_SB_S6_S9_S3_SB_S9_S3_PS5_21rocsparse_index_base_SD_SD_SD_bbb.uses_vcc, 1
	.set _ZN9rocsparseL41csrgemm_numeric_fill_block_per_row_kernelILj1024ELj64ELj32768ELj137ELj32ElidEEvT5_PKS1_S3_NS_24const_host_device_scalarIT6_EEPKT4_S3_PKS5_S9_S3_SB_S6_S9_S3_SB_S9_S3_PS5_21rocsparse_index_base_SD_SD_SD_bbb.uses_flat_scratch, 0
	.set _ZN9rocsparseL41csrgemm_numeric_fill_block_per_row_kernelILj1024ELj64ELj32768ELj137ELj32ElidEEvT5_PKS1_S3_NS_24const_host_device_scalarIT6_EEPKT4_S3_PKS5_S9_S3_SB_S6_S9_S3_SB_S9_S3_PS5_21rocsparse_index_base_SD_SD_SD_bbb.has_dyn_sized_stack, 0
	.set _ZN9rocsparseL41csrgemm_numeric_fill_block_per_row_kernelILj1024ELj64ELj32768ELj137ELj32ElidEEvT5_PKS1_S3_NS_24const_host_device_scalarIT6_EEPKT4_S3_PKS5_S9_S3_SB_S6_S9_S3_SB_S9_S3_PS5_21rocsparse_index_base_SD_SD_SD_bbb.has_recursion, 0
	.set _ZN9rocsparseL41csrgemm_numeric_fill_block_per_row_kernelILj1024ELj64ELj32768ELj137ELj32ElidEEvT5_PKS1_S3_NS_24const_host_device_scalarIT6_EEPKT4_S3_PKS5_S9_S3_SB_S6_S9_S3_SB_S9_S3_PS5_21rocsparse_index_base_SD_SD_SD_bbb.has_indirect_call, 0
	.section	.AMDGPU.csdata,"",@progbits
; Kernel info:
; codeLenInByte = 4808
; TotalNumSgprs: 106
; NumVgprs: 31
; NumAgprs: 0
; TotalNumVgprs: 31
; ScratchSize: 0
; MemoryBound: 0
; FloatMode: 240
; IeeeMode: 1
; LDSByteSize: 0 bytes/workgroup (compile time only)
; SGPRBlocks: 13
; VGPRBlocks: 3
; NumSGPRsForWavesPerEU: 106
; NumVGPRsForWavesPerEU: 31
; AccumOffset: 32
; Occupancy: 7
; WaveLimiterHint : 1
; COMPUTE_PGM_RSRC2:SCRATCH_EN: 0
; COMPUTE_PGM_RSRC2:USER_SGPR: 2
; COMPUTE_PGM_RSRC2:TRAP_HANDLER: 0
; COMPUTE_PGM_RSRC2:TGID_X_EN: 1
; COMPUTE_PGM_RSRC2:TGID_Y_EN: 0
; COMPUTE_PGM_RSRC2:TGID_Z_EN: 0
; COMPUTE_PGM_RSRC2:TIDIG_COMP_CNT: 0
; COMPUTE_PGM_RSRC3_GFX90A:ACCUM_OFFSET: 7
; COMPUTE_PGM_RSRC3_GFX90A:TG_SPLIT: 0
	.section	.text._ZN9rocsparseL41csrgemm_numeric_fill_block_per_row_kernelILj1024ELj64ELj32768ELj137ELj64ElidEEvT5_PKS1_S3_NS_24const_host_device_scalarIT6_EEPKT4_S3_PKS5_S9_S3_SB_S6_S9_S3_SB_S9_S3_PS5_21rocsparse_index_base_SD_SD_SD_bbb,"axG",@progbits,_ZN9rocsparseL41csrgemm_numeric_fill_block_per_row_kernelILj1024ELj64ELj32768ELj137ELj64ElidEEvT5_PKS1_S3_NS_24const_host_device_scalarIT6_EEPKT4_S3_PKS5_S9_S3_SB_S6_S9_S3_SB_S9_S3_PS5_21rocsparse_index_base_SD_SD_SD_bbb,comdat
	.globl	_ZN9rocsparseL41csrgemm_numeric_fill_block_per_row_kernelILj1024ELj64ELj32768ELj137ELj64ElidEEvT5_PKS1_S3_NS_24const_host_device_scalarIT6_EEPKT4_S3_PKS5_S9_S3_SB_S6_S9_S3_SB_S9_S3_PS5_21rocsparse_index_base_SD_SD_SD_bbb ; -- Begin function _ZN9rocsparseL41csrgemm_numeric_fill_block_per_row_kernelILj1024ELj64ELj32768ELj137ELj64ElidEEvT5_PKS1_S3_NS_24const_host_device_scalarIT6_EEPKT4_S3_PKS5_S9_S3_SB_S6_S9_S3_SB_S9_S3_PS5_21rocsparse_index_base_SD_SD_SD_bbb
	.p2align	8
	.type	_ZN9rocsparseL41csrgemm_numeric_fill_block_per_row_kernelILj1024ELj64ELj32768ELj137ELj64ElidEEvT5_PKS1_S3_NS_24const_host_device_scalarIT6_EEPKT4_S3_PKS5_S9_S3_SB_S6_S9_S3_SB_S9_S3_PS5_21rocsparse_index_base_SD_SD_SD_bbb,@function
_ZN9rocsparseL41csrgemm_numeric_fill_block_per_row_kernelILj1024ELj64ELj32768ELj137ELj64ElidEEvT5_PKS1_S3_NS_24const_host_device_scalarIT6_EEPKT4_S3_PKS5_S9_S3_SB_S6_S9_S3_SB_S9_S3_PS5_21rocsparse_index_base_SD_SD_SD_bbb: ; @_ZN9rocsparseL41csrgemm_numeric_fill_block_per_row_kernelILj1024ELj64ELj32768ELj137ELj64ElidEEvT5_PKS1_S3_NS_24const_host_device_scalarIT6_EEPKT4_S3_PKS5_S9_S3_SB_S6_S9_S3_SB_S9_S3_PS5_21rocsparse_index_base_SD_SD_SD_bbb
; %bb.0:
	s_load_dword s3, s[0:1], 0x98
	s_load_dwordx4 s[44:47], s[0:1], 0x88
	s_load_dwordx2 s[4:5], s[0:1], 0x18
	s_load_dwordx2 s[24:25], s[0:1], 0x50
	s_waitcnt lgkmcnt(0)
	s_bitcmp1_b32 s3, 0
	s_cselect_b64 s[22:23], -1, 0
	s_bitcmp1_b32 s3, 16
	s_cselect_b64 s[26:27], -1, 0
	s_xor_b64 s[6:7], s[22:23], -1
	s_or_b64 s[6:7], s[26:27], s[6:7]
	s_and_b64 s[8:9], s[22:23], exec
	s_cselect_b32 s9, s5, 0
	s_cselect_b32 s8, s4, 0
	s_and_b64 vcc, exec, s[6:7]
	v_mov_b64_e32 v[4:5], s[8:9]
	s_cbranch_vccnz .LBB197_2
; %bb.1:
	v_mov_b64_e32 v[2:3], s[4:5]
	flat_load_dwordx2 v[4:5], v[2:3]
.LBB197_2:
	s_load_dwordx2 s[34:35], s[0:1], 0x80
	s_load_dwordx8 s[36:43], s[0:1], 0x58
	s_load_dwordx4 s[12:15], s[0:1], 0x40
	s_load_dwordx4 s[16:19], s[0:1], 0x8
	s_load_dwordx8 s[4:11], s[0:1], 0x20
	s_bitcmp1_b32 s3, 8
	s_cselect_b64 s[20:21], -1, 0
	s_xor_b64 s[28:29], s[20:21], -1
	s_or_b64 s[26:27], s[26:27], s[28:29]
	s_and_b64 s[28:29], s[20:21], exec
	s_cselect_b32 s29, s25, 0
	s_cselect_b32 s28, s24, 0
	s_and_b64 vcc, exec, s[26:27]
	v_mov_b64_e32 v[2:3], s[28:29]
	s_cbranch_vccnz .LBB197_4
; %bb.3:
	v_mov_b64_e32 v[2:3], s[24:25]
	flat_load_dwordx2 v[2:3], v[2:3]
.LBB197_4:
	s_load_dword s33, s[0:1], 0x0
	v_lshl_add_u32 v7, v0, 3, 0
	v_or_b32_e32 v1, 0xfffffc00, v0
	v_mov_b32_e32 v6, 0
	v_add_u32_e32 v18, 0x20000, v7
	v_lshl_add_u32 v19, v0, 2, 0
	s_mov_b64 s[0:1], 0
	s_waitcnt lgkmcnt(0)
	v_mov_b32_e32 v11, s33
	v_mov_b32_e32 v7, v6
	s_movk_i32 s3, 0x7bff
	v_mov_b32_e32 v8, v19
	v_mov_b32_e32 v9, v18
	;; [unrolled: 1-line block ×3, first 2 shown]
.LBB197_5:                              ; =>This Inner Loop Header: Depth=1
	v_add_u32_e32 v10, 0x400, v10
	v_cmp_lt_u32_e32 vcc, s3, v10
	ds_write_b32 v8, v11
	ds_write_b64 v9, v[6:7]
	v_add_u32_e32 v9, 0x2000, v9
	s_or_b64 s[0:1], vcc, s[0:1]
	v_add_u32_e32 v8, 0x1000, v8
	s_andn2_b64 exec, exec, s[0:1]
	s_cbranch_execnz .LBB197_5
; %bb.6:
	s_or_b64 exec, exec, s[0:1]
	s_waitcnt lgkmcnt(0)
	s_barrier
	s_load_dword s0, s[16:17], 0x0
	s_mov_b32 s1, 0
	v_lshrrev_b32_e32 v20, 6, v0
	s_waitcnt lgkmcnt(0)
	s_add_i32 s0, s0, s2
	s_lshl_b64 s[0:1], s[0:1], 2
	s_add_u32 s0, s18, s0
	s_addc_u32 s1, s19, s1
	s_load_dword s48, s[0:1], 0x0
	s_and_b64 vcc, exec, s[22:23]
	s_cbranch_vccz .LBB197_24
; %bb.7:
	s_waitcnt lgkmcnt(0)
	s_ashr_i32 s49, s48, 31
	s_lshl_b64 s[0:1], s[48:49], 3
	s_add_u32 s0, s4, s0
	s_addc_u32 s1, s5, s1
	s_load_dwordx4 s[16:19], s[0:1], 0x0
	v_subrev_co_u32_e32 v6, vcc, s44, v20
	s_nop 1
	v_subb_co_u32_e64 v7, s[0:1], 0, 0, vcc
	s_waitcnt lgkmcnt(0)
	s_sub_u32 s0, s18, s44
	s_subb_u32 s1, s19, 0
	v_lshl_add_u64 v[6:7], s[16:17], 0, v[6:7]
	v_cmp_gt_i64_e32 vcc, s[0:1], v[6:7]
	s_and_saveexec_b64 s[2:3], vcc
	s_cbranch_execz .LBB197_23
; %bb.8:
	v_and_b32_e32 v8, 63, v0
	v_subrev_co_u32_e32 v8, vcc, s45, v8
	s_mov_b32 s49, s45
	s_nop 0
	v_subb_co_u32_e64 v9, s[4:5], 0, 0, vcc
	s_mov_b64 s[4:5], 0
	s_movk_i32 s50, 0x89
	s_branch .LBB197_10
.LBB197_9:                              ;   in Loop: Header=BB197_10 Depth=1
	s_or_b64 exec, exec, s[16:17]
	v_lshl_add_u64 v[6:7], v[6:7], 0, 16
	v_cmp_le_i64_e32 vcc, s[0:1], v[6:7]
	s_or_b64 s[4:5], vcc, s[4:5]
	s_andn2_b64 exec, exec, s[4:5]
	s_cbranch_execz .LBB197_23
.LBB197_10:                             ; =>This Loop Header: Depth=1
                                        ;     Child Loop BB197_14 Depth 2
                                        ;       Child Loop BB197_17 Depth 3
	v_lshl_add_u64 v[10:11], v[6:7], 2, s[6:7]
	global_load_dword v10, v[10:11], off
	s_waitcnt vmcnt(0)
	v_subrev_u32_e32 v10, s44, v10
	v_ashrrev_i32_e32 v11, 31, v10
	v_lshl_add_u64 v[10:11], v[10:11], 3, s[10:11]
	global_load_dwordx4 v[12:15], v[10:11], off
	s_waitcnt vmcnt(0)
	v_subrev_co_u32_e32 v10, vcc, s49, v14
	s_nop 1
	v_subbrev_co_u32_e32 v11, vcc, 0, v15, vcc
	v_lshl_add_u64 v[12:13], v[12:13], 0, v[8:9]
	v_cmp_lt_i64_e32 vcc, v[12:13], v[10:11]
	s_and_saveexec_b64 s[16:17], vcc
	s_cbranch_execz .LBB197_9
; %bb.11:                               ;   in Loop: Header=BB197_10 Depth=1
	v_lshl_add_u64 v[14:15], v[6:7], 3, s[8:9]
	global_load_dwordx2 v[14:15], v[14:15], off
	s_mov_b64 s[18:19], 0
	s_waitcnt vmcnt(0)
	v_mul_f64 v[14:15], v[4:5], v[14:15]
	s_branch .LBB197_14
.LBB197_12:                             ;   in Loop: Header=BB197_14 Depth=2
	s_or_b64 exec, exec, s[24:25]
.LBB197_13:                             ;   in Loop: Header=BB197_14 Depth=2
	s_or_b64 exec, exec, s[22:23]
	v_lshl_add_u32 v21, v21, 3, 0
	s_waitcnt vmcnt(0)
	v_mul_f64 v[16:17], v[14:15], v[16:17]
	v_add_u32_e32 v21, 0x20000, v21
	ds_add_f64 v21, v[16:17]
	v_lshl_add_u64 v[12:13], v[12:13], 0, 64
	v_cmp_ge_i64_e32 vcc, v[12:13], v[10:11]
	s_or_b64 s[18:19], vcc, s[18:19]
	s_andn2_b64 exec, exec, s[18:19]
	s_cbranch_execz .LBB197_9
.LBB197_14:                             ;   Parent Loop BB197_10 Depth=1
                                        ; =>  This Loop Header: Depth=2
                                        ;       Child Loop BB197_17 Depth 3
	v_lshl_add_u64 v[16:17], v[12:13], 2, s[12:13]
	global_load_dword v21, v[16:17], off
	v_lshl_add_u64 v[16:17], v[12:13], 3, s[14:15]
	global_load_dwordx2 v[16:17], v[16:17], off
	s_waitcnt vmcnt(1)
	v_subrev_u32_e32 v22, s45, v21
	v_mul_lo_u32 v21, v22, s50
	v_and_b32_e32 v21, 0x7fff, v21
	v_lshl_add_u32 v23, v21, 2, 0
	ds_read_b32 v24, v23
	s_waitcnt lgkmcnt(0)
	v_cmp_ne_u32_e32 vcc, v24, v22
	s_and_saveexec_b64 s[22:23], vcc
	s_cbranch_execz .LBB197_13
; %bb.15:                               ;   in Loop: Header=BB197_14 Depth=2
	s_mov_b64 s[24:25], 0
	s_branch .LBB197_17
.LBB197_16:                             ;   in Loop: Header=BB197_17 Depth=3
	s_or_b64 exec, exec, s[30:31]
	s_and_b64 s[26:27], exec, s[28:29]
	s_or_b64 s[24:25], s[26:27], s[24:25]
	s_andn2_b64 exec, exec, s[24:25]
	s_cbranch_execz .LBB197_12
.LBB197_17:                             ;   Parent Loop BB197_10 Depth=1
                                        ;     Parent Loop BB197_14 Depth=2
                                        ; =>    This Inner Loop Header: Depth=3
	v_cmp_ne_u32_e32 vcc, s33, v24
	s_mov_b64 s[26:27], 0
	s_and_saveexec_b64 s[28:29], vcc
	s_xor_b64 s[28:29], exec, s[28:29]
	s_cbranch_execz .LBB197_19
; %bb.18:                               ;   in Loop: Header=BB197_17 Depth=3
	v_add_u32_e32 v21, 1, v21
	s_mov_b64 s[26:27], exec
	v_and_b32_e32 v21, 0x7fff, v21
                                        ; implicit-def: $vgpr23
	s_andn2_saveexec_b64 s[28:29], s[28:29]
	s_cbranch_execz .LBB197_21
	s_branch .LBB197_20
.LBB197_19:                             ;   in Loop: Header=BB197_17 Depth=3
	s_andn2_saveexec_b64 s[28:29], s[28:29]
	s_cbranch_execz .LBB197_21
.LBB197_20:                             ;   in Loop: Header=BB197_17 Depth=3
	v_mov_b32_e32 v24, s33
	ds_cmpst_rtn_b32 v23, v23, v24, v22
	s_andn2_b64 s[26:27], s[26:27], exec
	s_waitcnt lgkmcnt(0)
	v_cmp_ne_u32_e32 vcc, s33, v23
	s_and_b64 s[30:31], vcc, exec
	s_or_b64 s[26:27], s[26:27], s[30:31]
.LBB197_21:                             ;   in Loop: Header=BB197_17 Depth=3
	s_or_b64 exec, exec, s[28:29]
	s_mov_b64 s[28:29], -1
                                        ; implicit-def: $vgpr23
                                        ; implicit-def: $vgpr24
	s_and_saveexec_b64 s[30:31], s[26:27]
	s_cbranch_execz .LBB197_16
; %bb.22:                               ;   in Loop: Header=BB197_17 Depth=3
	v_lshl_add_u32 v23, v21, 2, 0
	ds_read_b32 v24, v23
	s_waitcnt lgkmcnt(0)
	v_cmp_eq_u32_e32 vcc, v24, v22
	s_orn2_b64 s[28:29], vcc, exec
	s_branch .LBB197_16
.LBB197_23:
	s_or_b64 exec, exec, s[2:3]
.LBB197_24:
	s_andn2_b64 vcc, exec, s[20:21]
	s_cbranch_vccnz .LBB197_39
; %bb.25:
	s_waitcnt lgkmcnt(0)
	s_ashr_i32 s49, s48, 31
	s_lshl_b64 s[0:1], s[48:49], 3
	s_add_u32 s0, s36, s0
	s_addc_u32 s1, s37, s1
	s_load_dwordx4 s[4:7], s[0:1], 0x0
	s_waitcnt vmcnt(0)
	v_subrev_co_u32_e32 v4, vcc, s47, v0
	s_nop 1
	v_subb_co_u32_e64 v5, s[0:1], 0, 0, vcc
	s_waitcnt lgkmcnt(0)
	s_sub_u32 s0, s6, s47
	s_subb_u32 s1, s7, 0
	v_lshl_add_u64 v[4:5], s[4:5], 0, v[4:5]
	v_cmp_gt_i64_e32 vcc, s[0:1], v[4:5]
	s_and_saveexec_b64 s[2:3], vcc
	s_cbranch_execz .LBB197_38
; %bb.26:
	s_mov_b64 s[4:5], 0
	s_movk_i32 s18, 0x89
	s_mov_b64 s[6:7], 0x400
	s_branch .LBB197_29
.LBB197_27:                             ;   in Loop: Header=BB197_29 Depth=1
	s_or_b64 exec, exec, s[10:11]
.LBB197_28:                             ;   in Loop: Header=BB197_29 Depth=1
	s_or_b64 exec, exec, s[8:9]
	v_lshl_add_u32 v8, v8, 3, 0
	s_waitcnt vmcnt(0)
	v_mul_f64 v[6:7], v[2:3], v[6:7]
	v_add_u32_e32 v8, 0x20000, v8
	ds_add_f64 v8, v[6:7]
	v_lshl_add_u64 v[4:5], v[4:5], 0, s[6:7]
	v_cmp_le_i64_e32 vcc, s[0:1], v[4:5]
	s_or_b64 s[4:5], vcc, s[4:5]
	s_andn2_b64 exec, exec, s[4:5]
	s_cbranch_execz .LBB197_38
.LBB197_29:                             ; =>This Loop Header: Depth=1
                                        ;     Child Loop BB197_32 Depth 2
	v_lshl_add_u64 v[6:7], v[4:5], 2, s[38:39]
	global_load_dword v8, v[6:7], off
	v_lshl_add_u64 v[6:7], v[4:5], 3, s[40:41]
	global_load_dwordx2 v[6:7], v[6:7], off
	s_waitcnt vmcnt(1)
	v_subrev_u32_e32 v9, s47, v8
	v_mul_lo_u32 v8, v9, s18
	v_and_b32_e32 v8, 0x7fff, v8
	v_lshl_add_u32 v10, v8, 2, 0
	ds_read_b32 v11, v10
	s_waitcnt lgkmcnt(0)
	v_cmp_ne_u32_e32 vcc, v11, v9
	s_and_saveexec_b64 s[8:9], vcc
	s_cbranch_execz .LBB197_28
; %bb.30:                               ;   in Loop: Header=BB197_29 Depth=1
	s_mov_b64 s[10:11], 0
	s_branch .LBB197_32
.LBB197_31:                             ;   in Loop: Header=BB197_32 Depth=2
	s_or_b64 exec, exec, s[16:17]
	s_and_b64 s[12:13], exec, s[14:15]
	s_or_b64 s[10:11], s[12:13], s[10:11]
	s_andn2_b64 exec, exec, s[10:11]
	s_cbranch_execz .LBB197_27
.LBB197_32:                             ;   Parent Loop BB197_29 Depth=1
                                        ; =>  This Inner Loop Header: Depth=2
	v_cmp_ne_u32_e32 vcc, s33, v11
	s_mov_b64 s[12:13], 0
	s_and_saveexec_b64 s[14:15], vcc
	s_xor_b64 s[14:15], exec, s[14:15]
	s_cbranch_execz .LBB197_34
; %bb.33:                               ;   in Loop: Header=BB197_32 Depth=2
	v_add_u32_e32 v8, 1, v8
	s_mov_b64 s[12:13], exec
	v_and_b32_e32 v8, 0x7fff, v8
                                        ; implicit-def: $vgpr10
	s_andn2_saveexec_b64 s[14:15], s[14:15]
	s_cbranch_execz .LBB197_36
	s_branch .LBB197_35
.LBB197_34:                             ;   in Loop: Header=BB197_32 Depth=2
	s_andn2_saveexec_b64 s[14:15], s[14:15]
	s_cbranch_execz .LBB197_36
.LBB197_35:                             ;   in Loop: Header=BB197_32 Depth=2
	v_mov_b32_e32 v11, s33
	ds_cmpst_rtn_b32 v10, v10, v11, v9
	s_andn2_b64 s[12:13], s[12:13], exec
	s_waitcnt lgkmcnt(0)
	v_cmp_ne_u32_e32 vcc, s33, v10
	s_and_b64 s[16:17], vcc, exec
	s_or_b64 s[12:13], s[12:13], s[16:17]
.LBB197_36:                             ;   in Loop: Header=BB197_32 Depth=2
	s_or_b64 exec, exec, s[14:15]
	s_mov_b64 s[14:15], -1
                                        ; implicit-def: $vgpr10
                                        ; implicit-def: $vgpr11
	s_and_saveexec_b64 s[16:17], s[12:13]
	s_cbranch_execz .LBB197_31
; %bb.37:                               ;   in Loop: Header=BB197_32 Depth=2
	v_lshl_add_u32 v10, v8, 2, 0
	ds_read_b32 v11, v10
	s_waitcnt lgkmcnt(0)
	v_cmp_eq_u32_e32 vcc, v11, v9
	s_orn2_b64 s[14:15], vcc, exec
	s_branch .LBB197_31
.LBB197_38:
	s_or_b64 exec, exec, s[2:3]
.LBB197_39:
	s_waitcnt vmcnt(0)
	v_mbcnt_lo_u32_b32 v2, -1, 0
	v_mbcnt_hi_u32_b32 v2, -1, v2
	v_sub_u32_e32 v2, 63, v2
	s_add_i32 s40, 0, 0x60000
	s_movk_i32 s0, 0x3ff
	s_movk_i32 s2, 0x7f
	;; [unrolled: 1-line block ×15, first 2 shown]
	s_add_i32 s59, 0, 0x6003c
	v_lshrrev_b64 v[2:3], v2, -1
	v_lshl_add_u32 v6, v20, 2, s40
	v_cmp_eq_u32_e32 vcc, s0, v0
	v_cmp_lt_u32_e64 s[0:1], 63, v0
	v_cmp_lt_u32_e64 s[2:3], s2, v0
	;; [unrolled: 1-line block ×15, first 2 shown]
	s_mov_b64 s[36:37], 0
	v_mov_b32_e32 v7, 0
	s_add_i32 s41, 0, 0x60004
	s_add_i32 s44, 0, 0x60008
	;; [unrolled: 1-line block ×14, first 2 shown]
	v_mov_b32_e32 v8, s59
	s_movk_i32 s60, 0x7bff
	s_waitcnt lgkmcnt(0)
	s_barrier
	s_branch .LBB197_41
.LBB197_40:                             ;   in Loop: Header=BB197_41 Depth=1
	s_or_b64 exec, exec, s[30:31]
	s_waitcnt lgkmcnt(0)
	s_barrier
	ds_read_b32 v4, v8
	v_add_u32_e32 v1, 0x400, v1
	v_cmp_lt_u32_e64 s[30:31], s60, v1
	v_add_u32_e32 v18, 0x2000, v18
	s_or_b64 s[36:37], s[30:31], s[36:37]
	s_waitcnt lgkmcnt(0)
	v_add_u32_e32 v7, v4, v7
	v_add_u32_e32 v19, 0x1000, v19
	s_andn2_b64 exec, exec, s[36:37]
	s_cbranch_execz .LBB197_75
.LBB197_41:                             ; =>This Inner Loop Header: Depth=1
	ds_read_b32 v9, v19
	ds_read_b64 v[4:5], v18
	s_waitcnt lgkmcnt(0)
	s_barrier
	v_cmp_gt_i32_e64 s[30:31], s33, v9
	s_bcnt1_i32_b64 s38, s[30:31]
	s_nop 0
	v_and_b32_e32 v11, s30, v2
	v_and_b32_e32 v10, s31, v3
	v_bcnt_u32_b32 v11, v11, 0
	v_bcnt_u32_b32 v10, v10, v11
	v_mov_b32_e32 v11, s38
	ds_write_b32 v6, v11
	s_waitcnt lgkmcnt(0)
	s_barrier
	s_and_saveexec_b64 s[38:39], s[0:1]
	s_cbranch_execz .LBB197_58
; %bb.42:                               ;   in Loop: Header=BB197_41 Depth=1
	v_mov_b32_e32 v11, s40
	ds_read_b32 v11, v11
	s_waitcnt lgkmcnt(0)
	v_add_u32_e32 v10, v11, v10
	s_or_b64 exec, exec, s[38:39]
	s_and_saveexec_b64 s[38:39], s[2:3]
	s_cbranch_execnz .LBB197_59
.LBB197_43:                             ;   in Loop: Header=BB197_41 Depth=1
	s_or_b64 exec, exec, s[38:39]
	s_and_saveexec_b64 s[38:39], s[4:5]
	s_cbranch_execz .LBB197_60
.LBB197_44:                             ;   in Loop: Header=BB197_41 Depth=1
	v_mov_b32_e32 v11, s44
	ds_read_b32 v11, v11
	s_waitcnt lgkmcnt(0)
	v_add_u32_e32 v10, v11, v10
	s_or_b64 exec, exec, s[38:39]
	s_and_saveexec_b64 s[38:39], s[6:7]
	s_cbranch_execnz .LBB197_61
.LBB197_45:                             ;   in Loop: Header=BB197_41 Depth=1
	s_or_b64 exec, exec, s[38:39]
	s_and_saveexec_b64 s[38:39], s[8:9]
	s_cbranch_execz .LBB197_62
.LBB197_46:                             ;   in Loop: Header=BB197_41 Depth=1
	v_mov_b32_e32 v11, s47
	ds_read_b32 v11, v11
	s_waitcnt lgkmcnt(0)
	v_add_u32_e32 v10, v11, v10
	s_or_b64 exec, exec, s[38:39]
	s_and_saveexec_b64 s[38:39], s[10:11]
	s_cbranch_execnz .LBB197_63
.LBB197_47:                             ;   in Loop: Header=BB197_41 Depth=1
	s_or_b64 exec, exec, s[38:39]
	s_and_saveexec_b64 s[38:39], s[12:13]
	s_cbranch_execz .LBB197_64
.LBB197_48:                             ;   in Loop: Header=BB197_41 Depth=1
	v_mov_b32_e32 v11, s50
	ds_read_b32 v11, v11
	s_waitcnt lgkmcnt(0)
	v_add_u32_e32 v10, v11, v10
	s_or_b64 exec, exec, s[38:39]
	s_and_saveexec_b64 s[38:39], s[14:15]
	s_cbranch_execnz .LBB197_65
.LBB197_49:                             ;   in Loop: Header=BB197_41 Depth=1
	s_or_b64 exec, exec, s[38:39]
	s_and_saveexec_b64 s[38:39], s[16:17]
	s_cbranch_execz .LBB197_66
.LBB197_50:                             ;   in Loop: Header=BB197_41 Depth=1
	v_mov_b32_e32 v11, s52
	ds_read_b32 v11, v11
	s_waitcnt lgkmcnt(0)
	v_add_u32_e32 v10, v11, v10
	s_or_b64 exec, exec, s[38:39]
	s_and_saveexec_b64 s[38:39], s[18:19]
	s_cbranch_execnz .LBB197_67
.LBB197_51:                             ;   in Loop: Header=BB197_41 Depth=1
	s_or_b64 exec, exec, s[38:39]
	s_and_saveexec_b64 s[38:39], s[20:21]
	s_cbranch_execz .LBB197_68
.LBB197_52:                             ;   in Loop: Header=BB197_41 Depth=1
	v_mov_b32_e32 v11, s54
	ds_read_b32 v11, v11
	s_waitcnt lgkmcnt(0)
	v_add_u32_e32 v10, v11, v10
	s_or_b64 exec, exec, s[38:39]
	s_and_saveexec_b64 s[38:39], s[22:23]
	s_cbranch_execnz .LBB197_69
.LBB197_53:                             ;   in Loop: Header=BB197_41 Depth=1
	s_or_b64 exec, exec, s[38:39]
	s_and_saveexec_b64 s[38:39], s[24:25]
	s_cbranch_execz .LBB197_70
.LBB197_54:                             ;   in Loop: Header=BB197_41 Depth=1
	v_mov_b32_e32 v11, s56
	ds_read_b32 v11, v11
	s_waitcnt lgkmcnt(0)
	v_add_u32_e32 v10, v11, v10
	s_or_b64 exec, exec, s[38:39]
	s_and_saveexec_b64 s[38:39], s[26:27]
	s_cbranch_execnz .LBB197_71
.LBB197_55:                             ;   in Loop: Header=BB197_41 Depth=1
	s_or_b64 exec, exec, s[38:39]
	s_and_saveexec_b64 s[38:39], s[28:29]
	s_cbranch_execz .LBB197_72
.LBB197_56:                             ;   in Loop: Header=BB197_41 Depth=1
	v_mov_b32_e32 v11, s58
	ds_read_b32 v11, v11
	s_waitcnt lgkmcnt(0)
	v_add_u32_e32 v10, v11, v10
	s_or_b64 exec, exec, s[38:39]
	s_and_saveexec_b64 s[38:39], s[30:31]
	s_cbranch_execnz .LBB197_73
.LBB197_57:                             ;   in Loop: Header=BB197_41 Depth=1
	s_or_b64 exec, exec, s[38:39]
	s_and_saveexec_b64 s[30:31], vcc
	s_cbranch_execz .LBB197_40
	s_branch .LBB197_74
.LBB197_58:                             ;   in Loop: Header=BB197_41 Depth=1
	s_or_b64 exec, exec, s[38:39]
	s_and_saveexec_b64 s[38:39], s[2:3]
	s_cbranch_execz .LBB197_43
.LBB197_59:                             ;   in Loop: Header=BB197_41 Depth=1
	v_mov_b32_e32 v11, s41
	ds_read_b32 v11, v11
	s_waitcnt lgkmcnt(0)
	v_add_u32_e32 v10, v11, v10
	s_or_b64 exec, exec, s[38:39]
	s_and_saveexec_b64 s[38:39], s[4:5]
	s_cbranch_execnz .LBB197_44
.LBB197_60:                             ;   in Loop: Header=BB197_41 Depth=1
	s_or_b64 exec, exec, s[38:39]
	s_and_saveexec_b64 s[38:39], s[6:7]
	s_cbranch_execz .LBB197_45
.LBB197_61:                             ;   in Loop: Header=BB197_41 Depth=1
	v_mov_b32_e32 v11, s45
	ds_read_b32 v11, v11
	s_waitcnt lgkmcnt(0)
	v_add_u32_e32 v10, v11, v10
	s_or_b64 exec, exec, s[38:39]
	s_and_saveexec_b64 s[38:39], s[8:9]
	s_cbranch_execnz .LBB197_46
.LBB197_62:                             ;   in Loop: Header=BB197_41 Depth=1
	s_or_b64 exec, exec, s[38:39]
	s_and_saveexec_b64 s[38:39], s[10:11]
	s_cbranch_execz .LBB197_47
.LBB197_63:                             ;   in Loop: Header=BB197_41 Depth=1
	v_mov_b32_e32 v11, s49
	ds_read_b32 v11, v11
	s_waitcnt lgkmcnt(0)
	v_add_u32_e32 v10, v11, v10
	s_or_b64 exec, exec, s[38:39]
	s_and_saveexec_b64 s[38:39], s[12:13]
	s_cbranch_execnz .LBB197_48
.LBB197_64:                             ;   in Loop: Header=BB197_41 Depth=1
	s_or_b64 exec, exec, s[38:39]
	s_and_saveexec_b64 s[38:39], s[14:15]
	s_cbranch_execz .LBB197_49
.LBB197_65:                             ;   in Loop: Header=BB197_41 Depth=1
	v_mov_b32_e32 v11, s51
	ds_read_b32 v11, v11
	s_waitcnt lgkmcnt(0)
	v_add_u32_e32 v10, v11, v10
	s_or_b64 exec, exec, s[38:39]
	s_and_saveexec_b64 s[38:39], s[16:17]
	s_cbranch_execnz .LBB197_50
.LBB197_66:                             ;   in Loop: Header=BB197_41 Depth=1
	s_or_b64 exec, exec, s[38:39]
	s_and_saveexec_b64 s[38:39], s[18:19]
	s_cbranch_execz .LBB197_51
.LBB197_67:                             ;   in Loop: Header=BB197_41 Depth=1
	v_mov_b32_e32 v11, s53
	ds_read_b32 v11, v11
	s_waitcnt lgkmcnt(0)
	v_add_u32_e32 v10, v11, v10
	s_or_b64 exec, exec, s[38:39]
	s_and_saveexec_b64 s[38:39], s[20:21]
	s_cbranch_execnz .LBB197_52
.LBB197_68:                             ;   in Loop: Header=BB197_41 Depth=1
	s_or_b64 exec, exec, s[38:39]
	s_and_saveexec_b64 s[38:39], s[22:23]
	s_cbranch_execz .LBB197_53
.LBB197_69:                             ;   in Loop: Header=BB197_41 Depth=1
	v_mov_b32_e32 v11, s55
	ds_read_b32 v11, v11
	s_waitcnt lgkmcnt(0)
	v_add_u32_e32 v10, v11, v10
	s_or_b64 exec, exec, s[38:39]
	s_and_saveexec_b64 s[38:39], s[24:25]
	s_cbranch_execnz .LBB197_54
.LBB197_70:                             ;   in Loop: Header=BB197_41 Depth=1
	s_or_b64 exec, exec, s[38:39]
	s_and_saveexec_b64 s[38:39], s[26:27]
	s_cbranch_execz .LBB197_55
.LBB197_71:                             ;   in Loop: Header=BB197_41 Depth=1
	v_mov_b32_e32 v11, s57
	ds_read_b32 v11, v11
	s_waitcnt lgkmcnt(0)
	v_add_u32_e32 v10, v11, v10
	s_or_b64 exec, exec, s[38:39]
	s_and_saveexec_b64 s[38:39], s[28:29]
	s_cbranch_execnz .LBB197_56
.LBB197_72:                             ;   in Loop: Header=BB197_41 Depth=1
	s_or_b64 exec, exec, s[38:39]
	s_and_saveexec_b64 s[38:39], s[30:31]
	s_cbranch_execz .LBB197_57
.LBB197_73:                             ;   in Loop: Header=BB197_41 Depth=1
	v_add3_u32 v11, v7, -1, v10
	v_lshl_add_u32 v12, v11, 2, 0
	v_lshl_add_u32 v11, v11, 3, 0
	v_add_u32_e32 v11, 0x20000, v11
	ds_write_b32 v12, v9
	ds_write_b64 v11, v[4:5]
	s_or_b64 exec, exec, s[38:39]
	s_and_saveexec_b64 s[30:31], vcc
	s_cbranch_execz .LBB197_40
.LBB197_74:                             ;   in Loop: Header=BB197_41 Depth=1
	v_mov_b32_e32 v4, s59
	ds_write_b32 v4, v10
	s_branch .LBB197_40
.LBB197_75:
	s_or_b64 exec, exec, s[36:37]
	s_ashr_i32 s49, s48, 31
	s_lshl_b64 s[0:1], s[48:49], 3
	s_add_u32 s4, s42, s0
	s_addc_u32 s5, s43, s1
	s_load_dwordx4 s[0:3], s[4:5], 0x0
	s_waitcnt lgkmcnt(0)
	s_sub_i32 s8, s2, s0
	v_cmp_gt_i32_e32 vcc, s8, v0
	s_and_saveexec_b64 s[4:5], vcc
	s_cbranch_execz .LBB197_85
; %bb.76:
	s_sub_u32 s4, s0, s46
	s_subb_u32 s5, s1, 0
	s_and_b32 s10, s8, 7
	s_sub_i32 s0, s0, s2
	s_cmp_lt_u32 s0, -7
	s_cselect_b64 s[0:1], -1, 0
	s_and_b32 s11, s8, -8
	s_cmp_lg_u32 s10, 0
	v_cndmask_b32_e64 v1, 0, 1, s[0:1]
	s_cselect_b64 s[2:3], -1, 0
	v_cmp_ne_u32_e64 s[0:1], 1, v1
	v_cndmask_b32_e64 v1, 0, 1, s[2:3]
	s_mov_b32 s9, 0
	s_mov_b64 s[6:7], 0
	v_cmp_ne_u32_e64 s[2:3], 1, v1
	s_branch .LBB197_78
.LBB197_77:                             ;   in Loop: Header=BB197_78 Depth=1
	v_add_u32_e32 v0, 0x400, v0
	v_cmp_le_i32_e32 vcc, s8, v0
	v_lshl_add_u64 v[4:5], v[4:5], 3, s[34:35]
	s_or_b64 s[6:7], vcc, s[6:7]
	s_waitcnt lgkmcnt(0)
	global_store_dwordx2 v[4:5], v[2:3], off
	s_andn2_b64 exec, exec, s[6:7]
	s_cbranch_execz .LBB197_85
.LBB197_78:                             ; =>This Loop Header: Depth=1
                                        ;     Child Loop BB197_80 Depth 2
                                        ;     Child Loop BB197_84 Depth 2
	v_lshl_add_u32 v2, v0, 3, 0
	v_lshl_add_u32 v1, v0, 2, 0
	v_add_u32_e32 v2, 0x20000, v2
	ds_read_b32 v1, v1
	ds_read_b64 v[2:3], v2
	s_and_b64 vcc, exec, s[0:1]
	v_mov_b64_e32 v[4:5], s[4:5]
	s_mov_b32 s12, 0
	s_cbranch_vccnz .LBB197_82
; %bb.79:                               ;   in Loop: Header=BB197_78 Depth=1
	s_mov_b32 s13, 0
	v_mov_b64_e32 v[4:5], s[4:5]
.LBB197_80:                             ;   Parent Loop BB197_78 Depth=1
                                        ; =>  This Inner Loop Header: Depth=2
	v_mov_b32_e32 v6, s13
	ds_read2_b32 v[22:23], v6 offset1:1
	ds_read2_b32 v[24:25], v6 offset0:2 offset1:3
	ds_read2_b32 v[26:27], v6 offset0:4 offset1:5
	;; [unrolled: 1-line block ×3, first 2 shown]
	v_mov_b32_e32 v7, s9
	s_waitcnt lgkmcnt(3)
	v_cmp_gt_i32_e32 vcc, v1, v22
	v_mov_b32_e32 v9, s9
	v_mov_b32_e32 v11, s9
	v_cndmask_b32_e64 v6, 0, 1, vcc
	v_cmp_gt_i32_e32 vcc, v1, v23
	v_lshl_add_u64 v[4:5], v[4:5], 0, v[6:7]
	v_mov_b32_e32 v13, s9
	v_cndmask_b32_e64 v8, 0, 1, vcc
	s_waitcnt lgkmcnt(2)
	v_cmp_gt_i32_e32 vcc, v1, v24
	v_lshl_add_u64 v[4:5], v[4:5], 0, v[8:9]
	v_mov_b32_e32 v15, s9
	v_cndmask_b32_e64 v10, 0, 1, vcc
	v_cmp_gt_i32_e32 vcc, v1, v25
	v_lshl_add_u64 v[4:5], v[4:5], 0, v[10:11]
	v_mov_b32_e32 v17, s9
	v_cndmask_b32_e64 v12, 0, 1, vcc
	s_waitcnt lgkmcnt(1)
	v_cmp_gt_i32_e32 vcc, v1, v26
	v_lshl_add_u64 v[4:5], v[4:5], 0, v[12:13]
	;; [unrolled: 9-line block ×3, first 2 shown]
	s_add_i32 s12, s12, 8
	v_cndmask_b32_e64 v18, 0, 1, vcc
	v_cmp_gt_i32_e32 vcc, v1, v29
	s_add_i32 s13, s13, 32
	v_lshl_add_u64 v[4:5], v[4:5], 0, v[18:19]
	v_cndmask_b32_e64 v20, 0, 1, vcc
	s_cmp_eq_u32 s11, s12
	v_lshl_add_u64 v[4:5], v[4:5], 0, v[20:21]
	s_cbranch_scc0 .LBB197_80
; %bb.81:                               ;   in Loop: Header=BB197_78 Depth=1
	s_mov_b32 s12, s11
.LBB197_82:                             ;   in Loop: Header=BB197_78 Depth=1
	s_and_b64 vcc, exec, s[2:3]
	s_cbranch_vccnz .LBB197_77
; %bb.83:                               ;   in Loop: Header=BB197_78 Depth=1
	s_lshl_b32 s12, s12, 2
	s_add_i32 s12, s12, 0
	s_mov_b32 s13, s10
.LBB197_84:                             ;   Parent Loop BB197_78 Depth=1
                                        ; =>  This Inner Loop Header: Depth=2
	v_mov_b32_e32 v6, s12
	ds_read_b32 v6, v6
	v_mov_b32_e32 v7, s9
	s_add_i32 s12, s12, 4
	s_add_i32 s13, s13, -1
	s_cmp_lg_u32 s13, 0
	s_waitcnt lgkmcnt(0)
	v_cmp_gt_i32_e32 vcc, v1, v6
	s_nop 1
	v_cndmask_b32_e64 v6, 0, 1, vcc
	v_lshl_add_u64 v[4:5], v[4:5], 0, v[6:7]
	s_cbranch_scc1 .LBB197_84
	s_branch .LBB197_77
.LBB197_85:
	s_endpgm
	.section	.rodata,"a",@progbits
	.p2align	6, 0x0
	.amdhsa_kernel _ZN9rocsparseL41csrgemm_numeric_fill_block_per_row_kernelILj1024ELj64ELj32768ELj137ELj64ElidEEvT5_PKS1_S3_NS_24const_host_device_scalarIT6_EEPKT4_S3_PKS5_S9_S3_SB_S6_S9_S3_SB_S9_S3_PS5_21rocsparse_index_base_SD_SD_SD_bbb
		.amdhsa_group_segment_fixed_size 0
		.amdhsa_private_segment_fixed_size 0
		.amdhsa_kernarg_size 156
		.amdhsa_user_sgpr_count 2
		.amdhsa_user_sgpr_dispatch_ptr 0
		.amdhsa_user_sgpr_queue_ptr 0
		.amdhsa_user_sgpr_kernarg_segment_ptr 1
		.amdhsa_user_sgpr_dispatch_id 0
		.amdhsa_user_sgpr_kernarg_preload_length 0
		.amdhsa_user_sgpr_kernarg_preload_offset 0
		.amdhsa_user_sgpr_private_segment_size 0
		.amdhsa_uses_dynamic_stack 0
		.amdhsa_enable_private_segment 0
		.amdhsa_system_sgpr_workgroup_id_x 1
		.amdhsa_system_sgpr_workgroup_id_y 0
		.amdhsa_system_sgpr_workgroup_id_z 0
		.amdhsa_system_sgpr_workgroup_info 0
		.amdhsa_system_vgpr_workitem_id 0
		.amdhsa_next_free_vgpr 30
		.amdhsa_next_free_sgpr 61
		.amdhsa_accum_offset 32
		.amdhsa_reserve_vcc 1
		.amdhsa_float_round_mode_32 0
		.amdhsa_float_round_mode_16_64 0
		.amdhsa_float_denorm_mode_32 3
		.amdhsa_float_denorm_mode_16_64 3
		.amdhsa_dx10_clamp 1
		.amdhsa_ieee_mode 1
		.amdhsa_fp16_overflow 0
		.amdhsa_tg_split 0
		.amdhsa_exception_fp_ieee_invalid_op 0
		.amdhsa_exception_fp_denorm_src 0
		.amdhsa_exception_fp_ieee_div_zero 0
		.amdhsa_exception_fp_ieee_overflow 0
		.amdhsa_exception_fp_ieee_underflow 0
		.amdhsa_exception_fp_ieee_inexact 0
		.amdhsa_exception_int_div_zero 0
	.end_amdhsa_kernel
	.section	.text._ZN9rocsparseL41csrgemm_numeric_fill_block_per_row_kernelILj1024ELj64ELj32768ELj137ELj64ElidEEvT5_PKS1_S3_NS_24const_host_device_scalarIT6_EEPKT4_S3_PKS5_S9_S3_SB_S6_S9_S3_SB_S9_S3_PS5_21rocsparse_index_base_SD_SD_SD_bbb,"axG",@progbits,_ZN9rocsparseL41csrgemm_numeric_fill_block_per_row_kernelILj1024ELj64ELj32768ELj137ELj64ElidEEvT5_PKS1_S3_NS_24const_host_device_scalarIT6_EEPKT4_S3_PKS5_S9_S3_SB_S6_S9_S3_SB_S9_S3_PS5_21rocsparse_index_base_SD_SD_SD_bbb,comdat
.Lfunc_end197:
	.size	_ZN9rocsparseL41csrgemm_numeric_fill_block_per_row_kernelILj1024ELj64ELj32768ELj137ELj64ElidEEvT5_PKS1_S3_NS_24const_host_device_scalarIT6_EEPKT4_S3_PKS5_S9_S3_SB_S6_S9_S3_SB_S9_S3_PS5_21rocsparse_index_base_SD_SD_SD_bbb, .Lfunc_end197-_ZN9rocsparseL41csrgemm_numeric_fill_block_per_row_kernelILj1024ELj64ELj32768ELj137ELj64ElidEEvT5_PKS1_S3_NS_24const_host_device_scalarIT6_EEPKT4_S3_PKS5_S9_S3_SB_S6_S9_S3_SB_S9_S3_PS5_21rocsparse_index_base_SD_SD_SD_bbb
                                        ; -- End function
	.set _ZN9rocsparseL41csrgemm_numeric_fill_block_per_row_kernelILj1024ELj64ELj32768ELj137ELj64ElidEEvT5_PKS1_S3_NS_24const_host_device_scalarIT6_EEPKT4_S3_PKS5_S9_S3_SB_S6_S9_S3_SB_S9_S3_PS5_21rocsparse_index_base_SD_SD_SD_bbb.num_vgpr, 30
	.set _ZN9rocsparseL41csrgemm_numeric_fill_block_per_row_kernelILj1024ELj64ELj32768ELj137ELj64ElidEEvT5_PKS1_S3_NS_24const_host_device_scalarIT6_EEPKT4_S3_PKS5_S9_S3_SB_S6_S9_S3_SB_S9_S3_PS5_21rocsparse_index_base_SD_SD_SD_bbb.num_agpr, 0
	.set _ZN9rocsparseL41csrgemm_numeric_fill_block_per_row_kernelILj1024ELj64ELj32768ELj137ELj64ElidEEvT5_PKS1_S3_NS_24const_host_device_scalarIT6_EEPKT4_S3_PKS5_S9_S3_SB_S6_S9_S3_SB_S9_S3_PS5_21rocsparse_index_base_SD_SD_SD_bbb.numbered_sgpr, 61
	.set _ZN9rocsparseL41csrgemm_numeric_fill_block_per_row_kernelILj1024ELj64ELj32768ELj137ELj64ElidEEvT5_PKS1_S3_NS_24const_host_device_scalarIT6_EEPKT4_S3_PKS5_S9_S3_SB_S6_S9_S3_SB_S9_S3_PS5_21rocsparse_index_base_SD_SD_SD_bbb.num_named_barrier, 0
	.set _ZN9rocsparseL41csrgemm_numeric_fill_block_per_row_kernelILj1024ELj64ELj32768ELj137ELj64ElidEEvT5_PKS1_S3_NS_24const_host_device_scalarIT6_EEPKT4_S3_PKS5_S9_S3_SB_S6_S9_S3_SB_S9_S3_PS5_21rocsparse_index_base_SD_SD_SD_bbb.private_seg_size, 0
	.set _ZN9rocsparseL41csrgemm_numeric_fill_block_per_row_kernelILj1024ELj64ELj32768ELj137ELj64ElidEEvT5_PKS1_S3_NS_24const_host_device_scalarIT6_EEPKT4_S3_PKS5_S9_S3_SB_S6_S9_S3_SB_S9_S3_PS5_21rocsparse_index_base_SD_SD_SD_bbb.uses_vcc, 1
	.set _ZN9rocsparseL41csrgemm_numeric_fill_block_per_row_kernelILj1024ELj64ELj32768ELj137ELj64ElidEEvT5_PKS1_S3_NS_24const_host_device_scalarIT6_EEPKT4_S3_PKS5_S9_S3_SB_S6_S9_S3_SB_S9_S3_PS5_21rocsparse_index_base_SD_SD_SD_bbb.uses_flat_scratch, 0
	.set _ZN9rocsparseL41csrgemm_numeric_fill_block_per_row_kernelILj1024ELj64ELj32768ELj137ELj64ElidEEvT5_PKS1_S3_NS_24const_host_device_scalarIT6_EEPKT4_S3_PKS5_S9_S3_SB_S6_S9_S3_SB_S9_S3_PS5_21rocsparse_index_base_SD_SD_SD_bbb.has_dyn_sized_stack, 0
	.set _ZN9rocsparseL41csrgemm_numeric_fill_block_per_row_kernelILj1024ELj64ELj32768ELj137ELj64ElidEEvT5_PKS1_S3_NS_24const_host_device_scalarIT6_EEPKT4_S3_PKS5_S9_S3_SB_S6_S9_S3_SB_S9_S3_PS5_21rocsparse_index_base_SD_SD_SD_bbb.has_recursion, 0
	.set _ZN9rocsparseL41csrgemm_numeric_fill_block_per_row_kernelILj1024ELj64ELj32768ELj137ELj64ElidEEvT5_PKS1_S3_NS_24const_host_device_scalarIT6_EEPKT4_S3_PKS5_S9_S3_SB_S6_S9_S3_SB_S9_S3_PS5_21rocsparse_index_base_SD_SD_SD_bbb.has_indirect_call, 0
	.section	.AMDGPU.csdata,"",@progbits
; Kernel info:
; codeLenInByte = 3280
; TotalNumSgprs: 67
; NumVgprs: 30
; NumAgprs: 0
; TotalNumVgprs: 30
; ScratchSize: 0
; MemoryBound: 0
; FloatMode: 240
; IeeeMode: 1
; LDSByteSize: 0 bytes/workgroup (compile time only)
; SGPRBlocks: 8
; VGPRBlocks: 3
; NumSGPRsForWavesPerEU: 67
; NumVGPRsForWavesPerEU: 30
; AccumOffset: 32
; Occupancy: 8
; WaveLimiterHint : 1
; COMPUTE_PGM_RSRC2:SCRATCH_EN: 0
; COMPUTE_PGM_RSRC2:USER_SGPR: 2
; COMPUTE_PGM_RSRC2:TRAP_HANDLER: 0
; COMPUTE_PGM_RSRC2:TGID_X_EN: 1
; COMPUTE_PGM_RSRC2:TGID_Y_EN: 0
; COMPUTE_PGM_RSRC2:TGID_Z_EN: 0
; COMPUTE_PGM_RSRC2:TIDIG_COMP_CNT: 0
; COMPUTE_PGM_RSRC3_GFX90A:ACCUM_OFFSET: 7
; COMPUTE_PGM_RSRC3_GFX90A:TG_SPLIT: 0
	.section	.text._ZN9rocsparseL51csrgemm_numeric_fill_block_per_row_multipass_kernelILj512ELj16ELj2048ELj32ElidEEvT4_PKS1_S3_NS_24const_host_device_scalarIT5_EEPKT3_S3_PKS5_S9_S3_SB_S6_S9_S3_SB_S9_S3_PS5_PS7_21rocsparse_index_base_SE_SE_SE_bbb,"axG",@progbits,_ZN9rocsparseL51csrgemm_numeric_fill_block_per_row_multipass_kernelILj512ELj16ELj2048ELj32ElidEEvT4_PKS1_S3_NS_24const_host_device_scalarIT5_EEPKT3_S3_PKS5_S9_S3_SB_S6_S9_S3_SB_S9_S3_PS5_PS7_21rocsparse_index_base_SE_SE_SE_bbb,comdat
	.globl	_ZN9rocsparseL51csrgemm_numeric_fill_block_per_row_multipass_kernelILj512ELj16ELj2048ELj32ElidEEvT4_PKS1_S3_NS_24const_host_device_scalarIT5_EEPKT3_S3_PKS5_S9_S3_SB_S6_S9_S3_SB_S9_S3_PS5_PS7_21rocsparse_index_base_SE_SE_SE_bbb ; -- Begin function _ZN9rocsparseL51csrgemm_numeric_fill_block_per_row_multipass_kernelILj512ELj16ELj2048ELj32ElidEEvT4_PKS1_S3_NS_24const_host_device_scalarIT5_EEPKT3_S3_PKS5_S9_S3_SB_S6_S9_S3_SB_S9_S3_PS5_PS7_21rocsparse_index_base_SE_SE_SE_bbb
	.p2align	8
	.type	_ZN9rocsparseL51csrgemm_numeric_fill_block_per_row_multipass_kernelILj512ELj16ELj2048ELj32ElidEEvT4_PKS1_S3_NS_24const_host_device_scalarIT5_EEPKT3_S3_PKS5_S9_S3_SB_S6_S9_S3_SB_S9_S3_PS5_PS7_21rocsparse_index_base_SE_SE_SE_bbb,@function
_ZN9rocsparseL51csrgemm_numeric_fill_block_per_row_multipass_kernelILj512ELj16ELj2048ELj32ElidEEvT4_PKS1_S3_NS_24const_host_device_scalarIT5_EEPKT3_S3_PKS5_S9_S3_SB_S6_S9_S3_SB_S9_S3_PS5_PS7_21rocsparse_index_base_SE_SE_SE_bbb: ; @_ZN9rocsparseL51csrgemm_numeric_fill_block_per_row_multipass_kernelILj512ELj16ELj2048ELj32ElidEEvT4_PKS1_S3_NS_24const_host_device_scalarIT5_EEPKT3_S3_PKS5_S9_S3_SB_S6_S9_S3_SB_S9_S3_PS5_PS7_21rocsparse_index_base_SE_SE_SE_bbb
; %bb.0:
	s_load_dword s3, s[0:1], 0xa0
	s_load_dwordx4 s[4:7], s[0:1], 0x8
	s_load_dwordx2 s[10:11], s[0:1], 0x18
	s_load_dwordx4 s[60:63], s[0:1], 0x90
	s_load_dwordx2 s[12:13], s[0:1], 0x50
	s_waitcnt lgkmcnt(0)
	s_bitcmp1_b32 s3, 0
	s_cselect_b64 s[8:9], -1, 0
	s_bitcmp1_b32 s3, 16
	s_cselect_b64 s[14:15], -1, 0
	s_xor_b64 s[16:17], s[8:9], -1
	s_or_b64 s[16:17], s[14:15], s[16:17]
	s_and_b64 s[18:19], s[8:9], exec
	s_cselect_b32 s19, s11, 0
	s_cselect_b32 s18, s10, 0
	s_and_b64 vcc, exec, s[16:17]
	v_mov_b64_e32 v[2:3], s[18:19]
	s_cbranch_vccnz .LBB198_2
; %bb.1:
	v_mov_b64_e32 v[2:3], s[10:11]
	flat_load_dwordx2 v[2:3], v[2:3]
.LBB198_2:
	s_bitcmp1_b32 s3, 8
	s_cselect_b64 s[42:43], -1, 0
	s_load_dwordx2 s[10:11], s[0:1], 0x20
	s_xor_b64 s[16:17], s[42:43], -1
	s_or_b64 s[14:15], s[14:15], s[16:17]
	s_and_b64 s[16:17], s[42:43], exec
	s_cselect_b32 s17, s13, 0
	s_cselect_b32 s16, s12, 0
	s_and_b64 vcc, exec, s[14:15]
	v_mov_b64_e32 v[4:5], s[16:17]
	s_cbranch_vccnz .LBB198_4
; %bb.3:
	v_mov_b64_e32 v[4:5], s[12:13]
	flat_load_dwordx2 v[4:5], v[4:5]
.LBB198_4:
	s_load_dword s4, s[4:5], 0x0
	s_mov_b32 s3, 0
	v_cndmask_b32_e64 v1, 0, 1, s[8:9]
	s_mov_b64 s[68:69], 0
	s_waitcnt lgkmcnt(0)
	s_add_i32 s2, s4, s2
	s_lshl_b64 s[2:3], s[2:3], 2
	s_add_u32 s2, s6, s2
	s_addc_u32 s3, s7, s3
	s_load_dword s6, s[2:3], 0x0
	v_cmp_ne_u32_e64 s[2:3], 1, v1
	s_andn2_b64 vcc, exec, s[8:9]
	s_mov_b64 s[4:5], 0
	s_cbranch_vccz .LBB198_7
; %bb.5:
	s_and_b64 vcc, exec, s[2:3]
	s_cbranch_vccz .LBB198_8
.LBB198_6:
	s_load_dword s33, s[0:1], 0x0
	s_waitcnt lgkmcnt(0)
	s_cmp_lt_i32 s33, 1
	s_cbranch_scc0 .LBB198_9
	s_branch .LBB198_62
.LBB198_7:
	s_waitcnt lgkmcnt(0)
	s_ashr_i32 s7, s6, 31
	s_lshl_b64 s[4:5], s[6:7], 3
	s_add_u32 s4, s10, s4
	s_addc_u32 s5, s11, s5
	s_load_dwordx2 s[4:5], s[4:5], 0x0
	s_waitcnt lgkmcnt(0)
	s_sub_u32 s4, s4, s60
	s_subb_u32 s5, s5, 0
	s_and_b64 vcc, exec, s[2:3]
	s_cbranch_vccnz .LBB198_6
.LBB198_8:
	s_waitcnt lgkmcnt(0)
	s_ashr_i32 s7, s6, 31
	s_lshl_b64 s[2:3], s[6:7], 3
	s_add_u32 s2, s10, s2
	s_addc_u32 s3, s11, s3
	s_load_dwordx2 s[2:3], s[2:3], 0x8
	s_waitcnt lgkmcnt(0)
	s_sub_u32 s68, s2, s60
	s_subb_u32 s69, s3, 0
	s_load_dword s33, s[0:1], 0x0
	s_waitcnt lgkmcnt(0)
	s_cmp_lt_i32 s33, 1
	s_cbranch_scc1 .LBB198_62
.LBB198_9:
	s_load_dwordx8 s[44:51], s[0:1], 0x58
	s_load_dwordx4 s[64:67], s[0:1], 0x80
	s_load_dwordx2 s[70:71], s[0:1], 0x48
	s_ashr_i32 s7, s6, 31
	s_lshl_b64 s[6:7], s[6:7], 3
	s_waitcnt lgkmcnt(0)
	s_add_u32 s2, s50, s6
	s_addc_u32 s3, s51, s7
	s_load_dwordx2 s[2:3], s[2:3], 0x0
	v_and_b32_e32 v1, 15, v0
	v_lshrrev_b32_e32 v6, 4, v0
	v_mov_b32_e32 v7, 0
	v_lshl_add_u64 v[8:9], s[4:5], 0, v[6:7]
	s_waitcnt lgkmcnt(0)
	s_sub_u32 s38, s2, s62
	s_subb_u32 s39, s3, 0
	v_mov_b32_e32 v6, v1
	v_cmp_eq_u32_e64 s[2:3], 15, v1
	v_mbcnt_lo_u32_b32 v1, -1, 0
	s_load_dwordx8 s[52:59], s[0:1], 0x28
	v_subrev_co_u32_e64 v10, s[4:5], s63, v0
	v_mbcnt_hi_u32_b32 v1, -1, v1
	s_nop 0
	v_subb_co_u32_e64 v11, s[4:5], 0, 0, s[4:5]
	v_sub_u32_e32 v1, 63, v1
	v_cmp_gt_i64_e32 vcc, s[68:69], v[8:9]
	s_add_u32 s44, s44, s6
	v_lshrrev_b64 v[12:13], v1, -1
	v_lshrrev_b32_e32 v1, 3, v0
	s_movk_i32 s4, 0x1ff
	s_movk_i32 s10, 0x60
	;; [unrolled: 1-line block ×14, first 2 shown]
	v_cmp_eq_u32_e64 s[40:41], 0, v0
	s_mov_b32 s62, s61
	s_addc_u32 s45, s45, s7
	s_mov_b32 s96, s63
	v_and_b32_e32 v32, 60, v1
	v_cmp_eq_u32_e64 s[4:5], s4, v0
	s_and_b64 s[50:51], s[8:9], vcc
	v_cmp_gt_u32_e64 s[6:7], 32, v0
	v_cmp_gt_u32_e64 s[8:9], 64, v0
	;; [unrolled: 1-line block ×15, first 2 shown]
	v_or_b32_e32 v33, 0xfffffe00, v0
	v_lshlrev_b32_e32 v34, 3, v0
	v_mov_b32_e32 v36, 0x800
	v_mov_b64_e32 v[0:1], s[38:39]
	v_mov_b32_e32 v40, v7
	v_mov_b32_e32 v41, v7
	s_movk_i32 s97, 0x5ff
	v_mov_b32_e32 v42, s33
	v_mov_b32_e32 v35, 1
	s_mov_b64 s[72:73], 0x80
	s_mov_b64 s[74:75], 0x200
	;; [unrolled: 1-line block ×4, first 2 shown]
	v_mov_b32_e32 v37, v7
	s_branch .LBB198_11
.LBB198_10:                             ;   in Loop: Header=BB198_11 Depth=1
	s_or_b64 exec, exec, s[0:1]
	ds_read_b32 v37, v7 offset:18432
	s_waitcnt lgkmcnt(0)
	s_barrier
	v_cmp_le_i32_e32 vcc, s33, v37
	v_add_u32_e32 v36, 0x800, v37
	s_cbranch_vccnz .LBB198_62
.LBB198_11:                             ; =>This Loop Header: Depth=1
                                        ;     Child Loop BB198_12 Depth 2
                                        ;     Child Loop BB198_18 Depth 2
                                        ;       Child Loop BB198_24 Depth 3
                                        ;     Child Loop BB198_41 Depth 2
                                        ;     Child Loop BB198_53 Depth 2
	;; [unrolled: 1-line block ×3, first 2 shown]
	s_mov_b64 s[0:1], 0
	v_mov_b32_e32 v14, v34
	v_mov_b32_e32 v15, v33
.LBB198_12:                             ;   Parent Loop BB198_11 Depth=1
                                        ; =>  This Inner Loop Header: Depth=2
	ds_write_b8 v15, v7 offset:16896
	ds_write_b64 v14, v[40:41]
	v_add_u32_e32 v15, 0x200, v15
	v_cmp_lt_u32_e32 vcc, s97, v15
	s_or_b64 s[0:1], vcc, s[0:1]
	v_add_u32_e32 v14, 0x1000, v14
	s_andn2_b64 exec, exec, s[0:1]
	s_cbranch_execnz .LBB198_12
; %bb.13:                               ;   in Loop: Header=BB198_11 Depth=1
	s_or_b64 exec, exec, s[0:1]
	s_and_saveexec_b64 s[0:1], s[40:41]
; %bb.14:                               ;   in Loop: Header=BB198_11 Depth=1
	ds_write_b32 v7, v42 offset:18432
; %bb.15:                               ;   in Loop: Header=BB198_11 Depth=1
	s_or_b64 exec, exec, s[0:1]
	v_mov_b32_e32 v38, s33
	s_waitcnt lgkmcnt(0)
	s_barrier
	s_and_saveexec_b64 s[80:81], s[50:51]
	s_cbranch_execz .LBB198_37
; %bb.16:                               ;   in Loop: Header=BB198_11 Depth=1
	s_mov_b64 s[82:83], 0
	v_cmp_ne_u32_e64 s[38:39], 0, v37
	v_mov_b32_e32 v38, s33
	v_mov_b64_e32 v[14:15], v[8:9]
	s_branch .LBB198_18
.LBB198_17:                             ;   in Loop: Header=BB198_18 Depth=2
	s_or_b64 exec, exec, s[0:1]
	v_lshl_add_u64 v[14:15], v[14:15], 0, 32
	v_cmp_le_i64_e32 vcc, s[68:69], v[14:15]
	s_or_b64 s[82:83], vcc, s[82:83]
	s_andn2_b64 exec, exec, s[82:83]
	s_cbranch_execz .LBB198_36
.LBB198_18:                             ;   Parent Loop BB198_11 Depth=1
                                        ; =>  This Loop Header: Depth=2
                                        ;       Child Loop BB198_24 Depth 3
	v_lshl_add_u64 v[16:17], v[14:15], 2, s[52:53]
	global_load_dword v18, v[16:17], off
	v_lshl_add_u64 v[16:17], v[14:15], 3, s[54:55]
	global_load_dwordx2 v[22:23], v[16:17], off
	s_and_b64 vcc, exec, s[38:39]
	v_lshl_add_u64 v[16:17], v[14:15], 3, s[66:67]
	s_waitcnt vmcnt(0)
	v_subrev_u32_e32 v18, s60, v18
	v_ashrrev_i32_e32 v19, 31, v18
	s_cbranch_vccz .LBB198_35
; %bb.19:                               ;   in Loop: Header=BB198_18 Depth=2
	global_load_dwordx2 v[24:25], v[16:17], off
	s_cbranch_execnz .LBB198_21
.LBB198_20:                             ;   in Loop: Header=BB198_18 Depth=2
	v_lshl_add_u64 v[20:21], v[18:19], 3, s[56:57]
	global_load_dwordx2 v[20:21], v[20:21], off
	s_waitcnt vmcnt(0)
	v_subrev_co_u32_e32 v24, vcc, s62, v20
	s_nop 1
	v_subbrev_co_u32_e32 v25, vcc, 0, v21, vcc
.LBB198_21:                             ;   in Loop: Header=BB198_18 Depth=2
	v_lshl_add_u64 v[18:19], v[18:19], 3, s[56:57]
	global_load_dwordx2 v[18:19], v[18:19], off offset:8
	s_waitcnt vmcnt(0)
	v_subrev_co_u32_e32 v20, vcc, s62, v18
	s_nop 1
	v_subbrev_co_u32_e32 v21, vcc, 0, v19, vcc
	v_lshl_add_u64 v[18:19], v[24:25], 0, v[6:7]
	v_cmp_lt_i64_e32 vcc, v[18:19], v[20:21]
	s_and_saveexec_b64 s[84:85], vcc
	s_cbranch_execz .LBB198_33
; %bb.22:                               ;   in Loop: Header=BB198_18 Depth=2
	v_mul_f64 v[22:23], v[2:3], v[22:23]
	v_lshl_add_u64 v[24:25], v[18:19], 2, s[58:59]
	v_lshl_add_u64 v[26:27], v[18:19], 3, s[70:71]
	s_mov_b64 s[88:89], 0
	v_mov_b64_e32 v[30:31], v[18:19]
                                        ; implicit-def: $sgpr86_sgpr87
                                        ; implicit-def: $sgpr90_sgpr91
	s_branch .LBB198_24
.LBB198_23:                             ;   in Loop: Header=BB198_24 Depth=3
	s_or_b64 exec, exec, s[94:95]
	s_and_b64 s[0:1], exec, s[92:93]
	s_or_b64 s[88:89], s[0:1], s[88:89]
	s_andn2_b64 s[0:1], s[86:87], exec
	s_and_b64 s[86:87], s[90:91], exec
	s_or_b64 s[86:87], s[0:1], s[86:87]
	s_andn2_b64 exec, exec, s[88:89]
	s_cbranch_execz .LBB198_30
.LBB198_24:                             ;   Parent Loop BB198_11 Depth=1
                                        ;     Parent Loop BB198_18 Depth=2
                                        ; =>    This Inner Loop Header: Depth=3
	global_load_dword v39, v[24:25], off
	v_mov_b64_e32 v[28:29], v[30:31]
	s_waitcnt vmcnt(0)
	v_subrev_u32_e32 v39, s61, v39
	v_cmp_lt_i32_e32 vcc, v39, v37
	v_cmp_ge_i32_e64 s[0:1], v39, v36
	s_or_b64 s[92:93], vcc, s[0:1]
	s_mov_b64 s[0:1], 0
	s_and_saveexec_b64 s[94:95], s[92:93]
	s_xor_b64 s[92:93], exec, s[94:95]
; %bb.25:                               ;   in Loop: Header=BB198_24 Depth=3
	v_cmp_lt_i32_e32 vcc, v39, v36
	s_and_b64 s[0:1], vcc, exec
; %bb.26:                               ;   in Loop: Header=BB198_24 Depth=3
	s_andn2_saveexec_b64 s[92:93], s[92:93]
	s_cbranch_execz .LBB198_28
; %bb.27:                               ;   in Loop: Header=BB198_24 Depth=3
	global_load_dwordx2 v[30:31], v[26:27], off
	v_sub_u32_e32 v43, v39, v37
	ds_write_b8 v43, v35 offset:16384
	v_lshlrev_b32_e32 v43, 3, v43
	s_or_b64 s[0:1], s[0:1], exec
	s_waitcnt vmcnt(0)
	v_mul_f64 v[30:31], v[22:23], v[30:31]
	ds_add_f64 v43, v[30:31]
.LBB198_28:                             ;   in Loop: Header=BB198_24 Depth=3
	s_or_b64 exec, exec, s[92:93]
	s_mov_b64 s[92:93], -1
	s_or_b64 s[90:91], s[90:91], exec
                                        ; implicit-def: $vgpr30_vgpr31
	s_and_saveexec_b64 s[94:95], s[0:1]
	s_cbranch_execz .LBB198_23
; %bb.29:                               ;   in Loop: Header=BB198_24 Depth=3
	v_lshl_add_u64 v[30:31], v[28:29], 0, 16
	v_cmp_ge_i64_e32 vcc, v[30:31], v[20:21]
	v_lshl_add_u64 v[24:25], v[24:25], 0, 64
	v_lshl_add_u64 v[26:27], v[26:27], 0, s[72:73]
	s_andn2_b64 s[90:91], s[90:91], exec
	s_orn2_b64 s[92:93], vcc, exec
	s_branch .LBB198_23
.LBB198_30:                             ;   in Loop: Header=BB198_18 Depth=2
	s_or_b64 exec, exec, s[88:89]
	s_and_saveexec_b64 s[0:1], s[86:87]
	s_xor_b64 s[0:1], exec, s[0:1]
; %bb.31:                               ;   in Loop: Header=BB198_18 Depth=2
	v_min_i32_e32 v38, v39, v38
	v_mov_b64_e32 v[18:19], v[28:29]
; %bb.32:                               ;   in Loop: Header=BB198_18 Depth=2
	s_or_b64 exec, exec, s[0:1]
.LBB198_33:                             ;   in Loop: Header=BB198_18 Depth=2
	s_or_b64 exec, exec, s[84:85]
	v_mov_b32_dpp v20, v18 row_shr:1 row_mask:0xf bank_mask:0xf
	v_mov_b32_dpp v21, v19 row_shr:1 row_mask:0xf bank_mask:0xf
	v_cmp_lt_i64_e32 vcc, v[20:21], v[18:19]
	s_nop 1
	v_cndmask_b32_e32 v19, v19, v21, vcc
	v_cndmask_b32_e32 v18, v18, v20, vcc
	s_nop 0
	v_mov_b32_dpp v21, v19 row_shr:2 row_mask:0xf bank_mask:0xf
	v_mov_b32_dpp v20, v18 row_shr:2 row_mask:0xf bank_mask:0xf
	v_cmp_lt_i64_e32 vcc, v[20:21], v[18:19]
	s_nop 1
	v_cndmask_b32_e32 v19, v19, v21, vcc
	v_cndmask_b32_e32 v18, v18, v20, vcc
	s_nop 0
	;; [unrolled: 7-line block ×3, first 2 shown]
	v_mov_b32_dpp v22, v19 row_shr:8 row_mask:0xf bank_mask:0xc
	v_mov_b32_dpp v20, v18 row_shr:8 row_mask:0xf bank_mask:0xc
	s_and_saveexec_b64 s[0:1], s[2:3]
	s_cbranch_execz .LBB198_17
; %bb.34:                               ;   in Loop: Header=BB198_18 Depth=2
	v_mov_b32_e32 v21, v22
	v_cmp_lt_i64_e32 vcc, v[20:21], v[18:19]
	s_nop 1
	v_cndmask_b32_e32 v19, v19, v22, vcc
	v_cndmask_b32_e32 v18, v18, v20, vcc
	global_store_dwordx2 v[16:17], v[18:19], off
	s_branch .LBB198_17
.LBB198_35:                             ;   in Loop: Header=BB198_18 Depth=2
                                        ; implicit-def: $vgpr24_vgpr25
	s_branch .LBB198_20
.LBB198_36:                             ;   in Loop: Header=BB198_11 Depth=1
	s_or_b64 exec, exec, s[82:83]
.LBB198_37:                             ;   in Loop: Header=BB198_11 Depth=1
	s_or_b64 exec, exec, s[80:81]
	s_andn2_b64 vcc, exec, s[42:43]
	s_cbranch_vccnz .LBB198_51
; %bb.38:                               ;   in Loop: Header=BB198_11 Depth=1
	s_load_dwordx4 s[84:87], s[44:45], 0x0
	s_waitcnt lgkmcnt(0)
	s_sub_u32 s80, s86, s96
	s_subb_u32 s81, s87, 0
	v_lshl_add_u64 v[14:15], s[84:85], 0, v[10:11]
	v_cmp_gt_i64_e32 vcc, s[80:81], v[14:15]
	s_and_saveexec_b64 s[38:39], vcc
	s_cbranch_execz .LBB198_50
; %bb.39:                               ;   in Loop: Header=BB198_11 Depth=1
	v_lshl_add_u64 v[16:17], v[14:15], 2, s[46:47]
	v_lshl_add_u64 v[18:19], v[14:15], 3, s[48:49]
	s_mov_b64 s[82:83], 0
                                        ; implicit-def: $sgpr84_sgpr85
                                        ; implicit-def: $sgpr86_sgpr87
	s_branch .LBB198_41
.LBB198_40:                             ;   in Loop: Header=BB198_41 Depth=2
	s_or_b64 exec, exec, s[90:91]
	s_and_b64 s[0:1], exec, s[88:89]
	s_or_b64 s[82:83], s[0:1], s[82:83]
	s_andn2_b64 s[0:1], s[84:85], exec
	s_and_b64 s[84:85], s[86:87], exec
	s_or_b64 s[84:85], s[0:1], s[84:85]
	s_andn2_b64 exec, exec, s[82:83]
	s_cbranch_execz .LBB198_47
.LBB198_41:                             ;   Parent Loop BB198_11 Depth=1
                                        ; =>  This Inner Loop Header: Depth=2
	global_load_dword v20, v[16:17], off
	s_waitcnt vmcnt(0)
	v_subrev_u32_e32 v20, s63, v20
	v_cmp_lt_i32_e32 vcc, v20, v37
	v_cmp_ge_i32_e64 s[0:1], v20, v36
	s_or_b64 s[88:89], vcc, s[0:1]
	s_mov_b64 s[0:1], 0
	s_and_saveexec_b64 s[90:91], s[88:89]
	s_xor_b64 s[88:89], exec, s[90:91]
; %bb.42:                               ;   in Loop: Header=BB198_41 Depth=2
	v_cmp_lt_i32_e32 vcc, v20, v36
	s_and_b64 s[0:1], vcc, exec
; %bb.43:                               ;   in Loop: Header=BB198_41 Depth=2
	s_andn2_saveexec_b64 s[88:89], s[88:89]
	s_cbranch_execz .LBB198_45
; %bb.44:                               ;   in Loop: Header=BB198_41 Depth=2
	global_load_dwordx2 v[22:23], v[18:19], off
	v_sub_u32_e32 v21, v20, v37
	ds_write_b8 v21, v35 offset:16384
	v_lshlrev_b32_e32 v21, 3, v21
	s_or_b64 s[0:1], s[0:1], exec
	s_waitcnt vmcnt(0)
	v_mul_f64 v[22:23], v[4:5], v[22:23]
	ds_add_f64 v21, v[22:23]
.LBB198_45:                             ;   in Loop: Header=BB198_41 Depth=2
	s_or_b64 exec, exec, s[88:89]
	s_mov_b64 s[88:89], -1
	s_or_b64 s[86:87], s[86:87], exec
	s_and_saveexec_b64 s[90:91], s[0:1]
	s_cbranch_execz .LBB198_40
; %bb.46:                               ;   in Loop: Header=BB198_41 Depth=2
	v_lshl_add_u64 v[14:15], v[14:15], 0, s[74:75]
	v_cmp_le_i64_e32 vcc, s[80:81], v[14:15]
	v_lshl_add_u64 v[16:17], v[16:17], 0, s[76:77]
	v_lshl_add_u64 v[18:19], v[18:19], 0, s[78:79]
	s_andn2_b64 s[86:87], s[86:87], exec
	s_orn2_b64 s[88:89], vcc, exec
	s_branch .LBB198_40
.LBB198_47:                             ;   in Loop: Header=BB198_11 Depth=1
	s_or_b64 exec, exec, s[82:83]
	s_and_saveexec_b64 s[0:1], s[84:85]
	s_xor_b64 s[0:1], exec, s[0:1]
; %bb.48:                               ;   in Loop: Header=BB198_11 Depth=1
	v_min_i32_e32 v38, v20, v38
; %bb.49:                               ;   in Loop: Header=BB198_11 Depth=1
	s_or_b64 exec, exec, s[0:1]
.LBB198_50:                             ;   in Loop: Header=BB198_11 Depth=1
	s_or_b64 exec, exec, s[38:39]
.LBB198_51:                             ;   in Loop: Header=BB198_11 Depth=1
	v_mov_b32_dpp v14, v38 row_shr:1 row_mask:0xf bank_mask:0xf
	v_min_i32_e32 v14, v14, v38
	s_nop 1
	v_mov_b32_dpp v15, v14 row_shr:2 row_mask:0xf bank_mask:0xf
	v_min_i32_e32 v14, v15, v14
	s_nop 1
	;; [unrolled: 3-line block ×3, first 2 shown]
	v_mov_b32_dpp v15, v14 row_shr:8 row_mask:0xf bank_mask:0xc
	s_and_saveexec_b64 s[0:1], s[2:3]
	s_cbranch_execz .LBB198_56
; %bb.52:                               ;   in Loop: Header=BB198_11 Depth=1
	s_mov_b64 s[38:39], exec
	v_min_i32_e32 v14, v15, v14
	s_brev_b32 s80, -2
.LBB198_53:                             ;   Parent Loop BB198_11 Depth=1
                                        ; =>  This Inner Loop Header: Depth=2
	s_ff1_i32_b64 s81, s[38:39]
	v_readlane_b32 s84, v14, s81
	s_lshl_b64 s[82:83], 1, s81
	s_min_i32 s80, s80, s84
	s_andn2_b64 s[38:39], s[38:39], s[82:83]
	s_cmp_lg_u64 s[38:39], 0
	s_cbranch_scc1 .LBB198_53
; %bb.54:                               ;   in Loop: Header=BB198_11 Depth=1
	v_mbcnt_lo_u32_b32 v14, exec_lo, 0
	v_mbcnt_hi_u32_b32 v14, exec_hi, v14
	v_cmp_eq_u32_e32 vcc, 0, v14
	s_and_saveexec_b64 s[38:39], vcc
	s_xor_b64 s[38:39], exec, s[38:39]
; %bb.55:                               ;   in Loop: Header=BB198_11 Depth=1
	v_mov_b32_e32 v14, s80
	ds_min_i32 v7, v14 offset:18432
.LBB198_56:                             ;   in Loop: Header=BB198_11 Depth=1
	s_or_b64 exec, exec, s[0:1]
	s_mov_b64 s[0:1], 0
	v_mov_b32_e32 v18, v34
	v_mov_b32_e32 v19, v33
	s_waitcnt lgkmcnt(0)
	s_barrier
	s_branch .LBB198_58
.LBB198_57:                             ;   in Loop: Header=BB198_58 Depth=2
	s_or_b64 exec, exec, s[38:39]
	s_waitcnt lgkmcnt(0)
	s_barrier
	ds_read_b32 v14, v7 offset:60
	v_add_u32_e32 v19, 0x200, v19
	v_cmp_lt_u32_e32 vcc, s97, v19
	s_or_b64 s[0:1], vcc, s[0:1]
	v_add_u32_e32 v18, 0x1000, v18
	s_waitcnt lgkmcnt(0)
	v_ashrrev_i32_e32 v15, 31, v14
	v_lshl_add_u64 v[0:1], v[0:1], 0, v[14:15]
	s_andn2_b64 exec, exec, s[0:1]
	s_cbranch_execz .LBB198_10
.LBB198_58:                             ;   Parent Loop BB198_11 Depth=1
                                        ; =>  This Inner Loop Header: Depth=2
	ds_read_u8 v17, v19 offset:16896
	ds_read_b64 v[14:15], v18
	s_waitcnt lgkmcnt(0)
	s_barrier
	v_cmp_ne_u16_e32 vcc, 0, v17
	s_bcnt1_i32_b64 s38, vcc
	v_and_b32_e32 v17, 1, v17
	v_and_b32_e32 v20, vcc_lo, v12
	v_bcnt_u32_b32 v24, v20, 0
	v_mov_b32_e32 v20, s38
	ds_write_b32 v32, v20
	s_waitcnt lgkmcnt(0)
	s_barrier
	ds_read_b128 v[20:23], v7
	v_and_b32_e32 v16, vcc_hi, v13
	v_bcnt_u32_b32 v16, v16, v24
	ds_read_b128 v[24:27], v7 offset:16
	ds_read_b128 v[28:31], v7 offset:32
	ds_read_b96 v[36:38], v7 offset:48
	v_cmp_eq_u32_e32 vcc, 1, v17
	s_waitcnt lgkmcnt(0)
	v_cndmask_b32_e64 v20, v20, 0, s[6:7]
	v_add_u32_e32 v16, v20, v16
	v_cndmask_b32_e64 v20, v21, 0, s[8:9]
	v_cndmask_b32_e64 v21, v22, 0, s[10:11]
	v_add3_u32 v16, v16, v20, v21
	v_cndmask_b32_e64 v20, v23, 0, s[12:13]
	v_cndmask_b32_e64 v21, v24, 0, s[14:15]
	v_add3_u32 v16, v16, v20, v21
	;; [unrolled: 3-line block ×7, first 2 shown]
	s_and_saveexec_b64 s[38:39], vcc
	s_cbranch_execz .LBB198_60
; %bb.59:                               ;   in Loop: Header=BB198_58 Depth=2
	v_lshl_add_u64 v[20:21], v[0:1], 3, s[64:65]
	v_ashrrev_i32_e32 v17, 31, v16
	v_lshl_add_u64 v[20:21], v[16:17], 3, v[20:21]
	global_store_dwordx2 v[20:21], v[14:15], off offset:-8
.LBB198_60:                             ;   in Loop: Header=BB198_58 Depth=2
	s_or_b64 exec, exec, s[38:39]
	s_and_saveexec_b64 s[38:39], s[4:5]
	s_cbranch_execz .LBB198_57
; %bb.61:                               ;   in Loop: Header=BB198_58 Depth=2
	ds_write_b32 v7, v16 offset:60
	s_branch .LBB198_57
.LBB198_62:
	s_endpgm
	.section	.rodata,"a",@progbits
	.p2align	6, 0x0
	.amdhsa_kernel _ZN9rocsparseL51csrgemm_numeric_fill_block_per_row_multipass_kernelILj512ELj16ELj2048ELj32ElidEEvT4_PKS1_S3_NS_24const_host_device_scalarIT5_EEPKT3_S3_PKS5_S9_S3_SB_S6_S9_S3_SB_S9_S3_PS5_PS7_21rocsparse_index_base_SE_SE_SE_bbb
		.amdhsa_group_segment_fixed_size 18440
		.amdhsa_private_segment_fixed_size 0
		.amdhsa_kernarg_size 164
		.amdhsa_user_sgpr_count 2
		.amdhsa_user_sgpr_dispatch_ptr 0
		.amdhsa_user_sgpr_queue_ptr 0
		.amdhsa_user_sgpr_kernarg_segment_ptr 1
		.amdhsa_user_sgpr_dispatch_id 0
		.amdhsa_user_sgpr_kernarg_preload_length 0
		.amdhsa_user_sgpr_kernarg_preload_offset 0
		.amdhsa_user_sgpr_private_segment_size 0
		.amdhsa_uses_dynamic_stack 0
		.amdhsa_enable_private_segment 0
		.amdhsa_system_sgpr_workgroup_id_x 1
		.amdhsa_system_sgpr_workgroup_id_y 0
		.amdhsa_system_sgpr_workgroup_id_z 0
		.amdhsa_system_sgpr_workgroup_info 0
		.amdhsa_system_vgpr_workitem_id 0
		.amdhsa_next_free_vgpr 44
		.amdhsa_next_free_sgpr 98
		.amdhsa_accum_offset 44
		.amdhsa_reserve_vcc 1
		.amdhsa_float_round_mode_32 0
		.amdhsa_float_round_mode_16_64 0
		.amdhsa_float_denorm_mode_32 3
		.amdhsa_float_denorm_mode_16_64 3
		.amdhsa_dx10_clamp 1
		.amdhsa_ieee_mode 1
		.amdhsa_fp16_overflow 0
		.amdhsa_tg_split 0
		.amdhsa_exception_fp_ieee_invalid_op 0
		.amdhsa_exception_fp_denorm_src 0
		.amdhsa_exception_fp_ieee_div_zero 0
		.amdhsa_exception_fp_ieee_overflow 0
		.amdhsa_exception_fp_ieee_underflow 0
		.amdhsa_exception_fp_ieee_inexact 0
		.amdhsa_exception_int_div_zero 0
	.end_amdhsa_kernel
	.section	.text._ZN9rocsparseL51csrgemm_numeric_fill_block_per_row_multipass_kernelILj512ELj16ELj2048ELj32ElidEEvT4_PKS1_S3_NS_24const_host_device_scalarIT5_EEPKT3_S3_PKS5_S9_S3_SB_S6_S9_S3_SB_S9_S3_PS5_PS7_21rocsparse_index_base_SE_SE_SE_bbb,"axG",@progbits,_ZN9rocsparseL51csrgemm_numeric_fill_block_per_row_multipass_kernelILj512ELj16ELj2048ELj32ElidEEvT4_PKS1_S3_NS_24const_host_device_scalarIT5_EEPKT3_S3_PKS5_S9_S3_SB_S6_S9_S3_SB_S9_S3_PS5_PS7_21rocsparse_index_base_SE_SE_SE_bbb,comdat
.Lfunc_end198:
	.size	_ZN9rocsparseL51csrgemm_numeric_fill_block_per_row_multipass_kernelILj512ELj16ELj2048ELj32ElidEEvT4_PKS1_S3_NS_24const_host_device_scalarIT5_EEPKT3_S3_PKS5_S9_S3_SB_S6_S9_S3_SB_S9_S3_PS5_PS7_21rocsparse_index_base_SE_SE_SE_bbb, .Lfunc_end198-_ZN9rocsparseL51csrgemm_numeric_fill_block_per_row_multipass_kernelILj512ELj16ELj2048ELj32ElidEEvT4_PKS1_S3_NS_24const_host_device_scalarIT5_EEPKT3_S3_PKS5_S9_S3_SB_S6_S9_S3_SB_S9_S3_PS5_PS7_21rocsparse_index_base_SE_SE_SE_bbb
                                        ; -- End function
	.set _ZN9rocsparseL51csrgemm_numeric_fill_block_per_row_multipass_kernelILj512ELj16ELj2048ELj32ElidEEvT4_PKS1_S3_NS_24const_host_device_scalarIT5_EEPKT3_S3_PKS5_S9_S3_SB_S6_S9_S3_SB_S9_S3_PS5_PS7_21rocsparse_index_base_SE_SE_SE_bbb.num_vgpr, 44
	.set _ZN9rocsparseL51csrgemm_numeric_fill_block_per_row_multipass_kernelILj512ELj16ELj2048ELj32ElidEEvT4_PKS1_S3_NS_24const_host_device_scalarIT5_EEPKT3_S3_PKS5_S9_S3_SB_S6_S9_S3_SB_S9_S3_PS5_PS7_21rocsparse_index_base_SE_SE_SE_bbb.num_agpr, 0
	.set _ZN9rocsparseL51csrgemm_numeric_fill_block_per_row_multipass_kernelILj512ELj16ELj2048ELj32ElidEEvT4_PKS1_S3_NS_24const_host_device_scalarIT5_EEPKT3_S3_PKS5_S9_S3_SB_S6_S9_S3_SB_S9_S3_PS5_PS7_21rocsparse_index_base_SE_SE_SE_bbb.numbered_sgpr, 98
	.set _ZN9rocsparseL51csrgemm_numeric_fill_block_per_row_multipass_kernelILj512ELj16ELj2048ELj32ElidEEvT4_PKS1_S3_NS_24const_host_device_scalarIT5_EEPKT3_S3_PKS5_S9_S3_SB_S6_S9_S3_SB_S9_S3_PS5_PS7_21rocsparse_index_base_SE_SE_SE_bbb.num_named_barrier, 0
	.set _ZN9rocsparseL51csrgemm_numeric_fill_block_per_row_multipass_kernelILj512ELj16ELj2048ELj32ElidEEvT4_PKS1_S3_NS_24const_host_device_scalarIT5_EEPKT3_S3_PKS5_S9_S3_SB_S6_S9_S3_SB_S9_S3_PS5_PS7_21rocsparse_index_base_SE_SE_SE_bbb.private_seg_size, 0
	.set _ZN9rocsparseL51csrgemm_numeric_fill_block_per_row_multipass_kernelILj512ELj16ELj2048ELj32ElidEEvT4_PKS1_S3_NS_24const_host_device_scalarIT5_EEPKT3_S3_PKS5_S9_S3_SB_S6_S9_S3_SB_S9_S3_PS5_PS7_21rocsparse_index_base_SE_SE_SE_bbb.uses_vcc, 1
	.set _ZN9rocsparseL51csrgemm_numeric_fill_block_per_row_multipass_kernelILj512ELj16ELj2048ELj32ElidEEvT4_PKS1_S3_NS_24const_host_device_scalarIT5_EEPKT3_S3_PKS5_S9_S3_SB_S6_S9_S3_SB_S9_S3_PS5_PS7_21rocsparse_index_base_SE_SE_SE_bbb.uses_flat_scratch, 0
	.set _ZN9rocsparseL51csrgemm_numeric_fill_block_per_row_multipass_kernelILj512ELj16ELj2048ELj32ElidEEvT4_PKS1_S3_NS_24const_host_device_scalarIT5_EEPKT3_S3_PKS5_S9_S3_SB_S6_S9_S3_SB_S9_S3_PS5_PS7_21rocsparse_index_base_SE_SE_SE_bbb.has_dyn_sized_stack, 0
	.set _ZN9rocsparseL51csrgemm_numeric_fill_block_per_row_multipass_kernelILj512ELj16ELj2048ELj32ElidEEvT4_PKS1_S3_NS_24const_host_device_scalarIT5_EEPKT3_S3_PKS5_S9_S3_SB_S6_S9_S3_SB_S9_S3_PS5_PS7_21rocsparse_index_base_SE_SE_SE_bbb.has_recursion, 0
	.set _ZN9rocsparseL51csrgemm_numeric_fill_block_per_row_multipass_kernelILj512ELj16ELj2048ELj32ElidEEvT4_PKS1_S3_NS_24const_host_device_scalarIT5_EEPKT3_S3_PKS5_S9_S3_SB_S6_S9_S3_SB_S9_S3_PS5_PS7_21rocsparse_index_base_SE_SE_SE_bbb.has_indirect_call, 0
	.section	.AMDGPU.csdata,"",@progbits
; Kernel info:
; codeLenInByte = 2528
; TotalNumSgprs: 104
; NumVgprs: 44
; NumAgprs: 0
; TotalNumVgprs: 44
; ScratchSize: 0
; MemoryBound: 0
; FloatMode: 240
; IeeeMode: 1
; LDSByteSize: 18440 bytes/workgroup (compile time only)
; SGPRBlocks: 12
; VGPRBlocks: 5
; NumSGPRsForWavesPerEU: 104
; NumVGPRsForWavesPerEU: 44
; AccumOffset: 44
; Occupancy: 7
; WaveLimiterHint : 1
; COMPUTE_PGM_RSRC2:SCRATCH_EN: 0
; COMPUTE_PGM_RSRC2:USER_SGPR: 2
; COMPUTE_PGM_RSRC2:TRAP_HANDLER: 0
; COMPUTE_PGM_RSRC2:TGID_X_EN: 1
; COMPUTE_PGM_RSRC2:TGID_Y_EN: 0
; COMPUTE_PGM_RSRC2:TGID_Z_EN: 0
; COMPUTE_PGM_RSRC2:TIDIG_COMP_CNT: 0
; COMPUTE_PGM_RSRC3_GFX90A:ACCUM_OFFSET: 10
; COMPUTE_PGM_RSRC3_GFX90A:TG_SPLIT: 0
	.section	.text._ZN9rocsparseL51csrgemm_numeric_fill_block_per_row_multipass_kernelILj512ELj16ELj2048ELj64ElidEEvT4_PKS1_S3_NS_24const_host_device_scalarIT5_EEPKT3_S3_PKS5_S9_S3_SB_S6_S9_S3_SB_S9_S3_PS5_PS7_21rocsparse_index_base_SE_SE_SE_bbb,"axG",@progbits,_ZN9rocsparseL51csrgemm_numeric_fill_block_per_row_multipass_kernelILj512ELj16ELj2048ELj64ElidEEvT4_PKS1_S3_NS_24const_host_device_scalarIT5_EEPKT3_S3_PKS5_S9_S3_SB_S6_S9_S3_SB_S9_S3_PS5_PS7_21rocsparse_index_base_SE_SE_SE_bbb,comdat
	.globl	_ZN9rocsparseL51csrgemm_numeric_fill_block_per_row_multipass_kernelILj512ELj16ELj2048ELj64ElidEEvT4_PKS1_S3_NS_24const_host_device_scalarIT5_EEPKT3_S3_PKS5_S9_S3_SB_S6_S9_S3_SB_S9_S3_PS5_PS7_21rocsparse_index_base_SE_SE_SE_bbb ; -- Begin function _ZN9rocsparseL51csrgemm_numeric_fill_block_per_row_multipass_kernelILj512ELj16ELj2048ELj64ElidEEvT4_PKS1_S3_NS_24const_host_device_scalarIT5_EEPKT3_S3_PKS5_S9_S3_SB_S6_S9_S3_SB_S9_S3_PS5_PS7_21rocsparse_index_base_SE_SE_SE_bbb
	.p2align	8
	.type	_ZN9rocsparseL51csrgemm_numeric_fill_block_per_row_multipass_kernelILj512ELj16ELj2048ELj64ElidEEvT4_PKS1_S3_NS_24const_host_device_scalarIT5_EEPKT3_S3_PKS5_S9_S3_SB_S6_S9_S3_SB_S9_S3_PS5_PS7_21rocsparse_index_base_SE_SE_SE_bbb,@function
_ZN9rocsparseL51csrgemm_numeric_fill_block_per_row_multipass_kernelILj512ELj16ELj2048ELj64ElidEEvT4_PKS1_S3_NS_24const_host_device_scalarIT5_EEPKT3_S3_PKS5_S9_S3_SB_S6_S9_S3_SB_S9_S3_PS5_PS7_21rocsparse_index_base_SE_SE_SE_bbb: ; @_ZN9rocsparseL51csrgemm_numeric_fill_block_per_row_multipass_kernelILj512ELj16ELj2048ELj64ElidEEvT4_PKS1_S3_NS_24const_host_device_scalarIT5_EEPKT3_S3_PKS5_S9_S3_SB_S6_S9_S3_SB_S9_S3_PS5_PS7_21rocsparse_index_base_SE_SE_SE_bbb
; %bb.0:
	s_load_dword s3, s[0:1], 0xa0
	s_load_dwordx4 s[4:7], s[0:1], 0x8
	s_load_dwordx2 s[10:11], s[0:1], 0x18
	s_load_dwordx4 s[44:47], s[0:1], 0x90
	s_load_dwordx2 s[12:13], s[0:1], 0x50
	s_waitcnt lgkmcnt(0)
	s_bitcmp1_b32 s3, 0
	s_cselect_b64 s[8:9], -1, 0
	s_bitcmp1_b32 s3, 16
	s_cselect_b64 s[14:15], -1, 0
	s_xor_b64 s[16:17], s[8:9], -1
	s_or_b64 s[16:17], s[14:15], s[16:17]
	s_and_b64 s[18:19], s[8:9], exec
	s_cselect_b32 s19, s11, 0
	s_cselect_b32 s18, s10, 0
	s_and_b64 vcc, exec, s[16:17]
	v_mov_b64_e32 v[2:3], s[18:19]
	s_cbranch_vccnz .LBB199_2
; %bb.1:
	v_mov_b64_e32 v[2:3], s[10:11]
	flat_load_dwordx2 v[2:3], v[2:3]
.LBB199_2:
	s_bitcmp1_b32 s3, 8
	s_cselect_b64 s[34:35], -1, 0
	s_load_dwordx2 s[10:11], s[0:1], 0x20
	s_xor_b64 s[16:17], s[34:35], -1
	s_or_b64 s[14:15], s[14:15], s[16:17]
	s_and_b64 s[16:17], s[34:35], exec
	s_cselect_b32 s17, s13, 0
	s_cselect_b32 s16, s12, 0
	s_and_b64 vcc, exec, s[14:15]
	v_mov_b64_e32 v[4:5], s[16:17]
	s_cbranch_vccnz .LBB199_4
; %bb.3:
	v_mov_b64_e32 v[4:5], s[12:13]
	flat_load_dwordx2 v[4:5], v[4:5]
.LBB199_4:
	s_load_dword s4, s[4:5], 0x0
	s_mov_b32 s3, 0
	v_cndmask_b32_e64 v1, 0, 1, s[8:9]
	s_mov_b64 s[52:53], 0
	s_waitcnt lgkmcnt(0)
	s_add_i32 s2, s4, s2
	s_lshl_b64 s[2:3], s[2:3], 2
	s_add_u32 s2, s6, s2
	s_addc_u32 s3, s7, s3
	s_load_dword s6, s[2:3], 0x0
	v_cmp_ne_u32_e64 s[2:3], 1, v1
	s_andn2_b64 vcc, exec, s[8:9]
	s_mov_b64 s[4:5], 0
	s_cbranch_vccz .LBB199_7
; %bb.5:
	s_and_b64 vcc, exec, s[2:3]
	s_cbranch_vccz .LBB199_8
.LBB199_6:
	s_load_dword s33, s[0:1], 0x0
	s_waitcnt lgkmcnt(0)
	s_cmp_lt_i32 s33, 1
	s_cbranch_scc0 .LBB199_9
	s_branch .LBB199_62
.LBB199_7:
	s_waitcnt lgkmcnt(0)
	s_ashr_i32 s7, s6, 31
	s_lshl_b64 s[4:5], s[6:7], 3
	s_add_u32 s4, s10, s4
	s_addc_u32 s5, s11, s5
	s_load_dwordx2 s[4:5], s[4:5], 0x0
	s_waitcnt lgkmcnt(0)
	s_sub_u32 s4, s4, s44
	s_subb_u32 s5, s5, 0
	s_and_b64 vcc, exec, s[2:3]
	s_cbranch_vccnz .LBB199_6
.LBB199_8:
	s_waitcnt lgkmcnt(0)
	s_ashr_i32 s7, s6, 31
	s_lshl_b64 s[2:3], s[6:7], 3
	s_add_u32 s2, s10, s2
	s_addc_u32 s3, s11, s3
	s_load_dwordx2 s[2:3], s[2:3], 0x8
	s_waitcnt lgkmcnt(0)
	s_sub_u32 s52, s2, s44
	s_subb_u32 s53, s3, 0
	s_load_dword s33, s[0:1], 0x0
	s_waitcnt lgkmcnt(0)
	s_cmp_lt_i32 s33, 1
	s_cbranch_scc1 .LBB199_62
.LBB199_9:
	s_load_dwordx8 s[24:31], s[0:1], 0x58
	s_load_dwordx4 s[48:51], s[0:1], 0x80
	s_load_dwordx2 s[54:55], s[0:1], 0x48
	s_ashr_i32 s7, s6, 31
	s_lshl_b64 s[6:7], s[6:7], 3
	s_waitcnt lgkmcnt(0)
	s_add_u32 s2, s30, s6
	s_addc_u32 s3, s31, s7
	s_load_dwordx2 s[10:11], s[2:3], 0x0
	s_load_dwordx8 s[36:43], s[0:1], 0x28
	v_mov_b32_e32 v7, 0
	v_lshrrev_b32_e32 v14, 4, v0
	v_mov_b32_e32 v15, v7
	s_waitcnt lgkmcnt(0)
	s_sub_u32 s20, s10, s46
	s_subb_u32 s21, s11, 0
	v_lshl_add_u64 v[8:9], s[4:5], 0, v[14:15]
	v_subrev_co_u32_e64 v10, s[4:5], s47, v0
	v_mbcnt_lo_u32_b32 v1, -1, 0
	v_cmp_gt_i64_e32 vcc, s[52:53], v[8:9]
	s_add_u32 s24, s24, s6
	v_subb_co_u32_e64 v11, s[4:5], 0, 0, s[4:5]
	v_mbcnt_hi_u32_b32 v1, -1, v1
	v_and_b32_e32 v6, 15, v0
	s_addc_u32 s25, s25, s7
	v_sub_u32_e32 v1, 63, v1
	s_movk_i32 s4, 0x1ff
	s_and_b64 s[30:31], s[8:9], vcc
	s_movk_i32 s8, 0x80
	s_movk_i32 s10, 0xc0
	;; [unrolled: 1-line block ×6, first 2 shown]
	v_cmp_eq_u32_e64 s[0:1], 0, v0
	s_mov_b32 s46, s45
	v_cmp_eq_u32_e64 s[2:3], 15, v6
	s_mov_b32 s80, s47
	v_lshrrev_b64 v[12:13], v1, -1
	v_and_b32_e32 v32, 28, v14
	v_cmp_eq_u32_e64 s[4:5], s4, v0
	v_cmp_gt_u32_e64 s[6:7], 64, v0
	v_cmp_gt_u32_e64 s[8:9], s8, v0
	;; [unrolled: 1-line block ×7, first 2 shown]
	v_or_b32_e32 v33, 0xfffffe00, v0
	v_lshlrev_b32_e32 v34, 3, v0
	v_mov_b32_e32 v36, 0x800
	v_mov_b64_e32 v[0:1], s[20:21]
	v_mov_b32_e32 v40, v7
	v_mov_b32_e32 v41, v7
	s_movk_i32 s81, 0x5ff
	v_mov_b32_e32 v42, s33
	v_mov_b32_e32 v35, 1
	s_mov_b64 s[56:57], 0x80
	s_mov_b64 s[58:59], 0x200
	;; [unrolled: 1-line block ×4, first 2 shown]
	v_mov_b32_e32 v37, v7
	s_branch .LBB199_11
.LBB199_10:                             ;   in Loop: Header=BB199_11 Depth=1
	s_or_b64 exec, exec, s[20:21]
	ds_read_b32 v37, v7 offset:18432
	s_waitcnt lgkmcnt(0)
	s_barrier
	v_cmp_le_i32_e32 vcc, s33, v37
	v_add_u32_e32 v36, 0x800, v37
	s_cbranch_vccnz .LBB199_62
.LBB199_11:                             ; =>This Loop Header: Depth=1
                                        ;     Child Loop BB199_12 Depth 2
                                        ;     Child Loop BB199_18 Depth 2
                                        ;       Child Loop BB199_24 Depth 3
                                        ;     Child Loop BB199_41 Depth 2
                                        ;     Child Loop BB199_53 Depth 2
	;; [unrolled: 1-line block ×3, first 2 shown]
	s_mov_b64 s[20:21], 0
	v_mov_b32_e32 v14, v34
	v_mov_b32_e32 v15, v33
.LBB199_12:                             ;   Parent Loop BB199_11 Depth=1
                                        ; =>  This Inner Loop Header: Depth=2
	ds_write_b8 v15, v7 offset:16896
	ds_write_b64 v14, v[40:41]
	v_add_u32_e32 v15, 0x200, v15
	v_cmp_lt_u32_e32 vcc, s81, v15
	s_or_b64 s[20:21], vcc, s[20:21]
	v_add_u32_e32 v14, 0x1000, v14
	s_andn2_b64 exec, exec, s[20:21]
	s_cbranch_execnz .LBB199_12
; %bb.13:                               ;   in Loop: Header=BB199_11 Depth=1
	s_or_b64 exec, exec, s[20:21]
	s_and_saveexec_b64 s[20:21], s[0:1]
; %bb.14:                               ;   in Loop: Header=BB199_11 Depth=1
	ds_write_b32 v7, v42 offset:18432
; %bb.15:                               ;   in Loop: Header=BB199_11 Depth=1
	s_or_b64 exec, exec, s[20:21]
	v_mov_b32_e32 v38, s33
	s_waitcnt lgkmcnt(0)
	s_barrier
	s_and_saveexec_b64 s[64:65], s[30:31]
	s_cbranch_execz .LBB199_37
; %bb.16:                               ;   in Loop: Header=BB199_11 Depth=1
	s_mov_b64 s[66:67], 0
	v_cmp_ne_u32_e64 s[20:21], 0, v37
	v_mov_b32_e32 v38, s33
	v_mov_b64_e32 v[14:15], v[8:9]
	s_branch .LBB199_18
.LBB199_17:                             ;   in Loop: Header=BB199_18 Depth=2
	s_or_b64 exec, exec, s[22:23]
	v_lshl_add_u64 v[14:15], v[14:15], 0, 32
	v_cmp_le_i64_e32 vcc, s[52:53], v[14:15]
	s_or_b64 s[66:67], vcc, s[66:67]
	s_andn2_b64 exec, exec, s[66:67]
	s_cbranch_execz .LBB199_36
.LBB199_18:                             ;   Parent Loop BB199_11 Depth=1
                                        ; =>  This Loop Header: Depth=2
                                        ;       Child Loop BB199_24 Depth 3
	v_lshl_add_u64 v[16:17], v[14:15], 2, s[36:37]
	global_load_dword v18, v[16:17], off
	v_lshl_add_u64 v[16:17], v[14:15], 3, s[38:39]
	global_load_dwordx2 v[22:23], v[16:17], off
	s_and_b64 vcc, exec, s[20:21]
	v_lshl_add_u64 v[16:17], v[14:15], 3, s[50:51]
	s_waitcnt vmcnt(0)
	v_subrev_u32_e32 v18, s44, v18
	v_ashrrev_i32_e32 v19, 31, v18
	s_cbranch_vccz .LBB199_35
; %bb.19:                               ;   in Loop: Header=BB199_18 Depth=2
	global_load_dwordx2 v[24:25], v[16:17], off
	s_cbranch_execnz .LBB199_21
.LBB199_20:                             ;   in Loop: Header=BB199_18 Depth=2
	v_lshl_add_u64 v[20:21], v[18:19], 3, s[40:41]
	global_load_dwordx2 v[20:21], v[20:21], off
	s_waitcnt vmcnt(0)
	v_subrev_co_u32_e32 v24, vcc, s46, v20
	s_nop 1
	v_subbrev_co_u32_e32 v25, vcc, 0, v21, vcc
.LBB199_21:                             ;   in Loop: Header=BB199_18 Depth=2
	v_lshl_add_u64 v[18:19], v[18:19], 3, s[40:41]
	global_load_dwordx2 v[18:19], v[18:19], off offset:8
	s_waitcnt vmcnt(0)
	v_subrev_co_u32_e32 v20, vcc, s46, v18
	s_nop 1
	v_subbrev_co_u32_e32 v21, vcc, 0, v19, vcc
	v_lshl_add_u64 v[18:19], v[24:25], 0, v[6:7]
	v_cmp_lt_i64_e32 vcc, v[18:19], v[20:21]
	s_and_saveexec_b64 s[68:69], vcc
	s_cbranch_execz .LBB199_33
; %bb.22:                               ;   in Loop: Header=BB199_18 Depth=2
	v_mul_f64 v[22:23], v[2:3], v[22:23]
	v_lshl_add_u64 v[24:25], v[18:19], 2, s[42:43]
	v_lshl_add_u64 v[26:27], v[18:19], 3, s[54:55]
	s_mov_b64 s[72:73], 0
	v_mov_b64_e32 v[30:31], v[18:19]
                                        ; implicit-def: $sgpr70_sgpr71
                                        ; implicit-def: $sgpr74_sgpr75
	s_branch .LBB199_24
.LBB199_23:                             ;   in Loop: Header=BB199_24 Depth=3
	s_or_b64 exec, exec, s[78:79]
	s_and_b64 s[22:23], exec, s[76:77]
	s_or_b64 s[72:73], s[22:23], s[72:73]
	s_andn2_b64 s[22:23], s[70:71], exec
	s_and_b64 s[70:71], s[74:75], exec
	s_or_b64 s[70:71], s[22:23], s[70:71]
	s_andn2_b64 exec, exec, s[72:73]
	s_cbranch_execz .LBB199_30
.LBB199_24:                             ;   Parent Loop BB199_11 Depth=1
                                        ;     Parent Loop BB199_18 Depth=2
                                        ; =>    This Inner Loop Header: Depth=3
	global_load_dword v39, v[24:25], off
	v_mov_b64_e32 v[28:29], v[30:31]
	s_waitcnt vmcnt(0)
	v_subrev_u32_e32 v39, s45, v39
	v_cmp_lt_i32_e32 vcc, v39, v37
	v_cmp_ge_i32_e64 s[22:23], v39, v36
	s_or_b64 s[76:77], vcc, s[22:23]
	s_mov_b64 s[22:23], 0
	s_and_saveexec_b64 s[78:79], s[76:77]
	s_xor_b64 s[76:77], exec, s[78:79]
; %bb.25:                               ;   in Loop: Header=BB199_24 Depth=3
	v_cmp_lt_i32_e32 vcc, v39, v36
	s_and_b64 s[22:23], vcc, exec
; %bb.26:                               ;   in Loop: Header=BB199_24 Depth=3
	s_andn2_saveexec_b64 s[76:77], s[76:77]
	s_cbranch_execz .LBB199_28
; %bb.27:                               ;   in Loop: Header=BB199_24 Depth=3
	global_load_dwordx2 v[30:31], v[26:27], off
	v_sub_u32_e32 v43, v39, v37
	ds_write_b8 v43, v35 offset:16384
	v_lshlrev_b32_e32 v43, 3, v43
	s_or_b64 s[22:23], s[22:23], exec
	s_waitcnt vmcnt(0)
	v_mul_f64 v[30:31], v[22:23], v[30:31]
	ds_add_f64 v43, v[30:31]
.LBB199_28:                             ;   in Loop: Header=BB199_24 Depth=3
	s_or_b64 exec, exec, s[76:77]
	s_mov_b64 s[76:77], -1
	s_or_b64 s[74:75], s[74:75], exec
                                        ; implicit-def: $vgpr30_vgpr31
	s_and_saveexec_b64 s[78:79], s[22:23]
	s_cbranch_execz .LBB199_23
; %bb.29:                               ;   in Loop: Header=BB199_24 Depth=3
	v_lshl_add_u64 v[30:31], v[28:29], 0, 16
	v_cmp_ge_i64_e32 vcc, v[30:31], v[20:21]
	v_lshl_add_u64 v[24:25], v[24:25], 0, 64
	v_lshl_add_u64 v[26:27], v[26:27], 0, s[56:57]
	s_andn2_b64 s[74:75], s[74:75], exec
	s_orn2_b64 s[76:77], vcc, exec
	s_branch .LBB199_23
.LBB199_30:                             ;   in Loop: Header=BB199_18 Depth=2
	s_or_b64 exec, exec, s[72:73]
	s_and_saveexec_b64 s[22:23], s[70:71]
	s_xor_b64 s[22:23], exec, s[22:23]
; %bb.31:                               ;   in Loop: Header=BB199_18 Depth=2
	v_min_i32_e32 v38, v39, v38
	v_mov_b64_e32 v[18:19], v[28:29]
; %bb.32:                               ;   in Loop: Header=BB199_18 Depth=2
	s_or_b64 exec, exec, s[22:23]
.LBB199_33:                             ;   in Loop: Header=BB199_18 Depth=2
	s_or_b64 exec, exec, s[68:69]
	v_mov_b32_dpp v20, v18 row_shr:1 row_mask:0xf bank_mask:0xf
	v_mov_b32_dpp v21, v19 row_shr:1 row_mask:0xf bank_mask:0xf
	v_cmp_lt_i64_e32 vcc, v[20:21], v[18:19]
	s_nop 1
	v_cndmask_b32_e32 v19, v19, v21, vcc
	v_cndmask_b32_e32 v18, v18, v20, vcc
	s_nop 0
	v_mov_b32_dpp v21, v19 row_shr:2 row_mask:0xf bank_mask:0xf
	v_mov_b32_dpp v20, v18 row_shr:2 row_mask:0xf bank_mask:0xf
	v_cmp_lt_i64_e32 vcc, v[20:21], v[18:19]
	s_nop 1
	v_cndmask_b32_e32 v19, v19, v21, vcc
	v_cndmask_b32_e32 v18, v18, v20, vcc
	s_nop 0
	;; [unrolled: 7-line block ×3, first 2 shown]
	v_mov_b32_dpp v22, v19 row_shr:8 row_mask:0xf bank_mask:0xc
	v_mov_b32_dpp v20, v18 row_shr:8 row_mask:0xf bank_mask:0xc
	s_and_saveexec_b64 s[22:23], s[2:3]
	s_cbranch_execz .LBB199_17
; %bb.34:                               ;   in Loop: Header=BB199_18 Depth=2
	v_mov_b32_e32 v21, v22
	v_cmp_lt_i64_e32 vcc, v[20:21], v[18:19]
	s_nop 1
	v_cndmask_b32_e32 v19, v19, v22, vcc
	v_cndmask_b32_e32 v18, v18, v20, vcc
	global_store_dwordx2 v[16:17], v[18:19], off
	s_branch .LBB199_17
.LBB199_35:                             ;   in Loop: Header=BB199_18 Depth=2
                                        ; implicit-def: $vgpr24_vgpr25
	s_branch .LBB199_20
.LBB199_36:                             ;   in Loop: Header=BB199_11 Depth=1
	s_or_b64 exec, exec, s[66:67]
.LBB199_37:                             ;   in Loop: Header=BB199_11 Depth=1
	s_or_b64 exec, exec, s[64:65]
	s_andn2_b64 vcc, exec, s[34:35]
	s_cbranch_vccnz .LBB199_51
; %bb.38:                               ;   in Loop: Header=BB199_11 Depth=1
	s_load_dwordx4 s[20:23], s[24:25], 0x0
	s_waitcnt lgkmcnt(0)
	s_sub_u32 s64, s22, s80
	s_subb_u32 s65, s23, 0
	v_lshl_add_u64 v[14:15], s[20:21], 0, v[10:11]
	v_cmp_gt_i64_e32 vcc, s[64:65], v[14:15]
	s_and_saveexec_b64 s[22:23], vcc
	s_cbranch_execz .LBB199_50
; %bb.39:                               ;   in Loop: Header=BB199_11 Depth=1
	v_lshl_add_u64 v[16:17], v[14:15], 2, s[26:27]
	v_lshl_add_u64 v[18:19], v[14:15], 3, s[28:29]
	s_mov_b64 s[66:67], 0
                                        ; implicit-def: $sgpr68_sgpr69
                                        ; implicit-def: $sgpr70_sgpr71
	s_branch .LBB199_41
.LBB199_40:                             ;   in Loop: Header=BB199_41 Depth=2
	s_or_b64 exec, exec, s[74:75]
	s_and_b64 s[20:21], exec, s[72:73]
	s_or_b64 s[66:67], s[20:21], s[66:67]
	s_andn2_b64 s[20:21], s[68:69], exec
	s_and_b64 s[68:69], s[70:71], exec
	s_or_b64 s[68:69], s[20:21], s[68:69]
	s_andn2_b64 exec, exec, s[66:67]
	s_cbranch_execz .LBB199_47
.LBB199_41:                             ;   Parent Loop BB199_11 Depth=1
                                        ; =>  This Inner Loop Header: Depth=2
	global_load_dword v20, v[16:17], off
	s_waitcnt vmcnt(0)
	v_subrev_u32_e32 v20, s47, v20
	v_cmp_lt_i32_e32 vcc, v20, v37
	v_cmp_ge_i32_e64 s[20:21], v20, v36
	s_or_b64 s[72:73], vcc, s[20:21]
	s_mov_b64 s[20:21], 0
	s_and_saveexec_b64 s[74:75], s[72:73]
	s_xor_b64 s[72:73], exec, s[74:75]
; %bb.42:                               ;   in Loop: Header=BB199_41 Depth=2
	v_cmp_lt_i32_e32 vcc, v20, v36
	s_and_b64 s[20:21], vcc, exec
; %bb.43:                               ;   in Loop: Header=BB199_41 Depth=2
	s_andn2_saveexec_b64 s[72:73], s[72:73]
	s_cbranch_execz .LBB199_45
; %bb.44:                               ;   in Loop: Header=BB199_41 Depth=2
	global_load_dwordx2 v[22:23], v[18:19], off
	v_sub_u32_e32 v21, v20, v37
	ds_write_b8 v21, v35 offset:16384
	v_lshlrev_b32_e32 v21, 3, v21
	s_or_b64 s[20:21], s[20:21], exec
	s_waitcnt vmcnt(0)
	v_mul_f64 v[22:23], v[4:5], v[22:23]
	ds_add_f64 v21, v[22:23]
.LBB199_45:                             ;   in Loop: Header=BB199_41 Depth=2
	s_or_b64 exec, exec, s[72:73]
	s_mov_b64 s[72:73], -1
	s_or_b64 s[70:71], s[70:71], exec
	s_and_saveexec_b64 s[74:75], s[20:21]
	s_cbranch_execz .LBB199_40
; %bb.46:                               ;   in Loop: Header=BB199_41 Depth=2
	v_lshl_add_u64 v[14:15], v[14:15], 0, s[58:59]
	v_cmp_le_i64_e32 vcc, s[64:65], v[14:15]
	v_lshl_add_u64 v[16:17], v[16:17], 0, s[60:61]
	v_lshl_add_u64 v[18:19], v[18:19], 0, s[62:63]
	s_andn2_b64 s[70:71], s[70:71], exec
	s_orn2_b64 s[72:73], vcc, exec
	s_branch .LBB199_40
.LBB199_47:                             ;   in Loop: Header=BB199_11 Depth=1
	s_or_b64 exec, exec, s[66:67]
	s_and_saveexec_b64 s[20:21], s[68:69]
	s_xor_b64 s[20:21], exec, s[20:21]
; %bb.48:                               ;   in Loop: Header=BB199_11 Depth=1
	v_min_i32_e32 v38, v20, v38
; %bb.49:                               ;   in Loop: Header=BB199_11 Depth=1
	s_or_b64 exec, exec, s[20:21]
.LBB199_50:                             ;   in Loop: Header=BB199_11 Depth=1
	s_or_b64 exec, exec, s[22:23]
.LBB199_51:                             ;   in Loop: Header=BB199_11 Depth=1
	v_mov_b32_dpp v14, v38 row_shr:1 row_mask:0xf bank_mask:0xf
	v_min_i32_e32 v14, v14, v38
	s_nop 1
	v_mov_b32_dpp v15, v14 row_shr:2 row_mask:0xf bank_mask:0xf
	v_min_i32_e32 v14, v15, v14
	s_nop 1
	;; [unrolled: 3-line block ×3, first 2 shown]
	v_mov_b32_dpp v15, v14 row_shr:8 row_mask:0xf bank_mask:0xc
	s_and_saveexec_b64 s[20:21], s[2:3]
	s_cbranch_execz .LBB199_56
; %bb.52:                               ;   in Loop: Header=BB199_11 Depth=1
	s_mov_b64 s[22:23], exec
	v_min_i32_e32 v14, v15, v14
	s_brev_b32 s64, -2
.LBB199_53:                             ;   Parent Loop BB199_11 Depth=1
                                        ; =>  This Inner Loop Header: Depth=2
	s_ff1_i32_b64 s65, s[22:23]
	v_readlane_b32 s68, v14, s65
	s_lshl_b64 s[66:67], 1, s65
	s_min_i32 s64, s64, s68
	s_andn2_b64 s[22:23], s[22:23], s[66:67]
	s_cmp_lg_u64 s[22:23], 0
	s_cbranch_scc1 .LBB199_53
; %bb.54:                               ;   in Loop: Header=BB199_11 Depth=1
	v_mbcnt_lo_u32_b32 v14, exec_lo, 0
	v_mbcnt_hi_u32_b32 v14, exec_hi, v14
	v_cmp_eq_u32_e32 vcc, 0, v14
	s_and_saveexec_b64 s[22:23], vcc
	s_xor_b64 s[22:23], exec, s[22:23]
; %bb.55:                               ;   in Loop: Header=BB199_11 Depth=1
	v_mov_b32_e32 v14, s64
	ds_min_i32 v7, v14 offset:18432
.LBB199_56:                             ;   in Loop: Header=BB199_11 Depth=1
	s_or_b64 exec, exec, s[20:21]
	s_mov_b64 s[20:21], 0
	v_mov_b32_e32 v18, v34
	v_mov_b32_e32 v19, v33
	s_waitcnt lgkmcnt(0)
	s_barrier
	s_branch .LBB199_58
.LBB199_57:                             ;   in Loop: Header=BB199_58 Depth=2
	s_or_b64 exec, exec, s[22:23]
	s_waitcnt lgkmcnt(0)
	s_barrier
	ds_read_b32 v14, v7 offset:28
	v_add_u32_e32 v19, 0x200, v19
	v_cmp_lt_u32_e32 vcc, s81, v19
	s_or_b64 s[20:21], vcc, s[20:21]
	v_add_u32_e32 v18, 0x1000, v18
	s_waitcnt lgkmcnt(0)
	v_ashrrev_i32_e32 v15, 31, v14
	v_lshl_add_u64 v[0:1], v[0:1], 0, v[14:15]
	s_andn2_b64 exec, exec, s[20:21]
	s_cbranch_execz .LBB199_10
.LBB199_58:                             ;   Parent Loop BB199_11 Depth=1
                                        ; =>  This Inner Loop Header: Depth=2
	ds_read_u8 v17, v19 offset:16896
	ds_read_b64 v[14:15], v18
	s_waitcnt lgkmcnt(0)
	s_barrier
	v_cmp_ne_u16_e32 vcc, 0, v17
	s_bcnt1_i32_b64 s22, vcc
	v_mov_b32_e32 v20, s22
	ds_write_b32 v32, v20
	s_waitcnt lgkmcnt(0)
	s_barrier
	ds_read_b128 v[20:23], v7
	v_and_b32_e32 v24, vcc_lo, v12
	v_and_b32_e32 v16, vcc_hi, v13
	v_bcnt_u32_b32 v24, v24, 0
	v_bcnt_u32_b32 v16, v16, v24
	ds_read_b96 v[24:26], v7 offset:16
	s_waitcnt lgkmcnt(0)
	v_cndmask_b32_e64 v20, v20, 0, s[6:7]
	v_add_u32_e32 v16, v20, v16
	v_cndmask_b32_e64 v20, v21, 0, s[8:9]
	v_cndmask_b32_e64 v21, v22, 0, s[10:11]
	v_add3_u32 v16, v16, v20, v21
	v_cndmask_b32_e64 v20, v23, 0, s[12:13]
	v_cndmask_b32_e64 v21, v24, 0, s[14:15]
	v_add3_u32 v16, v16, v20, v21
	v_cndmask_b32_e64 v20, v25, 0, s[16:17]
	v_cndmask_b32_e64 v21, v26, 0, s[18:19]
	v_and_b32_e32 v17, 1, v17
	v_add3_u32 v16, v16, v20, v21
	v_cmp_eq_u32_e32 vcc, 1, v17
	s_and_saveexec_b64 s[22:23], vcc
	s_cbranch_execz .LBB199_60
; %bb.59:                               ;   in Loop: Header=BB199_58 Depth=2
	v_lshl_add_u64 v[20:21], v[0:1], 3, s[48:49]
	v_ashrrev_i32_e32 v17, 31, v16
	v_lshl_add_u64 v[20:21], v[16:17], 3, v[20:21]
	global_store_dwordx2 v[20:21], v[14:15], off offset:-8
.LBB199_60:                             ;   in Loop: Header=BB199_58 Depth=2
	s_or_b64 exec, exec, s[22:23]
	s_and_saveexec_b64 s[22:23], s[4:5]
	s_cbranch_execz .LBB199_57
; %bb.61:                               ;   in Loop: Header=BB199_58 Depth=2
	ds_write_b32 v7, v16 offset:28
	s_branch .LBB199_57
.LBB199_62:
	s_endpgm
	.section	.rodata,"a",@progbits
	.p2align	6, 0x0
	.amdhsa_kernel _ZN9rocsparseL51csrgemm_numeric_fill_block_per_row_multipass_kernelILj512ELj16ELj2048ELj64ElidEEvT4_PKS1_S3_NS_24const_host_device_scalarIT5_EEPKT3_S3_PKS5_S9_S3_SB_S6_S9_S3_SB_S9_S3_PS5_PS7_21rocsparse_index_base_SE_SE_SE_bbb
		.amdhsa_group_segment_fixed_size 18440
		.amdhsa_private_segment_fixed_size 0
		.amdhsa_kernarg_size 164
		.amdhsa_user_sgpr_count 2
		.amdhsa_user_sgpr_dispatch_ptr 0
		.amdhsa_user_sgpr_queue_ptr 0
		.amdhsa_user_sgpr_kernarg_segment_ptr 1
		.amdhsa_user_sgpr_dispatch_id 0
		.amdhsa_user_sgpr_kernarg_preload_length 0
		.amdhsa_user_sgpr_kernarg_preload_offset 0
		.amdhsa_user_sgpr_private_segment_size 0
		.amdhsa_uses_dynamic_stack 0
		.amdhsa_enable_private_segment 0
		.amdhsa_system_sgpr_workgroup_id_x 1
		.amdhsa_system_sgpr_workgroup_id_y 0
		.amdhsa_system_sgpr_workgroup_id_z 0
		.amdhsa_system_sgpr_workgroup_info 0
		.amdhsa_system_vgpr_workitem_id 0
		.amdhsa_next_free_vgpr 44
		.amdhsa_next_free_sgpr 82
		.amdhsa_accum_offset 44
		.amdhsa_reserve_vcc 1
		.amdhsa_float_round_mode_32 0
		.amdhsa_float_round_mode_16_64 0
		.amdhsa_float_denorm_mode_32 3
		.amdhsa_float_denorm_mode_16_64 3
		.amdhsa_dx10_clamp 1
		.amdhsa_ieee_mode 1
		.amdhsa_fp16_overflow 0
		.amdhsa_tg_split 0
		.amdhsa_exception_fp_ieee_invalid_op 0
		.amdhsa_exception_fp_denorm_src 0
		.amdhsa_exception_fp_ieee_div_zero 0
		.amdhsa_exception_fp_ieee_overflow 0
		.amdhsa_exception_fp_ieee_underflow 0
		.amdhsa_exception_fp_ieee_inexact 0
		.amdhsa_exception_int_div_zero 0
	.end_amdhsa_kernel
	.section	.text._ZN9rocsparseL51csrgemm_numeric_fill_block_per_row_multipass_kernelILj512ELj16ELj2048ELj64ElidEEvT4_PKS1_S3_NS_24const_host_device_scalarIT5_EEPKT3_S3_PKS5_S9_S3_SB_S6_S9_S3_SB_S9_S3_PS5_PS7_21rocsparse_index_base_SE_SE_SE_bbb,"axG",@progbits,_ZN9rocsparseL51csrgemm_numeric_fill_block_per_row_multipass_kernelILj512ELj16ELj2048ELj64ElidEEvT4_PKS1_S3_NS_24const_host_device_scalarIT5_EEPKT3_S3_PKS5_S9_S3_SB_S6_S9_S3_SB_S9_S3_PS5_PS7_21rocsparse_index_base_SE_SE_SE_bbb,comdat
.Lfunc_end199:
	.size	_ZN9rocsparseL51csrgemm_numeric_fill_block_per_row_multipass_kernelILj512ELj16ELj2048ELj64ElidEEvT4_PKS1_S3_NS_24const_host_device_scalarIT5_EEPKT3_S3_PKS5_S9_S3_SB_S6_S9_S3_SB_S9_S3_PS5_PS7_21rocsparse_index_base_SE_SE_SE_bbb, .Lfunc_end199-_ZN9rocsparseL51csrgemm_numeric_fill_block_per_row_multipass_kernelILj512ELj16ELj2048ELj64ElidEEvT4_PKS1_S3_NS_24const_host_device_scalarIT5_EEPKT3_S3_PKS5_S9_S3_SB_S6_S9_S3_SB_S9_S3_PS5_PS7_21rocsparse_index_base_SE_SE_SE_bbb
                                        ; -- End function
	.set _ZN9rocsparseL51csrgemm_numeric_fill_block_per_row_multipass_kernelILj512ELj16ELj2048ELj64ElidEEvT4_PKS1_S3_NS_24const_host_device_scalarIT5_EEPKT3_S3_PKS5_S9_S3_SB_S6_S9_S3_SB_S9_S3_PS5_PS7_21rocsparse_index_base_SE_SE_SE_bbb.num_vgpr, 44
	.set _ZN9rocsparseL51csrgemm_numeric_fill_block_per_row_multipass_kernelILj512ELj16ELj2048ELj64ElidEEvT4_PKS1_S3_NS_24const_host_device_scalarIT5_EEPKT3_S3_PKS5_S9_S3_SB_S6_S9_S3_SB_S9_S3_PS5_PS7_21rocsparse_index_base_SE_SE_SE_bbb.num_agpr, 0
	.set _ZN9rocsparseL51csrgemm_numeric_fill_block_per_row_multipass_kernelILj512ELj16ELj2048ELj64ElidEEvT4_PKS1_S3_NS_24const_host_device_scalarIT5_EEPKT3_S3_PKS5_S9_S3_SB_S6_S9_S3_SB_S9_S3_PS5_PS7_21rocsparse_index_base_SE_SE_SE_bbb.numbered_sgpr, 82
	.set _ZN9rocsparseL51csrgemm_numeric_fill_block_per_row_multipass_kernelILj512ELj16ELj2048ELj64ElidEEvT4_PKS1_S3_NS_24const_host_device_scalarIT5_EEPKT3_S3_PKS5_S9_S3_SB_S6_S9_S3_SB_S9_S3_PS5_PS7_21rocsparse_index_base_SE_SE_SE_bbb.num_named_barrier, 0
	.set _ZN9rocsparseL51csrgemm_numeric_fill_block_per_row_multipass_kernelILj512ELj16ELj2048ELj64ElidEEvT4_PKS1_S3_NS_24const_host_device_scalarIT5_EEPKT3_S3_PKS5_S9_S3_SB_S6_S9_S3_SB_S9_S3_PS5_PS7_21rocsparse_index_base_SE_SE_SE_bbb.private_seg_size, 0
	.set _ZN9rocsparseL51csrgemm_numeric_fill_block_per_row_multipass_kernelILj512ELj16ELj2048ELj64ElidEEvT4_PKS1_S3_NS_24const_host_device_scalarIT5_EEPKT3_S3_PKS5_S9_S3_SB_S6_S9_S3_SB_S9_S3_PS5_PS7_21rocsparse_index_base_SE_SE_SE_bbb.uses_vcc, 1
	.set _ZN9rocsparseL51csrgemm_numeric_fill_block_per_row_multipass_kernelILj512ELj16ELj2048ELj64ElidEEvT4_PKS1_S3_NS_24const_host_device_scalarIT5_EEPKT3_S3_PKS5_S9_S3_SB_S6_S9_S3_SB_S9_S3_PS5_PS7_21rocsparse_index_base_SE_SE_SE_bbb.uses_flat_scratch, 0
	.set _ZN9rocsparseL51csrgemm_numeric_fill_block_per_row_multipass_kernelILj512ELj16ELj2048ELj64ElidEEvT4_PKS1_S3_NS_24const_host_device_scalarIT5_EEPKT3_S3_PKS5_S9_S3_SB_S6_S9_S3_SB_S9_S3_PS5_PS7_21rocsparse_index_base_SE_SE_SE_bbb.has_dyn_sized_stack, 0
	.set _ZN9rocsparseL51csrgemm_numeric_fill_block_per_row_multipass_kernelILj512ELj16ELj2048ELj64ElidEEvT4_PKS1_S3_NS_24const_host_device_scalarIT5_EEPKT3_S3_PKS5_S9_S3_SB_S6_S9_S3_SB_S9_S3_PS5_PS7_21rocsparse_index_base_SE_SE_SE_bbb.has_recursion, 0
	.set _ZN9rocsparseL51csrgemm_numeric_fill_block_per_row_multipass_kernelILj512ELj16ELj2048ELj64ElidEEvT4_PKS1_S3_NS_24const_host_device_scalarIT5_EEPKT3_S3_PKS5_S9_S3_SB_S6_S9_S3_SB_S9_S3_PS5_PS7_21rocsparse_index_base_SE_SE_SE_bbb.has_indirect_call, 0
	.section	.AMDGPU.csdata,"",@progbits
; Kernel info:
; codeLenInByte = 2316
; TotalNumSgprs: 88
; NumVgprs: 44
; NumAgprs: 0
; TotalNumVgprs: 44
; ScratchSize: 0
; MemoryBound: 0
; FloatMode: 240
; IeeeMode: 1
; LDSByteSize: 18440 bytes/workgroup (compile time only)
; SGPRBlocks: 10
; VGPRBlocks: 5
; NumSGPRsForWavesPerEU: 88
; NumVGPRsForWavesPerEU: 44
; AccumOffset: 44
; Occupancy: 8
; WaveLimiterHint : 1
; COMPUTE_PGM_RSRC2:SCRATCH_EN: 0
; COMPUTE_PGM_RSRC2:USER_SGPR: 2
; COMPUTE_PGM_RSRC2:TRAP_HANDLER: 0
; COMPUTE_PGM_RSRC2:TGID_X_EN: 1
; COMPUTE_PGM_RSRC2:TGID_Y_EN: 0
; COMPUTE_PGM_RSRC2:TGID_Z_EN: 0
; COMPUTE_PGM_RSRC2:TIDIG_COMP_CNT: 0
; COMPUTE_PGM_RSRC3_GFX90A:ACCUM_OFFSET: 10
; COMPUTE_PGM_RSRC3_GFX90A:TG_SPLIT: 0
	.section	.text._ZN9rocsparseL38csrgemm_numeric_fill_wf_per_row_kernelILj256ELj8ELj16ELj137Eli21rocsparse_complex_numIfEEEvT4_S3_PKS3_S5_NS_24const_host_device_scalarIT5_EEPKT3_S5_PKS7_SB_S5_SD_S8_SB_S5_SD_SB_S5_PS7_21rocsparse_index_base_SF_SF_SF_bbb,"axG",@progbits,_ZN9rocsparseL38csrgemm_numeric_fill_wf_per_row_kernelILj256ELj8ELj16ELj137Eli21rocsparse_complex_numIfEEEvT4_S3_PKS3_S5_NS_24const_host_device_scalarIT5_EEPKT3_S5_PKS7_SB_S5_SD_S8_SB_S5_SD_SB_S5_PS7_21rocsparse_index_base_SF_SF_SF_bbb,comdat
	.globl	_ZN9rocsparseL38csrgemm_numeric_fill_wf_per_row_kernelILj256ELj8ELj16ELj137Eli21rocsparse_complex_numIfEEEvT4_S3_PKS3_S5_NS_24const_host_device_scalarIT5_EEPKT3_S5_PKS7_SB_S5_SD_S8_SB_S5_SD_SB_S5_PS7_21rocsparse_index_base_SF_SF_SF_bbb ; -- Begin function _ZN9rocsparseL38csrgemm_numeric_fill_wf_per_row_kernelILj256ELj8ELj16ELj137Eli21rocsparse_complex_numIfEEEvT4_S3_PKS3_S5_NS_24const_host_device_scalarIT5_EEPKT3_S5_PKS7_SB_S5_SD_S8_SB_S5_SD_SB_S5_PS7_21rocsparse_index_base_SF_SF_SF_bbb
	.p2align	8
	.type	_ZN9rocsparseL38csrgemm_numeric_fill_wf_per_row_kernelILj256ELj8ELj16ELj137Eli21rocsparse_complex_numIfEEEvT4_S3_PKS3_S5_NS_24const_host_device_scalarIT5_EEPKT3_S5_PKS7_SB_S5_SD_S8_SB_S5_SD_SB_S5_PS7_21rocsparse_index_base_SF_SF_SF_bbb,@function
_ZN9rocsparseL38csrgemm_numeric_fill_wf_per_row_kernelILj256ELj8ELj16ELj137Eli21rocsparse_complex_numIfEEEvT4_S3_PKS3_S5_NS_24const_host_device_scalarIT5_EEPKT3_S5_PKS7_SB_S5_SD_S8_SB_S5_SD_SB_S5_PS7_21rocsparse_index_base_SF_SF_SF_bbb: ; @_ZN9rocsparseL38csrgemm_numeric_fill_wf_per_row_kernelILj256ELj8ELj16ELj137Eli21rocsparse_complex_numIfEEEvT4_S3_PKS3_S5_NS_24const_host_device_scalarIT5_EEPKT3_S5_PKS7_SB_S5_SD_S8_SB_S5_SD_SB_S5_PS7_21rocsparse_index_base_SF_SF_SF_bbb
; %bb.0:
	s_load_dwordx2 s[6:7], s[0:1], 0x70
	s_load_dwordx4 s[24:27], s[0:1], 0x60
	s_load_dwordx8 s[8:15], s[0:1], 0x40
	s_load_dword s3, s[0:1], 0x98
	s_load_dwordx4 s[36:39], s[0:1], 0x8
	s_load_dwordx8 s[16:23], s[0:1], 0x20
	s_load_dwordx2 s[34:35], s[0:1], 0x80
	s_load_dwordx4 s[28:31], s[0:1], 0x88
	s_waitcnt lgkmcnt(0)
	s_bitcmp1_b32 s3, 0
	s_cselect_b64 s[44:45], -1, 0
	s_bitcmp1_b32 s3, 16
	s_cselect_b64 s[4:5], -1, 0
	s_xor_b64 s[4:5], s[4:5], -1
	v_cndmask_b32_e64 v1, 0, 1, s[4:5]
	s_mov_b32 s41, 0
	s_bitcmp0_b32 s3, 0
	v_cmp_ne_u32_e64 s[4:5], 1, v1
	s_mov_b32 s50, 0
	s_cbranch_scc1 .LBB200_5
; %bb.1:
	s_load_dwordx2 s[40:41], s[0:1], 0x18
	s_and_b64 vcc, exec, s[4:5]
	s_waitcnt lgkmcnt(0)
	s_mov_b32 s50, s40
	s_cbranch_vccnz .LBB200_3
; %bb.2:
	s_load_dword s50, s[40:41], 0x0
.LBB200_3:
	s_and_b64 vcc, exec, s[4:5]
	s_cbranch_vccnz .LBB200_5
; %bb.4:
	s_load_dword s41, s[40:41], 0x4
.LBB200_5:
	s_bitcmp1_b32 s3, 8
	s_cselect_b64 s[42:43], -1, 0
	s_bfe_u32 s3, s3, 0x10008
	s_mov_b32 s33, 0
	s_cmp_eq_u32 s3, 0
	s_mov_b32 s40, 0
	s_cbranch_scc1 .LBB200_11
; %bb.6:
	s_and_b64 vcc, exec, s[4:5]
	s_mov_b32 s33, s12
	s_cbranch_vccnz .LBB200_8
; %bb.7:
	s_load_dword s33, s[12:13], 0x0
.LBB200_8:
	s_and_b64 vcc, exec, s[4:5]
	s_cbranch_vccnz .LBB200_10
; %bb.9:
	s_load_dword s13, s[12:13], 0x4
.LBB200_10:
	s_waitcnt lgkmcnt(0)
	s_mov_b32 s40, s13
.LBB200_11:
	s_load_dwordx2 s[0:1], s[0:1], 0x0
	v_and_b32_e32 v17, 7, v0
	v_lshrrev_b32_e32 v0, 3, v0
	v_lshlrev_b32_e32 v1, 3, v17
	v_lshl_or_b32 v13, v0, 7, v1
	v_lshlrev_b32_e32 v1, 6, v0
	v_lshlrev_b32_e32 v2, 2, v17
	s_movk_i32 s3, 0x1000
	v_or_b32_e32 v12, -8, v17
	v_or3_b32 v14, v1, v2, s3
	v_mov_b32_e32 v4, 0
	s_mov_b64 s[4:5], 0
	s_waitcnt lgkmcnt(0)
	v_mov_b32_e32 v6, s1
	v_mov_b32_e32 v5, v4
	;; [unrolled: 1-line block ×5, first 2 shown]
.LBB200_12:                             ; =>This Inner Loop Header: Depth=1
	v_add_co_u32_e32 v3, vcc, 8, v3
	s_xor_b64 s[12:13], vcc, -1
	s_and_b64 s[12:13], exec, s[12:13]
	ds_write_b32 v1, v6
	ds_write_b64 v2, v[4:5]
	v_add_u32_e32 v2, 64, v2
	s_or_b64 s[4:5], s[12:13], s[4:5]
	v_add_u32_e32 v1, 32, v1
	s_andn2_b64 exec, exec, s[4:5]
	s_cbranch_execnz .LBB200_12
; %bb.13:
	s_or_b64 exec, exec, s[4:5]
	s_lshl_b32 s2, s2, 5
	s_and_b32 s2, s2, 0x1fffffe0
	v_or_b32_e32 v4, s2, v0
	v_cmp_gt_i32_e32 vcc, s0, v4
	s_waitcnt lgkmcnt(0)
	s_and_saveexec_b64 s[2:3], vcc
	s_cbranch_execz .LBB200_53
; %bb.14:
	s_cmp_eq_u64 s[38:39], 0
	s_cbranch_scc1 .LBB200_16
; %bb.15:
	s_load_dword s0, s[36:37], 0x0
	s_waitcnt lgkmcnt(0)
	v_add_u32_e32 v2, s0, v4
	v_ashrrev_i32_e32 v3, 31, v2
	v_lshl_add_u64 v[2:3], v[2:3], 2, s[38:39]
	global_load_dword v4, v[2:3], off
.LBB200_16:
	v_mov_b32_e32 v1, 0x1000
	v_lshl_or_b32 v15, v0, 6, v1
	v_lshlrev_b32_e32 v16, 7, v0
	s_andn2_b64 vcc, exec, s[44:45]
	s_waitcnt vmcnt(0)
	v_ashrrev_i32_e32 v5, 31, v4
	s_cbranch_vccnz .LBB200_34
; %bb.17:
	v_lshl_add_u64 v[0:1], v[4:5], 3, s[16:17]
	global_load_dwordx4 v[0:3], v[0:1], off
	v_subrev_co_u32_e32 v8, vcc, s28, v17
	s_nop 1
	v_subb_co_u32_e64 v9, s[2:3], 0, 0, vcc
	s_waitcnt vmcnt(0)
	v_subrev_co_u32_e32 v6, vcc, s28, v2
	s_nop 1
	v_subbrev_co_u32_e32 v7, vcc, 0, v3, vcc
	v_lshl_add_u64 v[8:9], v[0:1], 0, v[8:9]
	v_cmp_lt_i64_e32 vcc, v[8:9], v[6:7]
	s_and_saveexec_b64 s[2:3], vcc
	s_cbranch_execz .LBB200_33
; %bb.18:
	s_mov_b32 s0, s29
	s_mov_b64 s[4:5], 0
	s_branch .LBB200_20
.LBB200_19:                             ;   in Loop: Header=BB200_20 Depth=1
	s_or_b64 exec, exec, s[12:13]
	v_lshl_add_u64 v[8:9], v[8:9], 0, 8
	v_cmp_ge_i64_e32 vcc, v[8:9], v[6:7]
	s_or_b64 s[4:5], vcc, s[4:5]
	s_andn2_b64 exec, exec, s[4:5]
	s_cbranch_execz .LBB200_33
.LBB200_20:                             ; =>This Loop Header: Depth=1
                                        ;     Child Loop BB200_24 Depth 2
                                        ;       Child Loop BB200_27 Depth 3
	v_lshl_add_u64 v[0:1], v[8:9], 2, s[18:19]
	global_load_dword v0, v[0:1], off
	s_waitcnt vmcnt(0)
	v_subrev_u32_e32 v0, s28, v0
	v_ashrrev_i32_e32 v1, 31, v0
	v_lshl_add_u64 v[0:1], v[0:1], 3, s[22:23]
	global_load_dwordx4 v[0:3], v[0:1], off
	s_waitcnt vmcnt(0)
	v_cmp_lt_i64_e32 vcc, v[0:1], v[2:3]
	s_and_saveexec_b64 s[12:13], vcc
	s_cbranch_execz .LBB200_19
; %bb.21:                               ;   in Loop: Header=BB200_20 Depth=1
	v_lshl_add_u64 v[10:11], v[8:9], 3, s[20:21]
	global_load_dwordx2 v[10:11], v[10:11], off
	v_subrev_co_u32_e32 v2, vcc, s0, v2
	s_mov_b64 s[16:17], 0
	s_nop 0
	v_subbrev_co_u32_e32 v3, vcc, 0, v3, vcc
	v_subrev_co_u32_e32 v0, vcc, s0, v0
	s_waitcnt vmcnt(0)
	v_mul_f32_e64 v18, v11, -s41
	v_mul_f32_e32 v19, s50, v11
	v_subbrev_co_u32_e32 v1, vcc, 0, v1, vcc
	v_fmac_f32_e32 v18, s50, v10
	v_fmac_f32_e32 v19, s41, v10
	s_branch .LBB200_24
.LBB200_22:                             ;   in Loop: Header=BB200_24 Depth=2
	s_or_b64 exec, exec, s[38:39]
.LBB200_23:                             ;   in Loop: Header=BB200_24 Depth=2
	s_or_b64 exec, exec, s[36:37]
	s_waitcnt vmcnt(0)
	v_mul_f32_e64 v21, v11, -v19
	v_mul_f32_e32 v11, v18, v11
	v_fmac_f32_e32 v21, v18, v10
	v_fmac_f32_e32 v11, v19, v10
	v_lshl_add_u32 v10, v20, 3, v16
	ds_add_f32 v10, v21
	ds_add_f32 v10, v11 offset:4
	v_lshl_add_u64 v[0:1], v[0:1], 0, 1
	v_cmp_ge_i64_e32 vcc, v[0:1], v[2:3]
	s_or_b64 s[16:17], vcc, s[16:17]
	s_andn2_b64 exec, exec, s[16:17]
	s_cbranch_execz .LBB200_19
.LBB200_24:                             ;   Parent Loop BB200_20 Depth=1
                                        ; =>  This Loop Header: Depth=2
                                        ;       Child Loop BB200_27 Depth 3
	v_lshl_add_u64 v[10:11], v[0:1], 2, s[8:9]
	global_load_dword v20, v[10:11], off
	v_lshl_add_u64 v[10:11], v[0:1], 3, s[10:11]
	global_load_dwordx2 v[10:11], v[10:11], off
	s_waitcnt vmcnt(1)
	v_subrev_u32_e32 v21, s29, v20
	v_lshl_add_u32 v20, v21, 3, v21
	v_and_b32_e32 v20, 15, v20
	v_lshl_add_u32 v22, v20, 2, v15
	ds_read_b32 v23, v22
	s_waitcnt lgkmcnt(0)
	v_cmp_ne_u32_e32 vcc, v23, v21
	s_and_saveexec_b64 s[36:37], vcc
	s_cbranch_execz .LBB200_23
; %bb.25:                               ;   in Loop: Header=BB200_24 Depth=2
	s_mov_b64 s[38:39], 0
	s_branch .LBB200_27
.LBB200_26:                             ;   in Loop: Header=BB200_27 Depth=3
	s_or_b64 exec, exec, s[48:49]
	s_and_b64 s[44:45], exec, s[46:47]
	s_or_b64 s[38:39], s[44:45], s[38:39]
	s_andn2_b64 exec, exec, s[38:39]
	s_cbranch_execz .LBB200_22
.LBB200_27:                             ;   Parent Loop BB200_20 Depth=1
                                        ;     Parent Loop BB200_24 Depth=2
                                        ; =>    This Inner Loop Header: Depth=3
	v_cmp_ne_u32_e32 vcc, s1, v23
	s_mov_b64 s[44:45], 0
	s_and_saveexec_b64 s[46:47], vcc
	s_xor_b64 s[46:47], exec, s[46:47]
	s_cbranch_execz .LBB200_29
; %bb.28:                               ;   in Loop: Header=BB200_27 Depth=3
	v_add_u32_e32 v20, 1, v20
	s_mov_b64 s[44:45], exec
	v_and_b32_e32 v20, 15, v20
                                        ; implicit-def: $vgpr22
	s_andn2_saveexec_b64 s[46:47], s[46:47]
	s_cbranch_execz .LBB200_31
	s_branch .LBB200_30
.LBB200_29:                             ;   in Loop: Header=BB200_27 Depth=3
	s_andn2_saveexec_b64 s[46:47], s[46:47]
	s_cbranch_execz .LBB200_31
.LBB200_30:                             ;   in Loop: Header=BB200_27 Depth=3
	v_mov_b32_e32 v23, s1
	ds_cmpst_rtn_b32 v22, v22, v23, v21
	s_andn2_b64 s[44:45], s[44:45], exec
	s_waitcnt lgkmcnt(0)
	v_cmp_ne_u32_e32 vcc, s1, v22
	s_and_b64 s[48:49], vcc, exec
	s_or_b64 s[44:45], s[44:45], s[48:49]
.LBB200_31:                             ;   in Loop: Header=BB200_27 Depth=3
	s_or_b64 exec, exec, s[46:47]
	s_mov_b64 s[46:47], -1
                                        ; implicit-def: $vgpr22
                                        ; implicit-def: $vgpr23
	s_and_saveexec_b64 s[48:49], s[44:45]
	s_cbranch_execz .LBB200_26
; %bb.32:                               ;   in Loop: Header=BB200_27 Depth=3
	v_lshl_add_u32 v22, v20, 2, v15
	ds_read_b32 v23, v22
	s_waitcnt lgkmcnt(0)
	v_cmp_eq_u32_e32 vcc, v23, v21
	s_orn2_b64 s[46:47], vcc, exec
	s_branch .LBB200_26
.LBB200_33:
	s_or_b64 exec, exec, s[2:3]
.LBB200_34:
	s_andn2_b64 vcc, exec, s[42:43]
	s_cbranch_vccnz .LBB200_49
; %bb.35:
	v_lshl_add_u64 v[0:1], v[4:5], 3, s[14:15]
	global_load_dwordx4 v[6:9], v[0:1], off
	v_subrev_co_u32_e32 v2, vcc, s31, v17
	s_nop 1
	v_subb_co_u32_e64 v3, s[2:3], 0, 0, vcc
	s_waitcnt vmcnt(0)
	v_subrev_co_u32_e32 v0, vcc, s31, v8
	s_nop 1
	v_subbrev_co_u32_e32 v1, vcc, 0, v9, vcc
	v_lshl_add_u64 v[2:3], v[6:7], 0, v[2:3]
	v_cmp_lt_i64_e32 vcc, v[2:3], v[0:1]
	s_and_saveexec_b64 s[2:3], vcc
	s_cbranch_execz .LBB200_48
; %bb.36:
	s_mov_b64 s[4:5], 0
	s_branch .LBB200_39
.LBB200_37:                             ;   in Loop: Header=BB200_39 Depth=1
	s_or_b64 exec, exec, s[10:11]
.LBB200_38:                             ;   in Loop: Header=BB200_39 Depth=1
	s_or_b64 exec, exec, s[8:9]
	s_waitcnt vmcnt(0)
	v_mul_f32_e64 v9, v7, -s40
	v_mul_f32_e32 v7, s33, v7
	v_fmac_f32_e32 v9, s33, v6
	v_fmac_f32_e32 v7, s40, v6
	v_lshl_add_u32 v6, v8, 3, v16
	ds_add_f32 v6, v9
	ds_add_f32 v6, v7 offset:4
	v_lshl_add_u64 v[2:3], v[2:3], 0, 8
	v_cmp_ge_i64_e32 vcc, v[2:3], v[0:1]
	s_or_b64 s[4:5], vcc, s[4:5]
	s_andn2_b64 exec, exec, s[4:5]
	s_cbranch_execz .LBB200_48
.LBB200_39:                             ; =>This Loop Header: Depth=1
                                        ;     Child Loop BB200_42 Depth 2
	v_lshl_add_u64 v[6:7], v[2:3], 2, s[24:25]
	global_load_dword v8, v[6:7], off
	v_lshl_add_u64 v[6:7], v[2:3], 3, s[26:27]
	global_load_dwordx2 v[6:7], v[6:7], off
	s_waitcnt vmcnt(1)
	v_subrev_u32_e32 v9, s31, v8
	v_lshl_add_u32 v8, v9, 3, v9
	v_and_b32_e32 v8, 15, v8
	v_lshl_add_u32 v10, v8, 2, v15
	ds_read_b32 v11, v10
	s_waitcnt lgkmcnt(0)
	v_cmp_ne_u32_e32 vcc, v11, v9
	s_and_saveexec_b64 s[8:9], vcc
	s_cbranch_execz .LBB200_38
; %bb.40:                               ;   in Loop: Header=BB200_39 Depth=1
	s_mov_b64 s[10:11], 0
	s_branch .LBB200_42
.LBB200_41:                             ;   in Loop: Header=BB200_42 Depth=2
	s_or_b64 exec, exec, s[16:17]
	s_and_b64 s[12:13], exec, s[14:15]
	s_or_b64 s[10:11], s[12:13], s[10:11]
	s_andn2_b64 exec, exec, s[10:11]
	s_cbranch_execz .LBB200_37
.LBB200_42:                             ;   Parent Loop BB200_39 Depth=1
                                        ; =>  This Inner Loop Header: Depth=2
	v_cmp_ne_u32_e32 vcc, s1, v11
	s_mov_b64 s[12:13], 0
	s_and_saveexec_b64 s[14:15], vcc
	s_xor_b64 s[14:15], exec, s[14:15]
	s_cbranch_execz .LBB200_44
; %bb.43:                               ;   in Loop: Header=BB200_42 Depth=2
	v_add_u32_e32 v8, 1, v8
	s_mov_b64 s[12:13], exec
	v_and_b32_e32 v8, 15, v8
                                        ; implicit-def: $vgpr10
	s_andn2_saveexec_b64 s[14:15], s[14:15]
	s_cbranch_execz .LBB200_46
	s_branch .LBB200_45
.LBB200_44:                             ;   in Loop: Header=BB200_42 Depth=2
	s_andn2_saveexec_b64 s[14:15], s[14:15]
	s_cbranch_execz .LBB200_46
.LBB200_45:                             ;   in Loop: Header=BB200_42 Depth=2
	v_mov_b32_e32 v11, s1
	ds_cmpst_rtn_b32 v10, v10, v11, v9
	s_andn2_b64 s[12:13], s[12:13], exec
	s_waitcnt lgkmcnt(0)
	v_cmp_ne_u32_e32 vcc, s1, v10
	s_and_b64 s[16:17], vcc, exec
	s_or_b64 s[12:13], s[12:13], s[16:17]
.LBB200_46:                             ;   in Loop: Header=BB200_42 Depth=2
	s_or_b64 exec, exec, s[14:15]
	s_mov_b64 s[14:15], -1
                                        ; implicit-def: $vgpr10
                                        ; implicit-def: $vgpr11
	s_and_saveexec_b64 s[16:17], s[12:13]
	s_cbranch_execz .LBB200_41
; %bb.47:                               ;   in Loop: Header=BB200_42 Depth=2
	v_lshl_add_u32 v10, v8, 2, v15
	ds_read_b32 v11, v10
	s_waitcnt lgkmcnt(0)
	v_cmp_eq_u32_e32 vcc, v11, v9
	s_orn2_b64 s[14:15], vcc, exec
	s_branch .LBB200_41
.LBB200_48:
	s_or_b64 exec, exec, s[2:3]
.LBB200_49:
	v_lshl_add_u64 v[0:1], v[4:5], 3, s[6:7]
	s_waitcnt lgkmcnt(0)
	global_load_dwordx2 v[0:1], v[0:1], off
	s_mov_b64 s[2:3], 0
	v_mov_b32_e32 v3, 0
	s_waitcnt vmcnt(0)
	v_subrev_co_u32_e32 v0, vcc, s30, v0
	s_nop 1
	v_subbrev_co_u32_e32 v1, vcc, 0, v1, vcc
	v_lshl_add_u64 v[0:1], v[0:1], 3, s[34:35]
	s_branch .LBB200_51
.LBB200_50:                             ;   in Loop: Header=BB200_51 Depth=1
	s_or_b64 exec, exec, s[4:5]
	v_add_co_u32_e32 v12, vcc, 8, v12
	s_xor_b64 s[4:5], vcc, -1
	s_and_b64 s[4:5], exec, s[4:5]
	v_add_u32_e32 v13, 64, v13
	s_or_b64 s[2:3], s[4:5], s[2:3]
	v_add_u32_e32 v14, 32, v14
	s_andn2_b64 exec, exec, s[2:3]
	s_cbranch_execz .LBB200_53
.LBB200_51:                             ; =>This Inner Loop Header: Depth=1
	ds_read_b32 v4, v14
	s_waitcnt lgkmcnt(0)
	v_cmp_gt_i32_e32 vcc, s1, v4
	s_and_saveexec_b64 s[4:5], vcc
	s_cbranch_execz .LBB200_50
; %bb.52:                               ;   in Loop: Header=BB200_51 Depth=1
	ds_read_b128 v[6:9], v15
	ds_read_b128 v[16:19], v15 offset:16
	ds_read_b128 v[20:23], v15 offset:32
	;; [unrolled: 1-line block ×3, first 2 shown]
	s_waitcnt lgkmcnt(3)
	v_cmp_gt_i32_e32 vcc, v4, v6
	s_nop 1
	v_cndmask_b32_e64 v2, 0, 1, vcc
	v_lshlrev_b32_e32 v2, 3, v2
	v_cmp_gt_i32_e32 vcc, v4, v7
	v_lshl_add_u64 v[10:11], v[0:1], 0, v[2:3]
	s_nop 0
	v_cndmask_b32_e64 v2, 0, 1, vcc
	v_lshlrev_b32_e32 v2, 3, v2
	v_cmp_gt_i32_e32 vcc, v4, v8
	v_lshl_add_u64 v[6:7], v[10:11], 0, v[2:3]
	;; [unrolled: 5-line block ×3, first 2 shown]
	ds_read_b64 v[8:9], v13
	v_cndmask_b32_e64 v2, 0, 1, vcc
	v_lshlrev_b32_e32 v2, 3, v2
	s_waitcnt lgkmcnt(3)
	v_cmp_gt_i32_e32 vcc, v4, v16
	v_lshl_add_u64 v[6:7], v[6:7], 0, v[2:3]
	s_nop 0
	v_cndmask_b32_e64 v2, 0, 1, vcc
	v_lshlrev_b32_e32 v2, 3, v2
	v_cmp_gt_i32_e32 vcc, v4, v17
	v_lshl_add_u64 v[6:7], v[6:7], 0, v[2:3]
	s_nop 0
	v_cndmask_b32_e64 v2, 0, 1, vcc
	v_lshlrev_b32_e32 v2, 3, v2
	v_cmp_gt_i32_e32 vcc, v4, v18
	v_lshl_add_u64 v[6:7], v[6:7], 0, v[2:3]
	s_nop 0
	v_cndmask_b32_e64 v2, 0, 1, vcc
	v_lshlrev_b32_e32 v2, 3, v2
	v_cmp_gt_i32_e32 vcc, v4, v19
	v_lshl_add_u64 v[6:7], v[6:7], 0, v[2:3]
	s_nop 0
	v_cndmask_b32_e64 v2, 0, 1, vcc
	v_lshlrev_b32_e32 v2, 3, v2
	s_waitcnt lgkmcnt(2)
	v_cmp_gt_i32_e32 vcc, v4, v20
	v_lshl_add_u64 v[6:7], v[6:7], 0, v[2:3]
	s_nop 0
	v_cndmask_b32_e64 v2, 0, 1, vcc
	v_lshlrev_b32_e32 v2, 3, v2
	v_cmp_gt_i32_e32 vcc, v4, v21
	v_lshl_add_u64 v[6:7], v[6:7], 0, v[2:3]
	s_nop 0
	v_cndmask_b32_e64 v2, 0, 1, vcc
	v_lshlrev_b32_e32 v2, 3, v2
	v_cmp_gt_i32_e32 vcc, v4, v22
	v_lshl_add_u64 v[6:7], v[6:7], 0, v[2:3]
	s_nop 0
	v_cndmask_b32_e64 v2, 0, 1, vcc
	v_lshlrev_b32_e32 v2, 3, v2
	v_cmp_gt_i32_e32 vcc, v4, v23
	v_lshl_add_u64 v[6:7], v[6:7], 0, v[2:3]
	s_nop 0
	v_cndmask_b32_e64 v2, 0, 1, vcc
	v_lshlrev_b32_e32 v2, 3, v2
	s_waitcnt lgkmcnt(1)
	v_cmp_gt_i32_e32 vcc, v4, v24
	v_lshl_add_u64 v[6:7], v[6:7], 0, v[2:3]
	s_nop 0
	v_cndmask_b32_e64 v2, 0, 1, vcc
	v_lshlrev_b32_e32 v2, 3, v2
	v_cmp_gt_i32_e32 vcc, v4, v25
	v_lshl_add_u64 v[6:7], v[6:7], 0, v[2:3]
	s_nop 0
	v_cndmask_b32_e64 v2, 0, 1, vcc
	v_lshlrev_b32_e32 v2, 3, v2
	v_cmp_gt_i32_e32 vcc, v4, v26
	v_lshl_add_u64 v[6:7], v[6:7], 0, v[2:3]
	s_nop 0
	v_cndmask_b32_e64 v2, 0, 1, vcc
	v_lshlrev_b32_e32 v2, 3, v2
	v_cmp_gt_i32_e32 vcc, v4, v27
	v_lshl_add_u64 v[6:7], v[6:7], 0, v[2:3]
	s_nop 0
	v_cndmask_b32_e64 v2, 0, 1, vcc
	v_lshlrev_b32_e32 v2, 3, v2
	v_lshl_add_u64 v[4:5], v[6:7], 0, v[2:3]
	s_waitcnt lgkmcnt(0)
	global_store_dwordx2 v[4:5], v[8:9], off
	s_branch .LBB200_50
.LBB200_53:
	s_endpgm
	.section	.rodata,"a",@progbits
	.p2align	6, 0x0
	.amdhsa_kernel _ZN9rocsparseL38csrgemm_numeric_fill_wf_per_row_kernelILj256ELj8ELj16ELj137Eli21rocsparse_complex_numIfEEEvT4_S3_PKS3_S5_NS_24const_host_device_scalarIT5_EEPKT3_S5_PKS7_SB_S5_SD_S8_SB_S5_SD_SB_S5_PS7_21rocsparse_index_base_SF_SF_SF_bbb
		.amdhsa_group_segment_fixed_size 6144
		.amdhsa_private_segment_fixed_size 0
		.amdhsa_kernarg_size 156
		.amdhsa_user_sgpr_count 2
		.amdhsa_user_sgpr_dispatch_ptr 0
		.amdhsa_user_sgpr_queue_ptr 0
		.amdhsa_user_sgpr_kernarg_segment_ptr 1
		.amdhsa_user_sgpr_dispatch_id 0
		.amdhsa_user_sgpr_kernarg_preload_length 0
		.amdhsa_user_sgpr_kernarg_preload_offset 0
		.amdhsa_user_sgpr_private_segment_size 0
		.amdhsa_uses_dynamic_stack 0
		.amdhsa_enable_private_segment 0
		.amdhsa_system_sgpr_workgroup_id_x 1
		.amdhsa_system_sgpr_workgroup_id_y 0
		.amdhsa_system_sgpr_workgroup_id_z 0
		.amdhsa_system_sgpr_workgroup_info 0
		.amdhsa_system_vgpr_workitem_id 0
		.amdhsa_next_free_vgpr 28
		.amdhsa_next_free_sgpr 51
		.amdhsa_accum_offset 28
		.amdhsa_reserve_vcc 1
		.amdhsa_float_round_mode_32 0
		.amdhsa_float_round_mode_16_64 0
		.amdhsa_float_denorm_mode_32 3
		.amdhsa_float_denorm_mode_16_64 3
		.amdhsa_dx10_clamp 1
		.amdhsa_ieee_mode 1
		.amdhsa_fp16_overflow 0
		.amdhsa_tg_split 0
		.amdhsa_exception_fp_ieee_invalid_op 0
		.amdhsa_exception_fp_denorm_src 0
		.amdhsa_exception_fp_ieee_div_zero 0
		.amdhsa_exception_fp_ieee_overflow 0
		.amdhsa_exception_fp_ieee_underflow 0
		.amdhsa_exception_fp_ieee_inexact 0
		.amdhsa_exception_int_div_zero 0
	.end_amdhsa_kernel
	.section	.text._ZN9rocsparseL38csrgemm_numeric_fill_wf_per_row_kernelILj256ELj8ELj16ELj137Eli21rocsparse_complex_numIfEEEvT4_S3_PKS3_S5_NS_24const_host_device_scalarIT5_EEPKT3_S5_PKS7_SB_S5_SD_S8_SB_S5_SD_SB_S5_PS7_21rocsparse_index_base_SF_SF_SF_bbb,"axG",@progbits,_ZN9rocsparseL38csrgemm_numeric_fill_wf_per_row_kernelILj256ELj8ELj16ELj137Eli21rocsparse_complex_numIfEEEvT4_S3_PKS3_S5_NS_24const_host_device_scalarIT5_EEPKT3_S5_PKS7_SB_S5_SD_S8_SB_S5_SD_SB_S5_PS7_21rocsparse_index_base_SF_SF_SF_bbb,comdat
.Lfunc_end200:
	.size	_ZN9rocsparseL38csrgemm_numeric_fill_wf_per_row_kernelILj256ELj8ELj16ELj137Eli21rocsparse_complex_numIfEEEvT4_S3_PKS3_S5_NS_24const_host_device_scalarIT5_EEPKT3_S5_PKS7_SB_S5_SD_S8_SB_S5_SD_SB_S5_PS7_21rocsparse_index_base_SF_SF_SF_bbb, .Lfunc_end200-_ZN9rocsparseL38csrgemm_numeric_fill_wf_per_row_kernelILj256ELj8ELj16ELj137Eli21rocsparse_complex_numIfEEEvT4_S3_PKS3_S5_NS_24const_host_device_scalarIT5_EEPKT3_S5_PKS7_SB_S5_SD_S8_SB_S5_SD_SB_S5_PS7_21rocsparse_index_base_SF_SF_SF_bbb
                                        ; -- End function
	.set _ZN9rocsparseL38csrgemm_numeric_fill_wf_per_row_kernelILj256ELj8ELj16ELj137Eli21rocsparse_complex_numIfEEEvT4_S3_PKS3_S5_NS_24const_host_device_scalarIT5_EEPKT3_S5_PKS7_SB_S5_SD_S8_SB_S5_SD_SB_S5_PS7_21rocsparse_index_base_SF_SF_SF_bbb.num_vgpr, 28
	.set _ZN9rocsparseL38csrgemm_numeric_fill_wf_per_row_kernelILj256ELj8ELj16ELj137Eli21rocsparse_complex_numIfEEEvT4_S3_PKS3_S5_NS_24const_host_device_scalarIT5_EEPKT3_S5_PKS7_SB_S5_SD_S8_SB_S5_SD_SB_S5_PS7_21rocsparse_index_base_SF_SF_SF_bbb.num_agpr, 0
	.set _ZN9rocsparseL38csrgemm_numeric_fill_wf_per_row_kernelILj256ELj8ELj16ELj137Eli21rocsparse_complex_numIfEEEvT4_S3_PKS3_S5_NS_24const_host_device_scalarIT5_EEPKT3_S5_PKS7_SB_S5_SD_S8_SB_S5_SD_SB_S5_PS7_21rocsparse_index_base_SF_SF_SF_bbb.numbered_sgpr, 51
	.set _ZN9rocsparseL38csrgemm_numeric_fill_wf_per_row_kernelILj256ELj8ELj16ELj137Eli21rocsparse_complex_numIfEEEvT4_S3_PKS3_S5_NS_24const_host_device_scalarIT5_EEPKT3_S5_PKS7_SB_S5_SD_S8_SB_S5_SD_SB_S5_PS7_21rocsparse_index_base_SF_SF_SF_bbb.num_named_barrier, 0
	.set _ZN9rocsparseL38csrgemm_numeric_fill_wf_per_row_kernelILj256ELj8ELj16ELj137Eli21rocsparse_complex_numIfEEEvT4_S3_PKS3_S5_NS_24const_host_device_scalarIT5_EEPKT3_S5_PKS7_SB_S5_SD_S8_SB_S5_SD_SB_S5_PS7_21rocsparse_index_base_SF_SF_SF_bbb.private_seg_size, 0
	.set _ZN9rocsparseL38csrgemm_numeric_fill_wf_per_row_kernelILj256ELj8ELj16ELj137Eli21rocsparse_complex_numIfEEEvT4_S3_PKS3_S5_NS_24const_host_device_scalarIT5_EEPKT3_S5_PKS7_SB_S5_SD_S8_SB_S5_SD_SB_S5_PS7_21rocsparse_index_base_SF_SF_SF_bbb.uses_vcc, 1
	.set _ZN9rocsparseL38csrgemm_numeric_fill_wf_per_row_kernelILj256ELj8ELj16ELj137Eli21rocsparse_complex_numIfEEEvT4_S3_PKS3_S5_NS_24const_host_device_scalarIT5_EEPKT3_S5_PKS7_SB_S5_SD_S8_SB_S5_SD_SB_S5_PS7_21rocsparse_index_base_SF_SF_SF_bbb.uses_flat_scratch, 0
	.set _ZN9rocsparseL38csrgemm_numeric_fill_wf_per_row_kernelILj256ELj8ELj16ELj137Eli21rocsparse_complex_numIfEEEvT4_S3_PKS3_S5_NS_24const_host_device_scalarIT5_EEPKT3_S5_PKS7_SB_S5_SD_S8_SB_S5_SD_SB_S5_PS7_21rocsparse_index_base_SF_SF_SF_bbb.has_dyn_sized_stack, 0
	.set _ZN9rocsparseL38csrgemm_numeric_fill_wf_per_row_kernelILj256ELj8ELj16ELj137Eli21rocsparse_complex_numIfEEEvT4_S3_PKS3_S5_NS_24const_host_device_scalarIT5_EEPKT3_S5_PKS7_SB_S5_SD_S8_SB_S5_SD_SB_S5_PS7_21rocsparse_index_base_SF_SF_SF_bbb.has_recursion, 0
	.set _ZN9rocsparseL38csrgemm_numeric_fill_wf_per_row_kernelILj256ELj8ELj16ELj137Eli21rocsparse_complex_numIfEEEvT4_S3_PKS3_S5_NS_24const_host_device_scalarIT5_EEPKT3_S5_PKS7_SB_S5_SD_S8_SB_S5_SD_SB_S5_PS7_21rocsparse_index_base_SF_SF_SF_bbb.has_indirect_call, 0
	.section	.AMDGPU.csdata,"",@progbits
; Kernel info:
; codeLenInByte = 2104
; TotalNumSgprs: 57
; NumVgprs: 28
; NumAgprs: 0
; TotalNumVgprs: 28
; ScratchSize: 0
; MemoryBound: 0
; FloatMode: 240
; IeeeMode: 1
; LDSByteSize: 6144 bytes/workgroup (compile time only)
; SGPRBlocks: 7
; VGPRBlocks: 3
; NumSGPRsForWavesPerEU: 57
; NumVGPRsForWavesPerEU: 28
; AccumOffset: 28
; Occupancy: 8
; WaveLimiterHint : 1
; COMPUTE_PGM_RSRC2:SCRATCH_EN: 0
; COMPUTE_PGM_RSRC2:USER_SGPR: 2
; COMPUTE_PGM_RSRC2:TRAP_HANDLER: 0
; COMPUTE_PGM_RSRC2:TGID_X_EN: 1
; COMPUTE_PGM_RSRC2:TGID_Y_EN: 0
; COMPUTE_PGM_RSRC2:TGID_Z_EN: 0
; COMPUTE_PGM_RSRC2:TIDIG_COMP_CNT: 0
; COMPUTE_PGM_RSRC3_GFX90A:ACCUM_OFFSET: 6
; COMPUTE_PGM_RSRC3_GFX90A:TG_SPLIT: 0
	.section	.text._ZN9rocsparseL38csrgemm_numeric_fill_wf_per_row_kernelILj256ELj16ELj32ELj137Eli21rocsparse_complex_numIfEEEvT4_S3_PKS3_S5_NS_24const_host_device_scalarIT5_EEPKT3_S5_PKS7_SB_S5_SD_S8_SB_S5_SD_SB_S5_PS7_21rocsparse_index_base_SF_SF_SF_bbb,"axG",@progbits,_ZN9rocsparseL38csrgemm_numeric_fill_wf_per_row_kernelILj256ELj16ELj32ELj137Eli21rocsparse_complex_numIfEEEvT4_S3_PKS3_S5_NS_24const_host_device_scalarIT5_EEPKT3_S5_PKS7_SB_S5_SD_S8_SB_S5_SD_SB_S5_PS7_21rocsparse_index_base_SF_SF_SF_bbb,comdat
	.globl	_ZN9rocsparseL38csrgemm_numeric_fill_wf_per_row_kernelILj256ELj16ELj32ELj137Eli21rocsparse_complex_numIfEEEvT4_S3_PKS3_S5_NS_24const_host_device_scalarIT5_EEPKT3_S5_PKS7_SB_S5_SD_S8_SB_S5_SD_SB_S5_PS7_21rocsparse_index_base_SF_SF_SF_bbb ; -- Begin function _ZN9rocsparseL38csrgemm_numeric_fill_wf_per_row_kernelILj256ELj16ELj32ELj137Eli21rocsparse_complex_numIfEEEvT4_S3_PKS3_S5_NS_24const_host_device_scalarIT5_EEPKT3_S5_PKS7_SB_S5_SD_S8_SB_S5_SD_SB_S5_PS7_21rocsparse_index_base_SF_SF_SF_bbb
	.p2align	8
	.type	_ZN9rocsparseL38csrgemm_numeric_fill_wf_per_row_kernelILj256ELj16ELj32ELj137Eli21rocsparse_complex_numIfEEEvT4_S3_PKS3_S5_NS_24const_host_device_scalarIT5_EEPKT3_S5_PKS7_SB_S5_SD_S8_SB_S5_SD_SB_S5_PS7_21rocsparse_index_base_SF_SF_SF_bbb,@function
_ZN9rocsparseL38csrgemm_numeric_fill_wf_per_row_kernelILj256ELj16ELj32ELj137Eli21rocsparse_complex_numIfEEEvT4_S3_PKS3_S5_NS_24const_host_device_scalarIT5_EEPKT3_S5_PKS7_SB_S5_SD_S8_SB_S5_SD_SB_S5_PS7_21rocsparse_index_base_SF_SF_SF_bbb: ; @_ZN9rocsparseL38csrgemm_numeric_fill_wf_per_row_kernelILj256ELj16ELj32ELj137Eli21rocsparse_complex_numIfEEEvT4_S3_PKS3_S5_NS_24const_host_device_scalarIT5_EEPKT3_S5_PKS7_SB_S5_SD_S8_SB_S5_SD_SB_S5_PS7_21rocsparse_index_base_SF_SF_SF_bbb
; %bb.0:
	s_load_dwordx2 s[6:7], s[0:1], 0x70
	s_load_dwordx4 s[24:27], s[0:1], 0x60
	s_load_dwordx8 s[8:15], s[0:1], 0x40
	s_load_dword s3, s[0:1], 0x98
	s_load_dwordx4 s[36:39], s[0:1], 0x8
	s_load_dwordx8 s[16:23], s[0:1], 0x20
	s_load_dwordx2 s[34:35], s[0:1], 0x80
	s_load_dwordx4 s[28:31], s[0:1], 0x88
	s_waitcnt lgkmcnt(0)
	s_bitcmp1_b32 s3, 0
	s_cselect_b64 s[44:45], -1, 0
	s_bitcmp1_b32 s3, 16
	s_cselect_b64 s[4:5], -1, 0
	s_xor_b64 s[4:5], s[4:5], -1
	v_cndmask_b32_e64 v1, 0, 1, s[4:5]
	s_mov_b32 s41, 0
	s_bitcmp0_b32 s3, 0
	v_cmp_ne_u32_e64 s[4:5], 1, v1
	s_mov_b32 s50, 0
	s_cbranch_scc1 .LBB201_5
; %bb.1:
	s_load_dwordx2 s[40:41], s[0:1], 0x18
	s_and_b64 vcc, exec, s[4:5]
	s_waitcnt lgkmcnt(0)
	s_mov_b32 s50, s40
	s_cbranch_vccnz .LBB201_3
; %bb.2:
	s_load_dword s50, s[40:41], 0x0
.LBB201_3:
	s_and_b64 vcc, exec, s[4:5]
	s_cbranch_vccnz .LBB201_5
; %bb.4:
	s_load_dword s41, s[40:41], 0x4
.LBB201_5:
	s_bitcmp1_b32 s3, 8
	s_cselect_b64 s[42:43], -1, 0
	s_bfe_u32 s3, s3, 0x10008
	s_mov_b32 s33, 0
	s_cmp_eq_u32 s3, 0
	s_mov_b32 s40, 0
	s_cbranch_scc1 .LBB201_11
; %bb.6:
	s_and_b64 vcc, exec, s[4:5]
	s_mov_b32 s33, s12
	s_cbranch_vccnz .LBB201_8
; %bb.7:
	s_load_dword s33, s[12:13], 0x0
.LBB201_8:
	s_and_b64 vcc, exec, s[4:5]
	s_cbranch_vccnz .LBB201_10
; %bb.9:
	s_load_dword s13, s[12:13], 0x4
.LBB201_10:
	s_waitcnt lgkmcnt(0)
	s_mov_b32 s40, s13
.LBB201_11:
	s_load_dwordx2 s[0:1], s[0:1], 0x0
	v_and_b32_e32 v17, 15, v0
	v_lshrrev_b32_e32 v0, 4, v0
	v_lshlrev_b32_e32 v1, 3, v17
	v_lshl_or_b32 v13, v0, 8, v1
	v_lshlrev_b32_e32 v1, 7, v0
	v_lshlrev_b32_e32 v2, 2, v17
	s_movk_i32 s3, 0x1000
	v_or_b32_e32 v12, -16, v17
	v_or3_b32 v14, v1, v2, s3
	v_mov_b32_e32 v4, 0
	s_mov_b64 s[4:5], 0
	s_waitcnt lgkmcnt(0)
	v_mov_b32_e32 v6, s1
	v_mov_b32_e32 v5, v4
	;; [unrolled: 1-line block ×5, first 2 shown]
.LBB201_12:                             ; =>This Inner Loop Header: Depth=1
	v_add_co_u32_e32 v3, vcc, 16, v3
	s_xor_b64 s[12:13], vcc, -1
	s_and_b64 s[12:13], exec, s[12:13]
	ds_write_b32 v1, v6
	ds_write_b64 v2, v[4:5]
	v_add_u32_e32 v2, 0x80, v2
	s_or_b64 s[4:5], s[12:13], s[4:5]
	v_add_u32_e32 v1, 64, v1
	s_andn2_b64 exec, exec, s[4:5]
	s_cbranch_execnz .LBB201_12
; %bb.13:
	s_or_b64 exec, exec, s[4:5]
	s_lshl_b32 s2, s2, 4
	s_and_b32 s2, s2, 0xffffff0
	v_or_b32_e32 v4, s2, v0
	v_cmp_gt_i32_e32 vcc, s0, v4
	s_waitcnt lgkmcnt(0)
	s_and_saveexec_b64 s[2:3], vcc
	s_cbranch_execz .LBB201_53
; %bb.14:
	s_cmp_eq_u64 s[38:39], 0
	s_cbranch_scc1 .LBB201_16
; %bb.15:
	s_load_dword s0, s[36:37], 0x0
	s_waitcnt lgkmcnt(0)
	v_add_u32_e32 v2, s0, v4
	v_ashrrev_i32_e32 v3, 31, v2
	v_lshl_add_u64 v[2:3], v[2:3], 2, s[38:39]
	global_load_dword v4, v[2:3], off
.LBB201_16:
	v_mov_b32_e32 v1, 0x1000
	v_lshl_or_b32 v15, v0, 7, v1
	v_lshlrev_b32_e32 v16, 8, v0
	s_andn2_b64 vcc, exec, s[44:45]
	s_waitcnt vmcnt(0)
	v_ashrrev_i32_e32 v5, 31, v4
	s_cbranch_vccnz .LBB201_34
; %bb.17:
	v_lshl_add_u64 v[0:1], v[4:5], 3, s[16:17]
	global_load_dwordx4 v[0:3], v[0:1], off
	v_subrev_co_u32_e32 v8, vcc, s28, v17
	s_nop 1
	v_subb_co_u32_e64 v9, s[2:3], 0, 0, vcc
	s_waitcnt vmcnt(0)
	v_subrev_co_u32_e32 v6, vcc, s28, v2
	s_nop 1
	v_subbrev_co_u32_e32 v7, vcc, 0, v3, vcc
	v_lshl_add_u64 v[8:9], v[0:1], 0, v[8:9]
	v_cmp_lt_i64_e32 vcc, v[8:9], v[6:7]
	s_and_saveexec_b64 s[2:3], vcc
	s_cbranch_execz .LBB201_33
; %bb.18:
	s_mov_b32 s0, s29
	s_mov_b64 s[4:5], 0
	s_branch .LBB201_20
.LBB201_19:                             ;   in Loop: Header=BB201_20 Depth=1
	s_or_b64 exec, exec, s[12:13]
	v_lshl_add_u64 v[8:9], v[8:9], 0, 16
	v_cmp_ge_i64_e32 vcc, v[8:9], v[6:7]
	s_or_b64 s[4:5], vcc, s[4:5]
	s_andn2_b64 exec, exec, s[4:5]
	s_cbranch_execz .LBB201_33
.LBB201_20:                             ; =>This Loop Header: Depth=1
                                        ;     Child Loop BB201_24 Depth 2
                                        ;       Child Loop BB201_27 Depth 3
	v_lshl_add_u64 v[0:1], v[8:9], 2, s[18:19]
	global_load_dword v0, v[0:1], off
	s_waitcnt vmcnt(0)
	v_subrev_u32_e32 v0, s28, v0
	v_ashrrev_i32_e32 v1, 31, v0
	v_lshl_add_u64 v[0:1], v[0:1], 3, s[22:23]
	global_load_dwordx4 v[0:3], v[0:1], off
	s_waitcnt vmcnt(0)
	v_cmp_lt_i64_e32 vcc, v[0:1], v[2:3]
	s_and_saveexec_b64 s[12:13], vcc
	s_cbranch_execz .LBB201_19
; %bb.21:                               ;   in Loop: Header=BB201_20 Depth=1
	v_lshl_add_u64 v[10:11], v[8:9], 3, s[20:21]
	global_load_dwordx2 v[10:11], v[10:11], off
	v_subrev_co_u32_e32 v2, vcc, s0, v2
	s_mov_b64 s[16:17], 0
	s_nop 0
	v_subbrev_co_u32_e32 v3, vcc, 0, v3, vcc
	v_subrev_co_u32_e32 v0, vcc, s0, v0
	s_waitcnt vmcnt(0)
	v_mul_f32_e64 v18, v11, -s41
	v_mul_f32_e32 v19, s50, v11
	v_subbrev_co_u32_e32 v1, vcc, 0, v1, vcc
	v_fmac_f32_e32 v18, s50, v10
	v_fmac_f32_e32 v19, s41, v10
	s_branch .LBB201_24
.LBB201_22:                             ;   in Loop: Header=BB201_24 Depth=2
	s_or_b64 exec, exec, s[38:39]
.LBB201_23:                             ;   in Loop: Header=BB201_24 Depth=2
	s_or_b64 exec, exec, s[36:37]
	s_waitcnt vmcnt(0)
	v_mul_f32_e64 v21, v11, -v19
	v_mul_f32_e32 v11, v18, v11
	v_fmac_f32_e32 v21, v18, v10
	v_fmac_f32_e32 v11, v19, v10
	v_lshl_add_u32 v10, v20, 3, v16
	ds_add_f32 v10, v21
	ds_add_f32 v10, v11 offset:4
	v_lshl_add_u64 v[0:1], v[0:1], 0, 1
	v_cmp_ge_i64_e32 vcc, v[0:1], v[2:3]
	s_or_b64 s[16:17], vcc, s[16:17]
	s_andn2_b64 exec, exec, s[16:17]
	s_cbranch_execz .LBB201_19
.LBB201_24:                             ;   Parent Loop BB201_20 Depth=1
                                        ; =>  This Loop Header: Depth=2
                                        ;       Child Loop BB201_27 Depth 3
	v_lshl_add_u64 v[10:11], v[0:1], 2, s[8:9]
	global_load_dword v20, v[10:11], off
	v_lshl_add_u64 v[10:11], v[0:1], 3, s[10:11]
	global_load_dwordx2 v[10:11], v[10:11], off
	s_waitcnt vmcnt(1)
	v_subrev_u32_e32 v21, s29, v20
	v_lshl_add_u32 v20, v21, 3, v21
	v_and_b32_e32 v20, 31, v20
	v_lshl_add_u32 v22, v20, 2, v15
	ds_read_b32 v23, v22
	s_waitcnt lgkmcnt(0)
	v_cmp_ne_u32_e32 vcc, v23, v21
	s_and_saveexec_b64 s[36:37], vcc
	s_cbranch_execz .LBB201_23
; %bb.25:                               ;   in Loop: Header=BB201_24 Depth=2
	s_mov_b64 s[38:39], 0
	s_branch .LBB201_27
.LBB201_26:                             ;   in Loop: Header=BB201_27 Depth=3
	s_or_b64 exec, exec, s[48:49]
	s_and_b64 s[44:45], exec, s[46:47]
	s_or_b64 s[38:39], s[44:45], s[38:39]
	s_andn2_b64 exec, exec, s[38:39]
	s_cbranch_execz .LBB201_22
.LBB201_27:                             ;   Parent Loop BB201_20 Depth=1
                                        ;     Parent Loop BB201_24 Depth=2
                                        ; =>    This Inner Loop Header: Depth=3
	v_cmp_ne_u32_e32 vcc, s1, v23
	s_mov_b64 s[44:45], 0
	s_and_saveexec_b64 s[46:47], vcc
	s_xor_b64 s[46:47], exec, s[46:47]
	s_cbranch_execz .LBB201_29
; %bb.28:                               ;   in Loop: Header=BB201_27 Depth=3
	v_add_u32_e32 v20, 1, v20
	s_mov_b64 s[44:45], exec
	v_and_b32_e32 v20, 31, v20
                                        ; implicit-def: $vgpr22
	s_andn2_saveexec_b64 s[46:47], s[46:47]
	s_cbranch_execz .LBB201_31
	s_branch .LBB201_30
.LBB201_29:                             ;   in Loop: Header=BB201_27 Depth=3
	s_andn2_saveexec_b64 s[46:47], s[46:47]
	s_cbranch_execz .LBB201_31
.LBB201_30:                             ;   in Loop: Header=BB201_27 Depth=3
	v_mov_b32_e32 v23, s1
	ds_cmpst_rtn_b32 v22, v22, v23, v21
	s_andn2_b64 s[44:45], s[44:45], exec
	s_waitcnt lgkmcnt(0)
	v_cmp_ne_u32_e32 vcc, s1, v22
	s_and_b64 s[48:49], vcc, exec
	s_or_b64 s[44:45], s[44:45], s[48:49]
.LBB201_31:                             ;   in Loop: Header=BB201_27 Depth=3
	s_or_b64 exec, exec, s[46:47]
	s_mov_b64 s[46:47], -1
                                        ; implicit-def: $vgpr22
                                        ; implicit-def: $vgpr23
	s_and_saveexec_b64 s[48:49], s[44:45]
	s_cbranch_execz .LBB201_26
; %bb.32:                               ;   in Loop: Header=BB201_27 Depth=3
	v_lshl_add_u32 v22, v20, 2, v15
	ds_read_b32 v23, v22
	s_waitcnt lgkmcnt(0)
	v_cmp_eq_u32_e32 vcc, v23, v21
	s_orn2_b64 s[46:47], vcc, exec
	s_branch .LBB201_26
.LBB201_33:
	s_or_b64 exec, exec, s[2:3]
.LBB201_34:
	s_andn2_b64 vcc, exec, s[42:43]
	s_cbranch_vccnz .LBB201_49
; %bb.35:
	v_lshl_add_u64 v[0:1], v[4:5], 3, s[14:15]
	global_load_dwordx4 v[6:9], v[0:1], off
	v_subrev_co_u32_e32 v2, vcc, s31, v17
	s_nop 1
	v_subb_co_u32_e64 v3, s[2:3], 0, 0, vcc
	s_waitcnt vmcnt(0)
	v_subrev_co_u32_e32 v0, vcc, s31, v8
	s_nop 1
	v_subbrev_co_u32_e32 v1, vcc, 0, v9, vcc
	v_lshl_add_u64 v[2:3], v[6:7], 0, v[2:3]
	v_cmp_lt_i64_e32 vcc, v[2:3], v[0:1]
	s_and_saveexec_b64 s[2:3], vcc
	s_cbranch_execz .LBB201_48
; %bb.36:
	s_mov_b64 s[4:5], 0
	s_branch .LBB201_39
.LBB201_37:                             ;   in Loop: Header=BB201_39 Depth=1
	s_or_b64 exec, exec, s[10:11]
.LBB201_38:                             ;   in Loop: Header=BB201_39 Depth=1
	s_or_b64 exec, exec, s[8:9]
	s_waitcnt vmcnt(0)
	v_mul_f32_e64 v9, v7, -s40
	v_mul_f32_e32 v7, s33, v7
	v_fmac_f32_e32 v9, s33, v6
	v_fmac_f32_e32 v7, s40, v6
	v_lshl_add_u32 v6, v8, 3, v16
	ds_add_f32 v6, v9
	ds_add_f32 v6, v7 offset:4
	v_lshl_add_u64 v[2:3], v[2:3], 0, 16
	v_cmp_ge_i64_e32 vcc, v[2:3], v[0:1]
	s_or_b64 s[4:5], vcc, s[4:5]
	s_andn2_b64 exec, exec, s[4:5]
	s_cbranch_execz .LBB201_48
.LBB201_39:                             ; =>This Loop Header: Depth=1
                                        ;     Child Loop BB201_42 Depth 2
	v_lshl_add_u64 v[6:7], v[2:3], 2, s[24:25]
	global_load_dword v8, v[6:7], off
	v_lshl_add_u64 v[6:7], v[2:3], 3, s[26:27]
	global_load_dwordx2 v[6:7], v[6:7], off
	s_waitcnt vmcnt(1)
	v_subrev_u32_e32 v9, s31, v8
	v_lshl_add_u32 v8, v9, 3, v9
	v_and_b32_e32 v8, 31, v8
	v_lshl_add_u32 v10, v8, 2, v15
	ds_read_b32 v11, v10
	s_waitcnt lgkmcnt(0)
	v_cmp_ne_u32_e32 vcc, v11, v9
	s_and_saveexec_b64 s[8:9], vcc
	s_cbranch_execz .LBB201_38
; %bb.40:                               ;   in Loop: Header=BB201_39 Depth=1
	s_mov_b64 s[10:11], 0
	s_branch .LBB201_42
.LBB201_41:                             ;   in Loop: Header=BB201_42 Depth=2
	s_or_b64 exec, exec, s[16:17]
	s_and_b64 s[12:13], exec, s[14:15]
	s_or_b64 s[10:11], s[12:13], s[10:11]
	s_andn2_b64 exec, exec, s[10:11]
	s_cbranch_execz .LBB201_37
.LBB201_42:                             ;   Parent Loop BB201_39 Depth=1
                                        ; =>  This Inner Loop Header: Depth=2
	v_cmp_ne_u32_e32 vcc, s1, v11
	s_mov_b64 s[12:13], 0
	s_and_saveexec_b64 s[14:15], vcc
	s_xor_b64 s[14:15], exec, s[14:15]
	s_cbranch_execz .LBB201_44
; %bb.43:                               ;   in Loop: Header=BB201_42 Depth=2
	v_add_u32_e32 v8, 1, v8
	s_mov_b64 s[12:13], exec
	v_and_b32_e32 v8, 31, v8
                                        ; implicit-def: $vgpr10
	s_andn2_saveexec_b64 s[14:15], s[14:15]
	s_cbranch_execz .LBB201_46
	s_branch .LBB201_45
.LBB201_44:                             ;   in Loop: Header=BB201_42 Depth=2
	s_andn2_saveexec_b64 s[14:15], s[14:15]
	s_cbranch_execz .LBB201_46
.LBB201_45:                             ;   in Loop: Header=BB201_42 Depth=2
	v_mov_b32_e32 v11, s1
	ds_cmpst_rtn_b32 v10, v10, v11, v9
	s_andn2_b64 s[12:13], s[12:13], exec
	s_waitcnt lgkmcnt(0)
	v_cmp_ne_u32_e32 vcc, s1, v10
	s_and_b64 s[16:17], vcc, exec
	s_or_b64 s[12:13], s[12:13], s[16:17]
.LBB201_46:                             ;   in Loop: Header=BB201_42 Depth=2
	s_or_b64 exec, exec, s[14:15]
	s_mov_b64 s[14:15], -1
                                        ; implicit-def: $vgpr10
                                        ; implicit-def: $vgpr11
	s_and_saveexec_b64 s[16:17], s[12:13]
	s_cbranch_execz .LBB201_41
; %bb.47:                               ;   in Loop: Header=BB201_42 Depth=2
	v_lshl_add_u32 v10, v8, 2, v15
	ds_read_b32 v11, v10
	s_waitcnt lgkmcnt(0)
	v_cmp_eq_u32_e32 vcc, v11, v9
	s_orn2_b64 s[14:15], vcc, exec
	s_branch .LBB201_41
.LBB201_48:
	s_or_b64 exec, exec, s[2:3]
.LBB201_49:
	v_lshl_add_u64 v[0:1], v[4:5], 3, s[6:7]
	s_waitcnt lgkmcnt(0)
	global_load_dwordx2 v[0:1], v[0:1], off
	s_mov_b64 s[2:3], 0
	v_mov_b32_e32 v3, 0
	s_waitcnt vmcnt(0)
	v_subrev_co_u32_e32 v0, vcc, s30, v0
	s_nop 1
	v_subbrev_co_u32_e32 v1, vcc, 0, v1, vcc
	v_lshl_add_u64 v[0:1], v[0:1], 3, s[34:35]
	s_branch .LBB201_51
.LBB201_50:                             ;   in Loop: Header=BB201_51 Depth=1
	s_or_b64 exec, exec, s[4:5]
	v_add_co_u32_e32 v12, vcc, 16, v12
	s_xor_b64 s[4:5], vcc, -1
	s_and_b64 s[4:5], exec, s[4:5]
	v_add_u32_e32 v13, 0x80, v13
	s_or_b64 s[2:3], s[4:5], s[2:3]
	v_add_u32_e32 v14, 64, v14
	s_andn2_b64 exec, exec, s[2:3]
	s_cbranch_execz .LBB201_53
.LBB201_51:                             ; =>This Inner Loop Header: Depth=1
	ds_read_b32 v4, v14
	s_waitcnt lgkmcnt(0)
	v_cmp_gt_i32_e32 vcc, s1, v4
	s_and_saveexec_b64 s[4:5], vcc
	s_cbranch_execz .LBB201_50
; %bb.52:                               ;   in Loop: Header=BB201_51 Depth=1
	ds_read_b128 v[6:9], v15
	ds_read_b128 v[16:19], v15 offset:16
	ds_read_b128 v[20:23], v15 offset:32
	;; [unrolled: 1-line block ×7, first 2 shown]
	s_waitcnt lgkmcnt(7)
	v_cmp_gt_i32_e32 vcc, v4, v6
	s_nop 1
	v_cndmask_b32_e64 v2, 0, 1, vcc
	v_lshlrev_b32_e32 v2, 3, v2
	v_cmp_gt_i32_e32 vcc, v4, v7
	v_lshl_add_u64 v[10:11], v[0:1], 0, v[2:3]
	s_nop 0
	v_cndmask_b32_e64 v2, 0, 1, vcc
	v_lshlrev_b32_e32 v2, 3, v2
	v_cmp_gt_i32_e32 vcc, v4, v8
	v_lshl_add_u64 v[6:7], v[10:11], 0, v[2:3]
	;; [unrolled: 5-line block ×3, first 2 shown]
	ds_read_b64 v[8:9], v13
	v_cndmask_b32_e64 v2, 0, 1, vcc
	v_lshlrev_b32_e32 v2, 3, v2
	s_waitcnt lgkmcnt(7)
	v_cmp_gt_i32_e32 vcc, v4, v16
	v_lshl_add_u64 v[6:7], v[6:7], 0, v[2:3]
	s_nop 0
	v_cndmask_b32_e64 v2, 0, 1, vcc
	v_lshlrev_b32_e32 v2, 3, v2
	v_cmp_gt_i32_e32 vcc, v4, v17
	v_lshl_add_u64 v[6:7], v[6:7], 0, v[2:3]
	s_nop 0
	v_cndmask_b32_e64 v2, 0, 1, vcc
	v_lshlrev_b32_e32 v2, 3, v2
	v_cmp_gt_i32_e32 vcc, v4, v18
	v_lshl_add_u64 v[6:7], v[6:7], 0, v[2:3]
	s_nop 0
	v_cndmask_b32_e64 v2, 0, 1, vcc
	v_lshlrev_b32_e32 v2, 3, v2
	v_cmp_gt_i32_e32 vcc, v4, v19
	v_lshl_add_u64 v[6:7], v[6:7], 0, v[2:3]
	s_nop 0
	v_cndmask_b32_e64 v2, 0, 1, vcc
	v_lshlrev_b32_e32 v2, 3, v2
	s_waitcnt lgkmcnt(6)
	v_cmp_gt_i32_e32 vcc, v4, v20
	v_lshl_add_u64 v[6:7], v[6:7], 0, v[2:3]
	s_nop 0
	v_cndmask_b32_e64 v2, 0, 1, vcc
	v_lshlrev_b32_e32 v2, 3, v2
	v_cmp_gt_i32_e32 vcc, v4, v21
	v_lshl_add_u64 v[6:7], v[6:7], 0, v[2:3]
	s_nop 0
	v_cndmask_b32_e64 v2, 0, 1, vcc
	v_lshlrev_b32_e32 v2, 3, v2
	v_cmp_gt_i32_e32 vcc, v4, v22
	v_lshl_add_u64 v[6:7], v[6:7], 0, v[2:3]
	s_nop 0
	v_cndmask_b32_e64 v2, 0, 1, vcc
	v_lshlrev_b32_e32 v2, 3, v2
	v_cmp_gt_i32_e32 vcc, v4, v23
	v_lshl_add_u64 v[6:7], v[6:7], 0, v[2:3]
	s_nop 0
	;; [unrolled: 21-line block ×7, first 2 shown]
	v_cndmask_b32_e64 v2, 0, 1, vcc
	v_lshlrev_b32_e32 v2, 3, v2
	v_lshl_add_u64 v[4:5], v[6:7], 0, v[2:3]
	s_waitcnt lgkmcnt(0)
	global_store_dwordx2 v[4:5], v[8:9], off
	s_branch .LBB201_50
.LBB201_53:
	s_endpgm
	.section	.rodata,"a",@progbits
	.p2align	6, 0x0
	.amdhsa_kernel _ZN9rocsparseL38csrgemm_numeric_fill_wf_per_row_kernelILj256ELj16ELj32ELj137Eli21rocsparse_complex_numIfEEEvT4_S3_PKS3_S5_NS_24const_host_device_scalarIT5_EEPKT3_S5_PKS7_SB_S5_SD_S8_SB_S5_SD_SB_S5_PS7_21rocsparse_index_base_SF_SF_SF_bbb
		.amdhsa_group_segment_fixed_size 6144
		.amdhsa_private_segment_fixed_size 0
		.amdhsa_kernarg_size 156
		.amdhsa_user_sgpr_count 2
		.amdhsa_user_sgpr_dispatch_ptr 0
		.amdhsa_user_sgpr_queue_ptr 0
		.amdhsa_user_sgpr_kernarg_segment_ptr 1
		.amdhsa_user_sgpr_dispatch_id 0
		.amdhsa_user_sgpr_kernarg_preload_length 0
		.amdhsa_user_sgpr_kernarg_preload_offset 0
		.amdhsa_user_sgpr_private_segment_size 0
		.amdhsa_uses_dynamic_stack 0
		.amdhsa_enable_private_segment 0
		.amdhsa_system_sgpr_workgroup_id_x 1
		.amdhsa_system_sgpr_workgroup_id_y 0
		.amdhsa_system_sgpr_workgroup_id_z 0
		.amdhsa_system_sgpr_workgroup_info 0
		.amdhsa_system_vgpr_workitem_id 0
		.amdhsa_next_free_vgpr 44
		.amdhsa_next_free_sgpr 51
		.amdhsa_accum_offset 44
		.amdhsa_reserve_vcc 1
		.amdhsa_float_round_mode_32 0
		.amdhsa_float_round_mode_16_64 0
		.amdhsa_float_denorm_mode_32 3
		.amdhsa_float_denorm_mode_16_64 3
		.amdhsa_dx10_clamp 1
		.amdhsa_ieee_mode 1
		.amdhsa_fp16_overflow 0
		.amdhsa_tg_split 0
		.amdhsa_exception_fp_ieee_invalid_op 0
		.amdhsa_exception_fp_denorm_src 0
		.amdhsa_exception_fp_ieee_div_zero 0
		.amdhsa_exception_fp_ieee_overflow 0
		.amdhsa_exception_fp_ieee_underflow 0
		.amdhsa_exception_fp_ieee_inexact 0
		.amdhsa_exception_int_div_zero 0
	.end_amdhsa_kernel
	.section	.text._ZN9rocsparseL38csrgemm_numeric_fill_wf_per_row_kernelILj256ELj16ELj32ELj137Eli21rocsparse_complex_numIfEEEvT4_S3_PKS3_S5_NS_24const_host_device_scalarIT5_EEPKT3_S5_PKS7_SB_S5_SD_S8_SB_S5_SD_SB_S5_PS7_21rocsparse_index_base_SF_SF_SF_bbb,"axG",@progbits,_ZN9rocsparseL38csrgemm_numeric_fill_wf_per_row_kernelILj256ELj16ELj32ELj137Eli21rocsparse_complex_numIfEEEvT4_S3_PKS3_S5_NS_24const_host_device_scalarIT5_EEPKT3_S5_PKS7_SB_S5_SD_S8_SB_S5_SD_SB_S5_PS7_21rocsparse_index_base_SF_SF_SF_bbb,comdat
.Lfunc_end201:
	.size	_ZN9rocsparseL38csrgemm_numeric_fill_wf_per_row_kernelILj256ELj16ELj32ELj137Eli21rocsparse_complex_numIfEEEvT4_S3_PKS3_S5_NS_24const_host_device_scalarIT5_EEPKT3_S5_PKS7_SB_S5_SD_S8_SB_S5_SD_SB_S5_PS7_21rocsparse_index_base_SF_SF_SF_bbb, .Lfunc_end201-_ZN9rocsparseL38csrgemm_numeric_fill_wf_per_row_kernelILj256ELj16ELj32ELj137Eli21rocsparse_complex_numIfEEEvT4_S3_PKS3_S5_NS_24const_host_device_scalarIT5_EEPKT3_S5_PKS7_SB_S5_SD_S8_SB_S5_SD_SB_S5_PS7_21rocsparse_index_base_SF_SF_SF_bbb
                                        ; -- End function
	.set _ZN9rocsparseL38csrgemm_numeric_fill_wf_per_row_kernelILj256ELj16ELj32ELj137Eli21rocsparse_complex_numIfEEEvT4_S3_PKS3_S5_NS_24const_host_device_scalarIT5_EEPKT3_S5_PKS7_SB_S5_SD_S8_SB_S5_SD_SB_S5_PS7_21rocsparse_index_base_SF_SF_SF_bbb.num_vgpr, 44
	.set _ZN9rocsparseL38csrgemm_numeric_fill_wf_per_row_kernelILj256ELj16ELj32ELj137Eli21rocsparse_complex_numIfEEEvT4_S3_PKS3_S5_NS_24const_host_device_scalarIT5_EEPKT3_S5_PKS7_SB_S5_SD_S8_SB_S5_SD_SB_S5_PS7_21rocsparse_index_base_SF_SF_SF_bbb.num_agpr, 0
	.set _ZN9rocsparseL38csrgemm_numeric_fill_wf_per_row_kernelILj256ELj16ELj32ELj137Eli21rocsparse_complex_numIfEEEvT4_S3_PKS3_S5_NS_24const_host_device_scalarIT5_EEPKT3_S5_PKS7_SB_S5_SD_S8_SB_S5_SD_SB_S5_PS7_21rocsparse_index_base_SF_SF_SF_bbb.numbered_sgpr, 51
	.set _ZN9rocsparseL38csrgemm_numeric_fill_wf_per_row_kernelILj256ELj16ELj32ELj137Eli21rocsparse_complex_numIfEEEvT4_S3_PKS3_S5_NS_24const_host_device_scalarIT5_EEPKT3_S5_PKS7_SB_S5_SD_S8_SB_S5_SD_SB_S5_PS7_21rocsparse_index_base_SF_SF_SF_bbb.num_named_barrier, 0
	.set _ZN9rocsparseL38csrgemm_numeric_fill_wf_per_row_kernelILj256ELj16ELj32ELj137Eli21rocsparse_complex_numIfEEEvT4_S3_PKS3_S5_NS_24const_host_device_scalarIT5_EEPKT3_S5_PKS7_SB_S5_SD_S8_SB_S5_SD_SB_S5_PS7_21rocsparse_index_base_SF_SF_SF_bbb.private_seg_size, 0
	.set _ZN9rocsparseL38csrgemm_numeric_fill_wf_per_row_kernelILj256ELj16ELj32ELj137Eli21rocsparse_complex_numIfEEEvT4_S3_PKS3_S5_NS_24const_host_device_scalarIT5_EEPKT3_S5_PKS7_SB_S5_SD_S8_SB_S5_SD_SB_S5_PS7_21rocsparse_index_base_SF_SF_SF_bbb.uses_vcc, 1
	.set _ZN9rocsparseL38csrgemm_numeric_fill_wf_per_row_kernelILj256ELj16ELj32ELj137Eli21rocsparse_complex_numIfEEEvT4_S3_PKS3_S5_NS_24const_host_device_scalarIT5_EEPKT3_S5_PKS7_SB_S5_SD_S8_SB_S5_SD_SB_S5_PS7_21rocsparse_index_base_SF_SF_SF_bbb.uses_flat_scratch, 0
	.set _ZN9rocsparseL38csrgemm_numeric_fill_wf_per_row_kernelILj256ELj16ELj32ELj137Eli21rocsparse_complex_numIfEEEvT4_S3_PKS3_S5_NS_24const_host_device_scalarIT5_EEPKT3_S5_PKS7_SB_S5_SD_S8_SB_S5_SD_SB_S5_PS7_21rocsparse_index_base_SF_SF_SF_bbb.has_dyn_sized_stack, 0
	.set _ZN9rocsparseL38csrgemm_numeric_fill_wf_per_row_kernelILj256ELj16ELj32ELj137Eli21rocsparse_complex_numIfEEEvT4_S3_PKS3_S5_NS_24const_host_device_scalarIT5_EEPKT3_S5_PKS7_SB_S5_SD_S8_SB_S5_SD_SB_S5_PS7_21rocsparse_index_base_SF_SF_SF_bbb.has_recursion, 0
	.set _ZN9rocsparseL38csrgemm_numeric_fill_wf_per_row_kernelILj256ELj16ELj32ELj137Eli21rocsparse_complex_numIfEEEvT4_S3_PKS3_S5_NS_24const_host_device_scalarIT5_EEPKT3_S5_PKS7_SB_S5_SD_S8_SB_S5_SD_SB_S5_PS7_21rocsparse_index_base_SF_SF_SF_bbb.has_indirect_call, 0
	.section	.AMDGPU.csdata,"",@progbits
; Kernel info:
; codeLenInByte = 2608
; TotalNumSgprs: 57
; NumVgprs: 44
; NumAgprs: 0
; TotalNumVgprs: 44
; ScratchSize: 0
; MemoryBound: 0
; FloatMode: 240
; IeeeMode: 1
; LDSByteSize: 6144 bytes/workgroup (compile time only)
; SGPRBlocks: 7
; VGPRBlocks: 5
; NumSGPRsForWavesPerEU: 57
; NumVGPRsForWavesPerEU: 44
; AccumOffset: 44
; Occupancy: 8
; WaveLimiterHint : 1
; COMPUTE_PGM_RSRC2:SCRATCH_EN: 0
; COMPUTE_PGM_RSRC2:USER_SGPR: 2
; COMPUTE_PGM_RSRC2:TRAP_HANDLER: 0
; COMPUTE_PGM_RSRC2:TGID_X_EN: 1
; COMPUTE_PGM_RSRC2:TGID_Y_EN: 0
; COMPUTE_PGM_RSRC2:TGID_Z_EN: 0
; COMPUTE_PGM_RSRC2:TIDIG_COMP_CNT: 0
; COMPUTE_PGM_RSRC3_GFX90A:ACCUM_OFFSET: 10
; COMPUTE_PGM_RSRC3_GFX90A:TG_SPLIT: 0
	.section	.text._ZN9rocsparseL41csrgemm_numeric_fill_block_per_row_kernelILj128ELj16ELj256ELj137ELj32Eli21rocsparse_complex_numIfEEEvT5_PKS3_S5_NS_24const_host_device_scalarIT6_EEPKT4_S5_PKS7_SB_S5_SD_S8_SB_S5_SD_SB_S5_PS7_21rocsparse_index_base_SF_SF_SF_bbb,"axG",@progbits,_ZN9rocsparseL41csrgemm_numeric_fill_block_per_row_kernelILj128ELj16ELj256ELj137ELj32Eli21rocsparse_complex_numIfEEEvT5_PKS3_S5_NS_24const_host_device_scalarIT6_EEPKT4_S5_PKS7_SB_S5_SD_S8_SB_S5_SD_SB_S5_PS7_21rocsparse_index_base_SF_SF_SF_bbb,comdat
	.globl	_ZN9rocsparseL41csrgemm_numeric_fill_block_per_row_kernelILj128ELj16ELj256ELj137ELj32Eli21rocsparse_complex_numIfEEEvT5_PKS3_S5_NS_24const_host_device_scalarIT6_EEPKT4_S5_PKS7_SB_S5_SD_S8_SB_S5_SD_SB_S5_PS7_21rocsparse_index_base_SF_SF_SF_bbb ; -- Begin function _ZN9rocsparseL41csrgemm_numeric_fill_block_per_row_kernelILj128ELj16ELj256ELj137ELj32Eli21rocsparse_complex_numIfEEEvT5_PKS3_S5_NS_24const_host_device_scalarIT6_EEPKT4_S5_PKS7_SB_S5_SD_S8_SB_S5_SD_SB_S5_PS7_21rocsparse_index_base_SF_SF_SF_bbb
	.p2align	8
	.type	_ZN9rocsparseL41csrgemm_numeric_fill_block_per_row_kernelILj128ELj16ELj256ELj137ELj32Eli21rocsparse_complex_numIfEEEvT5_PKS3_S5_NS_24const_host_device_scalarIT6_EEPKT4_S5_PKS7_SB_S5_SD_S8_SB_S5_SD_SB_S5_PS7_21rocsparse_index_base_SF_SF_SF_bbb,@function
_ZN9rocsparseL41csrgemm_numeric_fill_block_per_row_kernelILj128ELj16ELj256ELj137ELj32Eli21rocsparse_complex_numIfEEEvT5_PKS3_S5_NS_24const_host_device_scalarIT6_EEPKT4_S5_PKS7_SB_S5_SD_S8_SB_S5_SD_SB_S5_PS7_21rocsparse_index_base_SF_SF_SF_bbb: ; @_ZN9rocsparseL41csrgemm_numeric_fill_block_per_row_kernelILj128ELj16ELj256ELj137ELj32Eli21rocsparse_complex_numIfEEEvT5_PKS3_S5_NS_24const_host_device_scalarIT6_EEPKT4_S5_PKS7_SB_S5_SD_S8_SB_S5_SD_SB_S5_PS7_21rocsparse_index_base_SF_SF_SF_bbb
; %bb.0:
	s_load_dwordx2 s[40:41], s[0:1], 0x70
	s_load_dwordx4 s[28:31], s[0:1], 0x60
	s_load_dwordx8 s[8:15], s[0:1], 0x40
	s_load_dword s3, s[0:1], 0x98
	s_load_dwordx4 s[36:39], s[0:1], 0x8
	s_load_dwordx8 s[16:23], s[0:1], 0x20
	s_load_dwordx2 s[34:35], s[0:1], 0x80
	s_load_dwordx4 s[24:27], s[0:1], 0x88
	s_waitcnt lgkmcnt(0)
	s_bitcmp1_b32 s3, 0
	s_cselect_b64 s[44:45], -1, 0
	s_bitcmp1_b32 s3, 16
	s_cselect_b64 s[4:5], -1, 0
	s_xor_b64 s[4:5], s[4:5], -1
	v_cndmask_b32_e64 v1, 0, 1, s[4:5]
	s_mov_b32 s7, 0
	s_bitcmp0_b32 s3, 0
	v_cmp_ne_u32_e64 s[4:5], 1, v1
	s_mov_b32 s56, 0
	s_cbranch_scc1 .LBB202_5
; %bb.1:
	s_load_dwordx2 s[6:7], s[0:1], 0x18
	s_and_b64 vcc, exec, s[4:5]
	s_waitcnt lgkmcnt(0)
	s_mov_b32 s56, s6
	s_cbranch_vccnz .LBB202_3
; %bb.2:
	s_load_dword s56, s[6:7], 0x0
.LBB202_3:
	s_and_b64 vcc, exec, s[4:5]
	s_cbranch_vccnz .LBB202_5
; %bb.4:
	s_load_dword s7, s[6:7], 0x4
.LBB202_5:
	s_bitcmp1_b32 s3, 8
	s_cselect_b64 s[42:43], -1, 0
	s_bfe_u32 s3, s3, 0x10008
	s_mov_b32 s54, 0
	s_cmp_eq_u32 s3, 0
	s_mov_b32 s55, 0
	s_cbranch_scc1 .LBB202_11
; %bb.6:
	s_and_b64 vcc, exec, s[4:5]
	s_mov_b32 s54, s12
	s_cbranch_vccnz .LBB202_8
; %bb.7:
	s_load_dword s54, s[12:13], 0x0
.LBB202_8:
	s_and_b64 vcc, exec, s[4:5]
	s_cbranch_vccnz .LBB202_10
; %bb.9:
	s_load_dword s13, s[12:13], 0x4
.LBB202_10:
	s_waitcnt lgkmcnt(0)
	s_mov_b32 s55, s13
.LBB202_11:
	s_load_dword s33, s[0:1], 0x0
	s_movk_i32 s0, 0x100
	v_cmp_gt_u32_e64 s[0:1], s0, v0
	v_lshl_add_u32 v12, v0, 3, 0
	v_lshl_add_u32 v1, v0, 2, 0
	s_and_saveexec_b64 s[4:5], s[0:1]
	s_cbranch_execz .LBB202_14
; %bb.12:
	v_add_u32_e32 v2, 0x400, v12
	v_or_b32_e32 v3, 0xffffff80, v0
	v_lshl_add_u32 v4, v0, 2, 0
	s_mov_b64 s[12:13], 0
	s_waitcnt lgkmcnt(0)
	v_mov_b32_e32 v6, s33
	v_mov_b32_e32 v5, 0
.LBB202_13:                             ; =>This Inner Loop Header: Depth=1
	v_add_co_u32_e32 v3, vcc, 0x80, v3
	s_xor_b64 s[46:47], vcc, -1
	s_and_b64 s[46:47], exec, s[46:47]
	ds_write_b32 v4, v6
	ds_write2_b32 v2, v5, v5 offset1:1
	v_add_u32_e32 v2, 0x400, v2
	s_or_b64 s[12:13], s[46:47], s[12:13]
	v_add_u32_e32 v4, 0x200, v4
	s_andn2_b64 exec, exec, s[12:13]
	s_cbranch_execnz .LBB202_13
.LBB202_14:
	s_or_b64 exec, exec, s[4:5]
	s_waitcnt lgkmcnt(0)
	s_barrier
	s_load_dword s3, s[36:37], 0x0
	s_waitcnt lgkmcnt(0)
	s_add_i32 s2, s3, s2
	s_mov_b32 s3, 0
	s_lshl_b64 s[2:3], s[2:3], 2
	s_add_u32 s2, s38, s2
	s_addc_u32 s3, s39, s3
	s_load_dword s12, s[2:3], 0x0
	s_and_b64 vcc, exec, s[44:45]
	s_cbranch_vccz .LBB202_32
; %bb.15:
	s_waitcnt lgkmcnt(0)
	s_ashr_i32 s13, s12, 31
	s_lshl_b64 s[2:3], s[12:13], 3
	s_add_u32 s2, s16, s2
	s_addc_u32 s3, s17, s3
	s_load_dwordx4 s[36:39], s[2:3], 0x0
	v_lshrrev_b32_e32 v2, 4, v0
	v_subrev_co_u32_e32 v2, vcc, s24, v2
	s_waitcnt lgkmcnt(0)
	s_sub_u32 s2, s38, s24
	v_subb_co_u32_e64 v3, s[4:5], 0, 0, vcc
	s_subb_u32 s3, s39, 0
	v_lshl_add_u64 v[2:3], s[36:37], 0, v[2:3]
	v_cmp_gt_i64_e32 vcc, s[2:3], v[2:3]
	s_and_saveexec_b64 s[4:5], vcc
	s_cbranch_execz .LBB202_31
; %bb.16:
	v_and_b32_e32 v4, 15, v0
	v_subrev_co_u32_e32 v4, vcc, s25, v4
	s_mov_b32 s6, s25
	s_nop 0
	v_subb_co_u32_e64 v5, s[16:17], 0, 0, vcc
	s_mov_b64 s[16:17], 0
	s_movk_i32 s13, 0x89
	s_branch .LBB202_18
.LBB202_17:                             ;   in Loop: Header=BB202_18 Depth=1
	s_or_b64 exec, exec, s[36:37]
	v_lshl_add_u64 v[2:3], v[2:3], 0, 8
	v_cmp_le_i64_e32 vcc, s[2:3], v[2:3]
	s_or_b64 s[16:17], vcc, s[16:17]
	s_andn2_b64 exec, exec, s[16:17]
	s_cbranch_execz .LBB202_31
.LBB202_18:                             ; =>This Loop Header: Depth=1
                                        ;     Child Loop BB202_22 Depth 2
                                        ;       Child Loop BB202_25 Depth 3
	v_lshl_add_u64 v[6:7], v[2:3], 2, s[18:19]
	global_load_dword v6, v[6:7], off
	s_waitcnt vmcnt(0)
	v_subrev_u32_e32 v6, s24, v6
	v_ashrrev_i32_e32 v7, 31, v6
	v_lshl_add_u64 v[6:7], v[6:7], 3, s[22:23]
	global_load_dwordx4 v[8:11], v[6:7], off
	s_waitcnt vmcnt(0)
	v_subrev_co_u32_e32 v6, vcc, s6, v10
	s_nop 1
	v_subbrev_co_u32_e32 v7, vcc, 0, v11, vcc
	v_lshl_add_u64 v[8:9], v[8:9], 0, v[4:5]
	v_cmp_lt_i64_e32 vcc, v[8:9], v[6:7]
	s_and_saveexec_b64 s[36:37], vcc
	s_cbranch_execz .LBB202_17
; %bb.19:                               ;   in Loop: Header=BB202_18 Depth=1
	v_lshl_add_u64 v[10:11], v[2:3], 3, s[20:21]
	global_load_dwordx2 v[10:11], v[10:11], off
	s_mov_b64 s[38:39], 0
	s_waitcnt vmcnt(0)
	v_mul_f32_e64 v13, v11, -s7
	v_mul_f32_e32 v14, s56, v11
	v_fmac_f32_e32 v13, s56, v10
	v_fmac_f32_e32 v14, s7, v10
	s_branch .LBB202_22
.LBB202_20:                             ;   in Loop: Header=BB202_22 Depth=2
	s_or_b64 exec, exec, s[46:47]
.LBB202_21:                             ;   in Loop: Header=BB202_22 Depth=2
	s_or_b64 exec, exec, s[44:45]
	s_waitcnt vmcnt(0)
	v_mul_f32_e64 v16, v11, -v14
	v_mul_f32_e32 v11, v13, v11
	v_fmac_f32_e32 v16, v13, v10
	v_fmac_f32_e32 v11, v14, v10
	v_lshl_add_u32 v10, v15, 3, 0
	ds_add_f32 v10, v16 offset:1024
	ds_add_f32 v10, v11 offset:1028
	v_lshl_add_u64 v[8:9], v[8:9], 0, 16
	v_cmp_ge_i64_e32 vcc, v[8:9], v[6:7]
	s_or_b64 s[38:39], vcc, s[38:39]
	s_andn2_b64 exec, exec, s[38:39]
	s_cbranch_execz .LBB202_17
.LBB202_22:                             ;   Parent Loop BB202_18 Depth=1
                                        ; =>  This Loop Header: Depth=2
                                        ;       Child Loop BB202_25 Depth 3
	v_lshl_add_u64 v[10:11], v[8:9], 2, s[8:9]
	global_load_dword v15, v[10:11], off
	v_lshl_add_u64 v[10:11], v[8:9], 3, s[10:11]
	global_load_dwordx2 v[10:11], v[10:11], off
	s_waitcnt vmcnt(1)
	v_subrev_u32_e32 v16, s25, v15
	v_mul_lo_u32 v15, v16, s13
	v_and_b32_e32 v15, 0xff, v15
	v_lshl_add_u32 v17, v15, 2, 0
	ds_read_b32 v18, v17
	s_waitcnt lgkmcnt(0)
	v_cmp_ne_u32_e32 vcc, v18, v16
	s_and_saveexec_b64 s[44:45], vcc
	s_cbranch_execz .LBB202_21
; %bb.23:                               ;   in Loop: Header=BB202_22 Depth=2
	s_mov_b64 s[46:47], 0
	s_branch .LBB202_25
.LBB202_24:                             ;   in Loop: Header=BB202_25 Depth=3
	s_or_b64 exec, exec, s[52:53]
	s_and_b64 s[48:49], exec, s[50:51]
	s_or_b64 s[46:47], s[48:49], s[46:47]
	s_andn2_b64 exec, exec, s[46:47]
	s_cbranch_execz .LBB202_20
.LBB202_25:                             ;   Parent Loop BB202_18 Depth=1
                                        ;     Parent Loop BB202_22 Depth=2
                                        ; =>    This Inner Loop Header: Depth=3
	v_cmp_ne_u32_e32 vcc, s33, v18
	s_mov_b64 s[48:49], 0
	s_and_saveexec_b64 s[50:51], vcc
	s_xor_b64 s[50:51], exec, s[50:51]
	s_cbranch_execz .LBB202_27
; %bb.26:                               ;   in Loop: Header=BB202_25 Depth=3
	v_add_u32_e32 v15, 1, v15
	s_mov_b64 s[48:49], exec
	v_and_b32_e32 v15, 0xff, v15
                                        ; implicit-def: $vgpr17
	s_andn2_saveexec_b64 s[50:51], s[50:51]
	s_cbranch_execz .LBB202_29
	s_branch .LBB202_28
.LBB202_27:                             ;   in Loop: Header=BB202_25 Depth=3
	s_andn2_saveexec_b64 s[50:51], s[50:51]
	s_cbranch_execz .LBB202_29
.LBB202_28:                             ;   in Loop: Header=BB202_25 Depth=3
	v_mov_b32_e32 v18, s33
	ds_cmpst_rtn_b32 v17, v17, v18, v16
	s_andn2_b64 s[48:49], s[48:49], exec
	s_waitcnt lgkmcnt(0)
	v_cmp_ne_u32_e32 vcc, s33, v17
	s_and_b64 s[52:53], vcc, exec
	s_or_b64 s[48:49], s[48:49], s[52:53]
.LBB202_29:                             ;   in Loop: Header=BB202_25 Depth=3
	s_or_b64 exec, exec, s[50:51]
	s_mov_b64 s[50:51], -1
                                        ; implicit-def: $vgpr17
                                        ; implicit-def: $vgpr18
	s_and_saveexec_b64 s[52:53], s[48:49]
	s_cbranch_execz .LBB202_24
; %bb.30:                               ;   in Loop: Header=BB202_25 Depth=3
	v_lshl_add_u32 v17, v15, 2, 0
	ds_read_b32 v18, v17
	s_waitcnt lgkmcnt(0)
	v_cmp_eq_u32_e32 vcc, v18, v16
	s_orn2_b64 s[50:51], vcc, exec
	s_branch .LBB202_24
.LBB202_31:
	s_or_b64 exec, exec, s[4:5]
.LBB202_32:
	s_andn2_b64 vcc, exec, s[42:43]
	s_cbranch_vccnz .LBB202_47
; %bb.33:
	s_waitcnt lgkmcnt(0)
	s_ashr_i32 s13, s12, 31
	s_lshl_b64 s[2:3], s[12:13], 3
	s_add_u32 s2, s14, s2
	s_addc_u32 s3, s15, s3
	s_load_dwordx4 s[4:7], s[2:3], 0x0
	v_subrev_co_u32_e32 v2, vcc, s27, v0
	s_nop 1
	v_subb_co_u32_e64 v3, s[2:3], 0, 0, vcc
	s_waitcnt lgkmcnt(0)
	s_sub_u32 s2, s6, s27
	s_subb_u32 s3, s7, 0
	v_lshl_add_u64 v[2:3], s[4:5], 0, v[2:3]
	v_cmp_gt_i64_e32 vcc, s[2:3], v[2:3]
	s_and_saveexec_b64 s[4:5], vcc
	s_cbranch_execz .LBB202_46
; %bb.34:
	s_mov_b64 s[6:7], 0
	s_movk_i32 s13, 0x89
	s_mov_b64 s[8:9], 0x80
	s_branch .LBB202_37
.LBB202_35:                             ;   in Loop: Header=BB202_37 Depth=1
	s_or_b64 exec, exec, s[14:15]
.LBB202_36:                             ;   in Loop: Header=BB202_37 Depth=1
	s_or_b64 exec, exec, s[10:11]
	s_waitcnt vmcnt(0)
	v_mul_f32_e64 v7, v5, -s55
	v_mul_f32_e32 v5, s54, v5
	v_fmac_f32_e32 v7, s54, v4
	v_fmac_f32_e32 v5, s55, v4
	v_lshl_add_u32 v4, v6, 3, 0
	ds_add_f32 v4, v7 offset:1024
	ds_add_f32 v4, v5 offset:1028
	v_lshl_add_u64 v[2:3], v[2:3], 0, s[8:9]
	v_cmp_le_i64_e32 vcc, s[2:3], v[2:3]
	s_or_b64 s[6:7], vcc, s[6:7]
	s_andn2_b64 exec, exec, s[6:7]
	s_cbranch_execz .LBB202_46
.LBB202_37:                             ; =>This Loop Header: Depth=1
                                        ;     Child Loop BB202_40 Depth 2
	v_lshl_add_u64 v[4:5], v[2:3], 2, s[28:29]
	global_load_dword v6, v[4:5], off
	v_lshl_add_u64 v[4:5], v[2:3], 3, s[30:31]
	global_load_dwordx2 v[4:5], v[4:5], off
	s_waitcnt vmcnt(1)
	v_subrev_u32_e32 v7, s27, v6
	v_mul_lo_u32 v6, v7, s13
	v_and_b32_e32 v6, 0xff, v6
	v_lshl_add_u32 v8, v6, 2, 0
	ds_read_b32 v9, v8
	s_waitcnt lgkmcnt(0)
	v_cmp_ne_u32_e32 vcc, v9, v7
	s_and_saveexec_b64 s[10:11], vcc
	s_cbranch_execz .LBB202_36
; %bb.38:                               ;   in Loop: Header=BB202_37 Depth=1
	s_mov_b64 s[14:15], 0
	s_branch .LBB202_40
.LBB202_39:                             ;   in Loop: Header=BB202_40 Depth=2
	s_or_b64 exec, exec, s[20:21]
	s_and_b64 s[16:17], exec, s[18:19]
	s_or_b64 s[14:15], s[16:17], s[14:15]
	s_andn2_b64 exec, exec, s[14:15]
	s_cbranch_execz .LBB202_35
.LBB202_40:                             ;   Parent Loop BB202_37 Depth=1
                                        ; =>  This Inner Loop Header: Depth=2
	v_cmp_ne_u32_e32 vcc, s33, v9
	s_mov_b64 s[16:17], 0
	s_and_saveexec_b64 s[18:19], vcc
	s_xor_b64 s[18:19], exec, s[18:19]
	s_cbranch_execz .LBB202_42
; %bb.41:                               ;   in Loop: Header=BB202_40 Depth=2
	v_add_u32_e32 v6, 1, v6
	s_mov_b64 s[16:17], exec
	v_and_b32_e32 v6, 0xff, v6
                                        ; implicit-def: $vgpr8
	s_andn2_saveexec_b64 s[18:19], s[18:19]
	s_cbranch_execz .LBB202_44
	s_branch .LBB202_43
.LBB202_42:                             ;   in Loop: Header=BB202_40 Depth=2
	s_andn2_saveexec_b64 s[18:19], s[18:19]
	s_cbranch_execz .LBB202_44
.LBB202_43:                             ;   in Loop: Header=BB202_40 Depth=2
	v_mov_b32_e32 v9, s33
	ds_cmpst_rtn_b32 v8, v8, v9, v7
	s_andn2_b64 s[16:17], s[16:17], exec
	s_waitcnt lgkmcnt(0)
	v_cmp_ne_u32_e32 vcc, s33, v8
	s_and_b64 s[20:21], vcc, exec
	s_or_b64 s[16:17], s[16:17], s[20:21]
.LBB202_44:                             ;   in Loop: Header=BB202_40 Depth=2
	s_or_b64 exec, exec, s[18:19]
	s_mov_b64 s[18:19], -1
                                        ; implicit-def: $vgpr8
                                        ; implicit-def: $vgpr9
	s_and_saveexec_b64 s[20:21], s[16:17]
	s_cbranch_execz .LBB202_39
; %bb.45:                               ;   in Loop: Header=BB202_40 Depth=2
	v_lshl_add_u32 v8, v6, 2, 0
	ds_read_b32 v9, v8
	s_waitcnt lgkmcnt(0)
	v_cmp_eq_u32_e32 vcc, v9, v7
	s_orn2_b64 s[18:19], vcc, exec
	s_branch .LBB202_39
.LBB202_46:
	s_or_b64 exec, exec, s[4:5]
.LBB202_47:
	s_waitcnt lgkmcnt(0)
	s_barrier
	s_and_saveexec_b64 s[8:9], s[0:1]
	s_cbranch_execz .LBB202_60
; %bb.48:
	v_mbcnt_lo_u32_b32 v2, -1, 0
	v_mbcnt_hi_u32_b32 v2, -1, v2
	v_lshrrev_b32_e32 v4, 3, v0
	v_sub_u32_e32 v2, 63, v2
	v_and_b32_e32 v4, 12, v4
	s_movk_i32 s0, 0x7f
	s_movk_i32 s6, 0x5f
	v_mov_b32_e32 v6, 0
	v_lshrrev_b64 v[2:3], v2, -1
	v_add_u32_e32 v7, 0, v4
	v_cmp_eq_u32_e64 s[0:1], s0, v0
	v_cmp_lt_u32_e64 s[2:3], 31, v0
	v_cmp_lt_u32_e64 s[4:5], 63, v0
	;; [unrolled: 1-line block ×3, first 2 shown]
	v_add_u32_e32 v8, 0x400, v12
	v_or_b32_e32 v9, 0xffffff80, v0
	s_mov_b64 s[10:11], 0
	v_mov_b32_e32 v10, 0
	s_branch .LBB202_50
.LBB202_49:                             ;   in Loop: Header=BB202_50 Depth=1
	s_or_b64 exec, exec, s[14:15]
	s_waitcnt lgkmcnt(0)
	s_barrier
	ds_read_b32 v4, v6 offset:3084
	v_add_co_u32_e32 v9, vcc, 0x80, v9
	s_xor_b64 s[14:15], vcc, -1
	s_and_b64 s[14:15], exec, s[14:15]
	v_add_u32_e32 v8, 0x400, v8
	s_waitcnt lgkmcnt(0)
	v_add_u32_e32 v10, v4, v10
	s_or_b64 s[10:11], s[14:15], s[10:11]
	v_add_u32_e32 v1, 0x200, v1
	s_andn2_b64 exec, exec, s[10:11]
	s_cbranch_execz .LBB202_60
.LBB202_50:                             ; =>This Inner Loop Header: Depth=1
	ds_read_b32 v11, v1
	ds_read2_b32 v[4:5], v8 offset1:1
	s_waitcnt lgkmcnt(0)
	s_barrier
	v_cmp_gt_i32_e32 vcc, s33, v11
	s_bcnt1_i32_b64 s13, vcc
	s_nop 0
	v_and_b32_e32 v13, vcc_lo, v2
	v_and_b32_e32 v12, vcc_hi, v3
	v_bcnt_u32_b32 v13, v13, 0
	v_bcnt_u32_b32 v12, v12, v13
	v_mov_b32_e32 v13, s13
	ds_write_b32 v7, v13 offset:3072
	s_waitcnt lgkmcnt(0)
	s_barrier
	s_and_saveexec_b64 s[14:15], s[2:3]
	s_cbranch_execz .LBB202_55
; %bb.51:                               ;   in Loop: Header=BB202_50 Depth=1
	ds_read_b32 v13, v6 offset:3072
	s_waitcnt lgkmcnt(0)
	v_add_u32_e32 v12, v13, v12
	s_or_b64 exec, exec, s[14:15]
	s_and_saveexec_b64 s[14:15], s[4:5]
	s_cbranch_execnz .LBB202_56
.LBB202_52:                             ;   in Loop: Header=BB202_50 Depth=1
	s_or_b64 exec, exec, s[14:15]
	s_and_saveexec_b64 s[14:15], s[6:7]
	s_cbranch_execz .LBB202_57
.LBB202_53:                             ;   in Loop: Header=BB202_50 Depth=1
	ds_read_b32 v13, v6 offset:3080
	s_waitcnt lgkmcnt(0)
	v_add_u32_e32 v12, v13, v12
	s_or_b64 exec, exec, s[14:15]
	s_and_saveexec_b64 s[14:15], vcc
	s_cbranch_execnz .LBB202_58
.LBB202_54:                             ;   in Loop: Header=BB202_50 Depth=1
	s_or_b64 exec, exec, s[14:15]
	s_and_saveexec_b64 s[14:15], s[0:1]
	s_cbranch_execz .LBB202_49
	s_branch .LBB202_59
.LBB202_55:                             ;   in Loop: Header=BB202_50 Depth=1
	s_or_b64 exec, exec, s[14:15]
	s_and_saveexec_b64 s[14:15], s[4:5]
	s_cbranch_execz .LBB202_52
.LBB202_56:                             ;   in Loop: Header=BB202_50 Depth=1
	ds_read_b32 v13, v6 offset:3076
	s_waitcnt lgkmcnt(0)
	v_add_u32_e32 v12, v13, v12
	s_or_b64 exec, exec, s[14:15]
	s_and_saveexec_b64 s[14:15], s[6:7]
	s_cbranch_execnz .LBB202_53
.LBB202_57:                             ;   in Loop: Header=BB202_50 Depth=1
	s_or_b64 exec, exec, s[14:15]
	s_and_saveexec_b64 s[14:15], vcc
	s_cbranch_execz .LBB202_54
.LBB202_58:                             ;   in Loop: Header=BB202_50 Depth=1
	v_add3_u32 v13, v10, -1, v12
	v_lshl_add_u32 v13, v13, 2, 0
	v_add_u32_e32 v14, v10, v12
	v_lshl_add_u32 v14, v14, 3, 0
	ds_write_b32 v13, v11
	ds_write2_b32 v14, v4, v5 offset0:254 offset1:255
	s_or_b64 exec, exec, s[14:15]
	s_and_saveexec_b64 s[14:15], s[0:1]
	s_cbranch_execz .LBB202_49
.LBB202_59:                             ;   in Loop: Header=BB202_50 Depth=1
	ds_write_b32 v6, v12 offset:3084
	s_branch .LBB202_49
.LBB202_60:
	s_or_b64 exec, exec, s[8:9]
	s_ashr_i32 s13, s12, 31
	s_lshl_b64 s[0:1], s[12:13], 3
	s_add_u32 s4, s40, s0
	s_addc_u32 s5, s41, s1
	s_load_dwordx4 s[0:3], s[4:5], 0x0
	s_waitcnt lgkmcnt(0)
	s_sub_i32 s8, s2, s0
	v_cmp_gt_i32_e32 vcc, s8, v0
	s_and_saveexec_b64 s[4:5], vcc
	s_cbranch_execz .LBB202_70
; %bb.61:
	s_sub_u32 s4, s0, s26
	s_subb_u32 s5, s1, 0
	s_and_b32 s10, s8, 7
	s_sub_i32 s0, s0, s2
	s_cmp_lt_u32 s0, -7
	s_cselect_b64 s[0:1], -1, 0
	s_and_b32 s11, s8, -8
	s_cmp_lg_u32 s10, 0
	v_cndmask_b32_e64 v1, 0, 1, s[0:1]
	s_cselect_b64 s[2:3], -1, 0
	v_cmp_ne_u32_e64 s[0:1], 1, v1
	v_cndmask_b32_e64 v1, 0, 1, s[2:3]
	s_mov_b32 s9, 0
	s_mov_b64 s[6:7], 0
	s_movk_i32 s12, 0x400
	v_cmp_ne_u32_e64 s[2:3], 1, v1
	s_branch .LBB202_63
.LBB202_62:                             ;   in Loop: Header=BB202_63 Depth=1
	v_add_u32_e32 v0, 0x80, v0
	v_cmp_le_i32_e32 vcc, s8, v0
	v_lshl_add_u64 v[4:5], v[4:5], 3, s[34:35]
	s_or_b64 s[6:7], vcc, s[6:7]
	s_waitcnt lgkmcnt(0)
	global_store_dwordx2 v[4:5], v[2:3], off
	s_andn2_b64 exec, exec, s[6:7]
	s_cbranch_execz .LBB202_70
.LBB202_63:                             ; =>This Loop Header: Depth=1
                                        ;     Child Loop BB202_65 Depth 2
                                        ;     Child Loop BB202_69 Depth 2
	v_lshlrev_b32_e32 v1, 2, v0
	v_add_u32_e32 v2, 0, v1
	v_add3_u32 v3, v2, v1, s12
	ds_read_b32 v1, v2
	ds_read2_b32 v[2:3], v3 offset1:1
	s_and_b64 vcc, exec, s[0:1]
	v_mov_b64_e32 v[4:5], s[4:5]
	s_mov_b32 s13, 0
	s_cbranch_vccnz .LBB202_67
; %bb.64:                               ;   in Loop: Header=BB202_63 Depth=1
	s_mov_b32 s14, 0
	v_mov_b64_e32 v[4:5], s[4:5]
.LBB202_65:                             ;   Parent Loop BB202_63 Depth=1
                                        ; =>  This Inner Loop Header: Depth=2
	v_mov_b32_e32 v6, s14
	ds_read2_b32 v[22:23], v6 offset1:1
	ds_read2_b32 v[24:25], v6 offset0:2 offset1:3
	ds_read2_b32 v[26:27], v6 offset0:4 offset1:5
	;; [unrolled: 1-line block ×3, first 2 shown]
	v_mov_b32_e32 v7, s9
	s_waitcnt lgkmcnt(3)
	v_cmp_gt_i32_e32 vcc, v1, v22
	v_mov_b32_e32 v9, s9
	v_mov_b32_e32 v11, s9
	v_cndmask_b32_e64 v6, 0, 1, vcc
	v_cmp_gt_i32_e32 vcc, v1, v23
	v_lshl_add_u64 v[4:5], v[4:5], 0, v[6:7]
	v_mov_b32_e32 v13, s9
	v_cndmask_b32_e64 v8, 0, 1, vcc
	s_waitcnt lgkmcnt(2)
	v_cmp_gt_i32_e32 vcc, v1, v24
	v_lshl_add_u64 v[4:5], v[4:5], 0, v[8:9]
	v_mov_b32_e32 v15, s9
	v_cndmask_b32_e64 v10, 0, 1, vcc
	v_cmp_gt_i32_e32 vcc, v1, v25
	v_lshl_add_u64 v[4:5], v[4:5], 0, v[10:11]
	v_mov_b32_e32 v17, s9
	v_cndmask_b32_e64 v12, 0, 1, vcc
	s_waitcnt lgkmcnt(1)
	v_cmp_gt_i32_e32 vcc, v1, v26
	v_lshl_add_u64 v[4:5], v[4:5], 0, v[12:13]
	;; [unrolled: 9-line block ×3, first 2 shown]
	s_add_i32 s13, s13, 8
	v_cndmask_b32_e64 v18, 0, 1, vcc
	v_cmp_gt_i32_e32 vcc, v1, v29
	s_add_i32 s14, s14, 32
	v_lshl_add_u64 v[4:5], v[4:5], 0, v[18:19]
	v_cndmask_b32_e64 v20, 0, 1, vcc
	s_cmp_eq_u32 s11, s13
	v_lshl_add_u64 v[4:5], v[4:5], 0, v[20:21]
	s_cbranch_scc0 .LBB202_65
; %bb.66:                               ;   in Loop: Header=BB202_63 Depth=1
	s_mov_b32 s13, s11
.LBB202_67:                             ;   in Loop: Header=BB202_63 Depth=1
	s_and_b64 vcc, exec, s[2:3]
	s_cbranch_vccnz .LBB202_62
; %bb.68:                               ;   in Loop: Header=BB202_63 Depth=1
	s_lshl_b32 s13, s13, 2
	s_add_i32 s13, s13, 0
	s_mov_b32 s14, s10
.LBB202_69:                             ;   Parent Loop BB202_63 Depth=1
                                        ; =>  This Inner Loop Header: Depth=2
	v_mov_b32_e32 v6, s13
	ds_read_b32 v6, v6
	v_mov_b32_e32 v7, s9
	s_add_i32 s13, s13, 4
	s_add_i32 s14, s14, -1
	s_cmp_lg_u32 s14, 0
	s_waitcnt lgkmcnt(0)
	v_cmp_gt_i32_e32 vcc, v1, v6
	s_nop 1
	v_cndmask_b32_e64 v6, 0, 1, vcc
	v_lshl_add_u64 v[4:5], v[4:5], 0, v[6:7]
	s_cbranch_scc1 .LBB202_69
	s_branch .LBB202_62
.LBB202_70:
	s_endpgm
	.section	.rodata,"a",@progbits
	.p2align	6, 0x0
	.amdhsa_kernel _ZN9rocsparseL41csrgemm_numeric_fill_block_per_row_kernelILj128ELj16ELj256ELj137ELj32Eli21rocsparse_complex_numIfEEEvT5_PKS3_S5_NS_24const_host_device_scalarIT6_EEPKT4_S5_PKS7_SB_S5_SD_S8_SB_S5_SD_SB_S5_PS7_21rocsparse_index_base_SF_SF_SF_bbb
		.amdhsa_group_segment_fixed_size 0
		.amdhsa_private_segment_fixed_size 0
		.amdhsa_kernarg_size 156
		.amdhsa_user_sgpr_count 2
		.amdhsa_user_sgpr_dispatch_ptr 0
		.amdhsa_user_sgpr_queue_ptr 0
		.amdhsa_user_sgpr_kernarg_segment_ptr 1
		.amdhsa_user_sgpr_dispatch_id 0
		.amdhsa_user_sgpr_kernarg_preload_length 0
		.amdhsa_user_sgpr_kernarg_preload_offset 0
		.amdhsa_user_sgpr_private_segment_size 0
		.amdhsa_uses_dynamic_stack 0
		.amdhsa_enable_private_segment 0
		.amdhsa_system_sgpr_workgroup_id_x 1
		.amdhsa_system_sgpr_workgroup_id_y 0
		.amdhsa_system_sgpr_workgroup_id_z 0
		.amdhsa_system_sgpr_workgroup_info 0
		.amdhsa_system_vgpr_workitem_id 0
		.amdhsa_next_free_vgpr 30
		.amdhsa_next_free_sgpr 57
		.amdhsa_accum_offset 32
		.amdhsa_reserve_vcc 1
		.amdhsa_float_round_mode_32 0
		.amdhsa_float_round_mode_16_64 0
		.amdhsa_float_denorm_mode_32 3
		.amdhsa_float_denorm_mode_16_64 3
		.amdhsa_dx10_clamp 1
		.amdhsa_ieee_mode 1
		.amdhsa_fp16_overflow 0
		.amdhsa_tg_split 0
		.amdhsa_exception_fp_ieee_invalid_op 0
		.amdhsa_exception_fp_denorm_src 0
		.amdhsa_exception_fp_ieee_div_zero 0
		.amdhsa_exception_fp_ieee_overflow 0
		.amdhsa_exception_fp_ieee_underflow 0
		.amdhsa_exception_fp_ieee_inexact 0
		.amdhsa_exception_int_div_zero 0
	.end_amdhsa_kernel
	.section	.text._ZN9rocsparseL41csrgemm_numeric_fill_block_per_row_kernelILj128ELj16ELj256ELj137ELj32Eli21rocsparse_complex_numIfEEEvT5_PKS3_S5_NS_24const_host_device_scalarIT6_EEPKT4_S5_PKS7_SB_S5_SD_S8_SB_S5_SD_SB_S5_PS7_21rocsparse_index_base_SF_SF_SF_bbb,"axG",@progbits,_ZN9rocsparseL41csrgemm_numeric_fill_block_per_row_kernelILj128ELj16ELj256ELj137ELj32Eli21rocsparse_complex_numIfEEEvT5_PKS3_S5_NS_24const_host_device_scalarIT6_EEPKT4_S5_PKS7_SB_S5_SD_S8_SB_S5_SD_SB_S5_PS7_21rocsparse_index_base_SF_SF_SF_bbb,comdat
.Lfunc_end202:
	.size	_ZN9rocsparseL41csrgemm_numeric_fill_block_per_row_kernelILj128ELj16ELj256ELj137ELj32Eli21rocsparse_complex_numIfEEEvT5_PKS3_S5_NS_24const_host_device_scalarIT6_EEPKT4_S5_PKS7_SB_S5_SD_S8_SB_S5_SD_SB_S5_PS7_21rocsparse_index_base_SF_SF_SF_bbb, .Lfunc_end202-_ZN9rocsparseL41csrgemm_numeric_fill_block_per_row_kernelILj128ELj16ELj256ELj137ELj32Eli21rocsparse_complex_numIfEEEvT5_PKS3_S5_NS_24const_host_device_scalarIT6_EEPKT4_S5_PKS7_SB_S5_SD_S8_SB_S5_SD_SB_S5_PS7_21rocsparse_index_base_SF_SF_SF_bbb
                                        ; -- End function
	.set _ZN9rocsparseL41csrgemm_numeric_fill_block_per_row_kernelILj128ELj16ELj256ELj137ELj32Eli21rocsparse_complex_numIfEEEvT5_PKS3_S5_NS_24const_host_device_scalarIT6_EEPKT4_S5_PKS7_SB_S5_SD_S8_SB_S5_SD_SB_S5_PS7_21rocsparse_index_base_SF_SF_SF_bbb.num_vgpr, 30
	.set _ZN9rocsparseL41csrgemm_numeric_fill_block_per_row_kernelILj128ELj16ELj256ELj137ELj32Eli21rocsparse_complex_numIfEEEvT5_PKS3_S5_NS_24const_host_device_scalarIT6_EEPKT4_S5_PKS7_SB_S5_SD_S8_SB_S5_SD_SB_S5_PS7_21rocsparse_index_base_SF_SF_SF_bbb.num_agpr, 0
	.set _ZN9rocsparseL41csrgemm_numeric_fill_block_per_row_kernelILj128ELj16ELj256ELj137ELj32Eli21rocsparse_complex_numIfEEEvT5_PKS3_S5_NS_24const_host_device_scalarIT6_EEPKT4_S5_PKS7_SB_S5_SD_S8_SB_S5_SD_SB_S5_PS7_21rocsparse_index_base_SF_SF_SF_bbb.numbered_sgpr, 57
	.set _ZN9rocsparseL41csrgemm_numeric_fill_block_per_row_kernelILj128ELj16ELj256ELj137ELj32Eli21rocsparse_complex_numIfEEEvT5_PKS3_S5_NS_24const_host_device_scalarIT6_EEPKT4_S5_PKS7_SB_S5_SD_S8_SB_S5_SD_SB_S5_PS7_21rocsparse_index_base_SF_SF_SF_bbb.num_named_barrier, 0
	.set _ZN9rocsparseL41csrgemm_numeric_fill_block_per_row_kernelILj128ELj16ELj256ELj137ELj32Eli21rocsparse_complex_numIfEEEvT5_PKS3_S5_NS_24const_host_device_scalarIT6_EEPKT4_S5_PKS7_SB_S5_SD_S8_SB_S5_SD_SB_S5_PS7_21rocsparse_index_base_SF_SF_SF_bbb.private_seg_size, 0
	.set _ZN9rocsparseL41csrgemm_numeric_fill_block_per_row_kernelILj128ELj16ELj256ELj137ELj32Eli21rocsparse_complex_numIfEEEvT5_PKS3_S5_NS_24const_host_device_scalarIT6_EEPKT4_S5_PKS7_SB_S5_SD_S8_SB_S5_SD_SB_S5_PS7_21rocsparse_index_base_SF_SF_SF_bbb.uses_vcc, 1
	.set _ZN9rocsparseL41csrgemm_numeric_fill_block_per_row_kernelILj128ELj16ELj256ELj137ELj32Eli21rocsparse_complex_numIfEEEvT5_PKS3_S5_NS_24const_host_device_scalarIT6_EEPKT4_S5_PKS7_SB_S5_SD_S8_SB_S5_SD_SB_S5_PS7_21rocsparse_index_base_SF_SF_SF_bbb.uses_flat_scratch, 0
	.set _ZN9rocsparseL41csrgemm_numeric_fill_block_per_row_kernelILj128ELj16ELj256ELj137ELj32Eli21rocsparse_complex_numIfEEEvT5_PKS3_S5_NS_24const_host_device_scalarIT6_EEPKT4_S5_PKS7_SB_S5_SD_S8_SB_S5_SD_SB_S5_PS7_21rocsparse_index_base_SF_SF_SF_bbb.has_dyn_sized_stack, 0
	.set _ZN9rocsparseL41csrgemm_numeric_fill_block_per_row_kernelILj128ELj16ELj256ELj137ELj32Eli21rocsparse_complex_numIfEEEvT5_PKS3_S5_NS_24const_host_device_scalarIT6_EEPKT4_S5_PKS7_SB_S5_SD_S8_SB_S5_SD_SB_S5_PS7_21rocsparse_index_base_SF_SF_SF_bbb.has_recursion, 0
	.set _ZN9rocsparseL41csrgemm_numeric_fill_block_per_row_kernelILj128ELj16ELj256ELj137ELj32Eli21rocsparse_complex_numIfEEEvT5_PKS3_S5_NS_24const_host_device_scalarIT6_EEPKT4_S5_PKS7_SB_S5_SD_S8_SB_S5_SD_SB_S5_PS7_21rocsparse_index_base_SF_SF_SF_bbb.has_indirect_call, 0
	.section	.AMDGPU.csdata,"",@progbits
; Kernel info:
; codeLenInByte = 2568
; TotalNumSgprs: 63
; NumVgprs: 30
; NumAgprs: 0
; TotalNumVgprs: 30
; ScratchSize: 0
; MemoryBound: 0
; FloatMode: 240
; IeeeMode: 1
; LDSByteSize: 0 bytes/workgroup (compile time only)
; SGPRBlocks: 7
; VGPRBlocks: 3
; NumSGPRsForWavesPerEU: 63
; NumVGPRsForWavesPerEU: 30
; AccumOffset: 32
; Occupancy: 8
; WaveLimiterHint : 1
; COMPUTE_PGM_RSRC2:SCRATCH_EN: 0
; COMPUTE_PGM_RSRC2:USER_SGPR: 2
; COMPUTE_PGM_RSRC2:TRAP_HANDLER: 0
; COMPUTE_PGM_RSRC2:TGID_X_EN: 1
; COMPUTE_PGM_RSRC2:TGID_Y_EN: 0
; COMPUTE_PGM_RSRC2:TGID_Z_EN: 0
; COMPUTE_PGM_RSRC2:TIDIG_COMP_CNT: 0
; COMPUTE_PGM_RSRC3_GFX90A:ACCUM_OFFSET: 7
; COMPUTE_PGM_RSRC3_GFX90A:TG_SPLIT: 0
	.section	.text._ZN9rocsparseL41csrgemm_numeric_fill_block_per_row_kernelILj128ELj16ELj256ELj137ELj64Eli21rocsparse_complex_numIfEEEvT5_PKS3_S5_NS_24const_host_device_scalarIT6_EEPKT4_S5_PKS7_SB_S5_SD_S8_SB_S5_SD_SB_S5_PS7_21rocsparse_index_base_SF_SF_SF_bbb,"axG",@progbits,_ZN9rocsparseL41csrgemm_numeric_fill_block_per_row_kernelILj128ELj16ELj256ELj137ELj64Eli21rocsparse_complex_numIfEEEvT5_PKS3_S5_NS_24const_host_device_scalarIT6_EEPKT4_S5_PKS7_SB_S5_SD_S8_SB_S5_SD_SB_S5_PS7_21rocsparse_index_base_SF_SF_SF_bbb,comdat
	.globl	_ZN9rocsparseL41csrgemm_numeric_fill_block_per_row_kernelILj128ELj16ELj256ELj137ELj64Eli21rocsparse_complex_numIfEEEvT5_PKS3_S5_NS_24const_host_device_scalarIT6_EEPKT4_S5_PKS7_SB_S5_SD_S8_SB_S5_SD_SB_S5_PS7_21rocsparse_index_base_SF_SF_SF_bbb ; -- Begin function _ZN9rocsparseL41csrgemm_numeric_fill_block_per_row_kernelILj128ELj16ELj256ELj137ELj64Eli21rocsparse_complex_numIfEEEvT5_PKS3_S5_NS_24const_host_device_scalarIT6_EEPKT4_S5_PKS7_SB_S5_SD_S8_SB_S5_SD_SB_S5_PS7_21rocsparse_index_base_SF_SF_SF_bbb
	.p2align	8
	.type	_ZN9rocsparseL41csrgemm_numeric_fill_block_per_row_kernelILj128ELj16ELj256ELj137ELj64Eli21rocsparse_complex_numIfEEEvT5_PKS3_S5_NS_24const_host_device_scalarIT6_EEPKT4_S5_PKS7_SB_S5_SD_S8_SB_S5_SD_SB_S5_PS7_21rocsparse_index_base_SF_SF_SF_bbb,@function
_ZN9rocsparseL41csrgemm_numeric_fill_block_per_row_kernelILj128ELj16ELj256ELj137ELj64Eli21rocsparse_complex_numIfEEEvT5_PKS3_S5_NS_24const_host_device_scalarIT6_EEPKT4_S5_PKS7_SB_S5_SD_S8_SB_S5_SD_SB_S5_PS7_21rocsparse_index_base_SF_SF_SF_bbb: ; @_ZN9rocsparseL41csrgemm_numeric_fill_block_per_row_kernelILj128ELj16ELj256ELj137ELj64Eli21rocsparse_complex_numIfEEEvT5_PKS3_S5_NS_24const_host_device_scalarIT6_EEPKT4_S5_PKS7_SB_S5_SD_S8_SB_S5_SD_SB_S5_PS7_21rocsparse_index_base_SF_SF_SF_bbb
; %bb.0:
	s_load_dwordx2 s[34:35], s[0:1], 0x70
	s_load_dwordx4 s[28:31], s[0:1], 0x60
	s_load_dwordx8 s[8:15], s[0:1], 0x40
	s_load_dword s3, s[0:1], 0x98
	s_load_dwordx4 s[36:39], s[0:1], 0x8
	s_load_dwordx8 s[16:23], s[0:1], 0x20
	s_load_dwordx2 s[6:7], s[0:1], 0x80
	s_load_dwordx4 s[24:27], s[0:1], 0x88
	s_waitcnt lgkmcnt(0)
	s_bitcmp1_b32 s3, 0
	s_cselect_b64 s[44:45], -1, 0
	s_bitcmp1_b32 s3, 16
	s_cselect_b64 s[4:5], -1, 0
	s_xor_b64 s[4:5], s[4:5], -1
	v_cndmask_b32_e64 v1, 0, 1, s[4:5]
	s_mov_b32 s41, 0
	s_bitcmp0_b32 s3, 0
	v_cmp_ne_u32_e64 s[4:5], 1, v1
	s_mov_b32 s55, 0
	s_cbranch_scc1 .LBB203_5
; %bb.1:
	s_load_dwordx2 s[40:41], s[0:1], 0x18
	s_and_b64 vcc, exec, s[4:5]
	s_waitcnt lgkmcnt(0)
	s_mov_b32 s55, s40
	s_cbranch_vccnz .LBB203_3
; %bb.2:
	s_load_dword s55, s[40:41], 0x0
.LBB203_3:
	s_and_b64 vcc, exec, s[4:5]
	s_cbranch_vccnz .LBB203_5
; %bb.4:
	s_load_dword s41, s[40:41], 0x4
.LBB203_5:
	s_bitcmp1_b32 s3, 8
	s_cselect_b64 s[42:43], -1, 0
	s_bfe_u32 s3, s3, 0x10008
	s_mov_b32 s40, 0
	s_cmp_eq_u32 s3, 0
	s_mov_b32 s54, 0
	s_cbranch_scc1 .LBB203_11
; %bb.6:
	s_and_b64 vcc, exec, s[4:5]
	s_mov_b32 s40, s12
	s_cbranch_vccnz .LBB203_8
; %bb.7:
	s_load_dword s40, s[12:13], 0x0
.LBB203_8:
	s_and_b64 vcc, exec, s[4:5]
	s_cbranch_vccnz .LBB203_10
; %bb.9:
	s_load_dword s13, s[12:13], 0x4
.LBB203_10:
	s_waitcnt lgkmcnt(0)
	s_mov_b32 s54, s13
.LBB203_11:
	s_load_dword s33, s[0:1], 0x0
	s_movk_i32 s0, 0x100
	v_cmp_gt_u32_e64 s[0:1], s0, v0
	v_lshl_add_u32 v12, v0, 3, 0
	v_lshl_add_u32 v1, v0, 2, 0
	s_and_saveexec_b64 s[4:5], s[0:1]
	s_cbranch_execz .LBB203_14
; %bb.12:
	v_add_u32_e32 v2, 0x400, v12
	v_or_b32_e32 v3, 0xffffff80, v0
	v_lshl_add_u32 v4, v0, 2, 0
	s_mov_b64 s[12:13], 0
	s_waitcnt lgkmcnt(0)
	v_mov_b32_e32 v6, s33
	v_mov_b32_e32 v5, 0
.LBB203_13:                             ; =>This Inner Loop Header: Depth=1
	v_add_co_u32_e32 v3, vcc, 0x80, v3
	s_xor_b64 s[46:47], vcc, -1
	s_and_b64 s[46:47], exec, s[46:47]
	ds_write_b32 v4, v6
	ds_write2_b32 v2, v5, v5 offset1:1
	v_add_u32_e32 v2, 0x400, v2
	s_or_b64 s[12:13], s[46:47], s[12:13]
	v_add_u32_e32 v4, 0x200, v4
	s_andn2_b64 exec, exec, s[12:13]
	s_cbranch_execnz .LBB203_13
.LBB203_14:
	s_or_b64 exec, exec, s[4:5]
	s_waitcnt lgkmcnt(0)
	s_barrier
	s_load_dword s3, s[36:37], 0x0
	v_lshrrev_b32_e32 v13, 4, v0
	s_waitcnt lgkmcnt(0)
	s_add_i32 s2, s3, s2
	s_mov_b32 s3, 0
	s_lshl_b64 s[2:3], s[2:3], 2
	s_add_u32 s2, s38, s2
	s_addc_u32 s3, s39, s3
	s_load_dword s4, s[2:3], 0x0
	s_and_b64 vcc, exec, s[44:45]
	s_cbranch_vccz .LBB203_32
; %bb.15:
	s_waitcnt lgkmcnt(0)
	s_ashr_i32 s5, s4, 31
	s_lshl_b64 s[2:3], s[4:5], 3
	s_add_u32 s2, s16, s2
	s_addc_u32 s3, s17, s3
	s_load_dwordx4 s[36:39], s[2:3], 0x0
	v_subrev_co_u32_e32 v2, vcc, s24, v13
	s_nop 1
	v_subb_co_u32_e64 v3, s[2:3], 0, 0, vcc
	s_waitcnt lgkmcnt(0)
	s_sub_u32 s2, s38, s24
	s_subb_u32 s3, s39, 0
	v_lshl_add_u64 v[2:3], s[36:37], 0, v[2:3]
	v_cmp_gt_i64_e32 vcc, s[2:3], v[2:3]
	s_and_saveexec_b64 s[12:13], vcc
	s_cbranch_execz .LBB203_31
; %bb.16:
	v_and_b32_e32 v4, 15, v0
	v_subrev_co_u32_e32 v4, vcc, s25, v4
	s_mov_b32 s5, s25
	s_nop 0
	v_subb_co_u32_e64 v5, s[16:17], 0, 0, vcc
	s_mov_b64 s[16:17], 0
	s_movk_i32 s56, 0x89
	s_branch .LBB203_18
.LBB203_17:                             ;   in Loop: Header=BB203_18 Depth=1
	s_or_b64 exec, exec, s[36:37]
	v_lshl_add_u64 v[2:3], v[2:3], 0, 8
	v_cmp_le_i64_e32 vcc, s[2:3], v[2:3]
	s_or_b64 s[16:17], vcc, s[16:17]
	s_andn2_b64 exec, exec, s[16:17]
	s_cbranch_execz .LBB203_31
.LBB203_18:                             ; =>This Loop Header: Depth=1
                                        ;     Child Loop BB203_22 Depth 2
                                        ;       Child Loop BB203_25 Depth 3
	v_lshl_add_u64 v[6:7], v[2:3], 2, s[18:19]
	global_load_dword v6, v[6:7], off
	s_waitcnt vmcnt(0)
	v_subrev_u32_e32 v6, s24, v6
	v_ashrrev_i32_e32 v7, 31, v6
	v_lshl_add_u64 v[6:7], v[6:7], 3, s[22:23]
	global_load_dwordx4 v[8:11], v[6:7], off
	s_waitcnt vmcnt(0)
	v_subrev_co_u32_e32 v6, vcc, s5, v10
	s_nop 1
	v_subbrev_co_u32_e32 v7, vcc, 0, v11, vcc
	v_lshl_add_u64 v[8:9], v[8:9], 0, v[4:5]
	v_cmp_lt_i64_e32 vcc, v[8:9], v[6:7]
	s_and_saveexec_b64 s[36:37], vcc
	s_cbranch_execz .LBB203_17
; %bb.19:                               ;   in Loop: Header=BB203_18 Depth=1
	v_lshl_add_u64 v[10:11], v[2:3], 3, s[20:21]
	global_load_dwordx2 v[10:11], v[10:11], off
	s_mov_b64 s[38:39], 0
	s_waitcnt vmcnt(0)
	v_mul_f32_e64 v14, v11, -s41
	v_mul_f32_e32 v15, s55, v11
	v_fmac_f32_e32 v14, s55, v10
	v_fmac_f32_e32 v15, s41, v10
	s_branch .LBB203_22
.LBB203_20:                             ;   in Loop: Header=BB203_22 Depth=2
	s_or_b64 exec, exec, s[46:47]
.LBB203_21:                             ;   in Loop: Header=BB203_22 Depth=2
	s_or_b64 exec, exec, s[44:45]
	s_waitcnt vmcnt(0)
	v_mul_f32_e64 v17, v11, -v15
	v_mul_f32_e32 v11, v14, v11
	v_fmac_f32_e32 v17, v14, v10
	v_fmac_f32_e32 v11, v15, v10
	v_lshl_add_u32 v10, v16, 3, 0
	ds_add_f32 v10, v17 offset:1024
	ds_add_f32 v10, v11 offset:1028
	v_lshl_add_u64 v[8:9], v[8:9], 0, 16
	v_cmp_ge_i64_e32 vcc, v[8:9], v[6:7]
	s_or_b64 s[38:39], vcc, s[38:39]
	s_andn2_b64 exec, exec, s[38:39]
	s_cbranch_execz .LBB203_17
.LBB203_22:                             ;   Parent Loop BB203_18 Depth=1
                                        ; =>  This Loop Header: Depth=2
                                        ;       Child Loop BB203_25 Depth 3
	v_lshl_add_u64 v[10:11], v[8:9], 2, s[8:9]
	global_load_dword v16, v[10:11], off
	v_lshl_add_u64 v[10:11], v[8:9], 3, s[10:11]
	global_load_dwordx2 v[10:11], v[10:11], off
	s_waitcnt vmcnt(1)
	v_subrev_u32_e32 v17, s25, v16
	v_mul_lo_u32 v16, v17, s56
	v_and_b32_e32 v16, 0xff, v16
	v_lshl_add_u32 v18, v16, 2, 0
	ds_read_b32 v19, v18
	s_waitcnt lgkmcnt(0)
	v_cmp_ne_u32_e32 vcc, v19, v17
	s_and_saveexec_b64 s[44:45], vcc
	s_cbranch_execz .LBB203_21
; %bb.23:                               ;   in Loop: Header=BB203_22 Depth=2
	s_mov_b64 s[46:47], 0
	s_branch .LBB203_25
.LBB203_24:                             ;   in Loop: Header=BB203_25 Depth=3
	s_or_b64 exec, exec, s[52:53]
	s_and_b64 s[48:49], exec, s[50:51]
	s_or_b64 s[46:47], s[48:49], s[46:47]
	s_andn2_b64 exec, exec, s[46:47]
	s_cbranch_execz .LBB203_20
.LBB203_25:                             ;   Parent Loop BB203_18 Depth=1
                                        ;     Parent Loop BB203_22 Depth=2
                                        ; =>    This Inner Loop Header: Depth=3
	v_cmp_ne_u32_e32 vcc, s33, v19
	s_mov_b64 s[48:49], 0
	s_and_saveexec_b64 s[50:51], vcc
	s_xor_b64 s[50:51], exec, s[50:51]
	s_cbranch_execz .LBB203_27
; %bb.26:                               ;   in Loop: Header=BB203_25 Depth=3
	v_add_u32_e32 v16, 1, v16
	s_mov_b64 s[48:49], exec
	v_and_b32_e32 v16, 0xff, v16
                                        ; implicit-def: $vgpr18
	s_andn2_saveexec_b64 s[50:51], s[50:51]
	s_cbranch_execz .LBB203_29
	s_branch .LBB203_28
.LBB203_27:                             ;   in Loop: Header=BB203_25 Depth=3
	s_andn2_saveexec_b64 s[50:51], s[50:51]
	s_cbranch_execz .LBB203_29
.LBB203_28:                             ;   in Loop: Header=BB203_25 Depth=3
	v_mov_b32_e32 v19, s33
	ds_cmpst_rtn_b32 v18, v18, v19, v17
	s_andn2_b64 s[48:49], s[48:49], exec
	s_waitcnt lgkmcnt(0)
	v_cmp_ne_u32_e32 vcc, s33, v18
	s_and_b64 s[52:53], vcc, exec
	s_or_b64 s[48:49], s[48:49], s[52:53]
.LBB203_29:                             ;   in Loop: Header=BB203_25 Depth=3
	s_or_b64 exec, exec, s[50:51]
	s_mov_b64 s[50:51], -1
                                        ; implicit-def: $vgpr18
                                        ; implicit-def: $vgpr19
	s_and_saveexec_b64 s[52:53], s[48:49]
	s_cbranch_execz .LBB203_24
; %bb.30:                               ;   in Loop: Header=BB203_25 Depth=3
	v_lshl_add_u32 v18, v16, 2, 0
	ds_read_b32 v19, v18
	s_waitcnt lgkmcnt(0)
	v_cmp_eq_u32_e32 vcc, v19, v17
	s_orn2_b64 s[50:51], vcc, exec
	s_branch .LBB203_24
.LBB203_31:
	s_or_b64 exec, exec, s[12:13]
.LBB203_32:
	s_andn2_b64 vcc, exec, s[42:43]
	s_cbranch_vccnz .LBB203_47
; %bb.33:
	s_waitcnt lgkmcnt(0)
	s_ashr_i32 s5, s4, 31
	s_lshl_b64 s[2:3], s[4:5], 3
	s_add_u32 s2, s14, s2
	s_addc_u32 s3, s15, s3
	s_load_dwordx4 s[8:11], s[2:3], 0x0
	v_subrev_co_u32_e32 v2, vcc, s27, v0
	s_nop 1
	v_subb_co_u32_e64 v3, s[2:3], 0, 0, vcc
	s_waitcnt lgkmcnt(0)
	s_sub_u32 s2, s10, s27
	s_subb_u32 s3, s11, 0
	v_lshl_add_u64 v[2:3], s[8:9], 0, v[2:3]
	v_cmp_gt_i64_e32 vcc, s[2:3], v[2:3]
	s_and_saveexec_b64 s[8:9], vcc
	s_cbranch_execz .LBB203_46
; %bb.34:
	s_mov_b64 s[10:11], 0
	s_movk_i32 s5, 0x89
	s_mov_b64 s[12:13], 0x80
	s_branch .LBB203_37
.LBB203_35:                             ;   in Loop: Header=BB203_37 Depth=1
	s_or_b64 exec, exec, s[16:17]
.LBB203_36:                             ;   in Loop: Header=BB203_37 Depth=1
	s_or_b64 exec, exec, s[14:15]
	s_waitcnt vmcnt(0)
	v_mul_f32_e64 v7, v5, -s54
	v_mul_f32_e32 v5, s40, v5
	v_fmac_f32_e32 v7, s40, v4
	v_fmac_f32_e32 v5, s54, v4
	v_lshl_add_u32 v4, v6, 3, 0
	ds_add_f32 v4, v7 offset:1024
	ds_add_f32 v4, v5 offset:1028
	v_lshl_add_u64 v[2:3], v[2:3], 0, s[12:13]
	v_cmp_le_i64_e32 vcc, s[2:3], v[2:3]
	s_or_b64 s[10:11], vcc, s[10:11]
	s_andn2_b64 exec, exec, s[10:11]
	s_cbranch_execz .LBB203_46
.LBB203_37:                             ; =>This Loop Header: Depth=1
                                        ;     Child Loop BB203_40 Depth 2
	v_lshl_add_u64 v[4:5], v[2:3], 2, s[28:29]
	global_load_dword v6, v[4:5], off
	v_lshl_add_u64 v[4:5], v[2:3], 3, s[30:31]
	global_load_dwordx2 v[4:5], v[4:5], off
	s_waitcnt vmcnt(1)
	v_subrev_u32_e32 v7, s27, v6
	v_mul_lo_u32 v6, v7, s5
	v_and_b32_e32 v6, 0xff, v6
	v_lshl_add_u32 v8, v6, 2, 0
	ds_read_b32 v9, v8
	s_waitcnt lgkmcnt(0)
	v_cmp_ne_u32_e32 vcc, v9, v7
	s_and_saveexec_b64 s[14:15], vcc
	s_cbranch_execz .LBB203_36
; %bb.38:                               ;   in Loop: Header=BB203_37 Depth=1
	s_mov_b64 s[16:17], 0
	s_branch .LBB203_40
.LBB203_39:                             ;   in Loop: Header=BB203_40 Depth=2
	s_or_b64 exec, exec, s[22:23]
	s_and_b64 s[18:19], exec, s[20:21]
	s_or_b64 s[16:17], s[18:19], s[16:17]
	s_andn2_b64 exec, exec, s[16:17]
	s_cbranch_execz .LBB203_35
.LBB203_40:                             ;   Parent Loop BB203_37 Depth=1
                                        ; =>  This Inner Loop Header: Depth=2
	v_cmp_ne_u32_e32 vcc, s33, v9
	s_mov_b64 s[18:19], 0
	s_and_saveexec_b64 s[20:21], vcc
	s_xor_b64 s[20:21], exec, s[20:21]
	s_cbranch_execz .LBB203_42
; %bb.41:                               ;   in Loop: Header=BB203_40 Depth=2
	v_add_u32_e32 v6, 1, v6
	s_mov_b64 s[18:19], exec
	v_and_b32_e32 v6, 0xff, v6
                                        ; implicit-def: $vgpr8
	s_andn2_saveexec_b64 s[20:21], s[20:21]
	s_cbranch_execz .LBB203_44
	s_branch .LBB203_43
.LBB203_42:                             ;   in Loop: Header=BB203_40 Depth=2
	s_andn2_saveexec_b64 s[20:21], s[20:21]
	s_cbranch_execz .LBB203_44
.LBB203_43:                             ;   in Loop: Header=BB203_40 Depth=2
	v_mov_b32_e32 v9, s33
	ds_cmpst_rtn_b32 v8, v8, v9, v7
	s_andn2_b64 s[18:19], s[18:19], exec
	s_waitcnt lgkmcnt(0)
	v_cmp_ne_u32_e32 vcc, s33, v8
	s_and_b64 s[22:23], vcc, exec
	s_or_b64 s[18:19], s[18:19], s[22:23]
.LBB203_44:                             ;   in Loop: Header=BB203_40 Depth=2
	s_or_b64 exec, exec, s[20:21]
	s_mov_b64 s[20:21], -1
                                        ; implicit-def: $vgpr8
                                        ; implicit-def: $vgpr9
	s_and_saveexec_b64 s[22:23], s[18:19]
	s_cbranch_execz .LBB203_39
; %bb.45:                               ;   in Loop: Header=BB203_40 Depth=2
	v_lshl_add_u32 v8, v6, 2, 0
	ds_read_b32 v9, v8
	s_waitcnt lgkmcnt(0)
	v_cmp_eq_u32_e32 vcc, v9, v7
	s_orn2_b64 s[20:21], vcc, exec
	s_branch .LBB203_39
.LBB203_46:
	s_or_b64 exec, exec, s[8:9]
.LBB203_47:
	s_waitcnt lgkmcnt(0)
	s_barrier
	s_and_saveexec_b64 s[8:9], s[0:1]
	s_cbranch_execz .LBB203_56
; %bb.48:
	v_mbcnt_lo_u32_b32 v2, -1, 0
	v_mbcnt_hi_u32_b32 v2, -1, v2
	v_sub_u32_e32 v2, 63, v2
	v_and_b32_e32 v4, 4, v13
	s_movk_i32 s2, 0x7f
	v_mov_b32_e32 v6, 0
	v_lshrrev_b64 v[2:3], v2, -1
	v_add_u32_e32 v7, 0, v4
	v_cmp_lt_u32_e64 s[0:1], 63, v0
	v_cmp_eq_u32_e64 s[2:3], s2, v0
	v_add_u32_e32 v8, 0x400, v12
	v_or_b32_e32 v9, 0xffffff80, v0
	s_mov_b64 s[10:11], 0
	v_mov_b32_e32 v10, 0
	s_branch .LBB203_50
.LBB203_49:                             ;   in Loop: Header=BB203_50 Depth=1
	s_or_b64 exec, exec, s[12:13]
	s_waitcnt lgkmcnt(0)
	s_barrier
	ds_read_b32 v4, v6 offset:3076
	v_add_co_u32_e32 v9, vcc, 0x80, v9
	s_xor_b64 s[12:13], vcc, -1
	s_and_b64 s[12:13], exec, s[12:13]
	v_add_u32_e32 v8, 0x400, v8
	s_waitcnt lgkmcnt(0)
	v_add_u32_e32 v10, v4, v10
	s_or_b64 s[10:11], s[12:13], s[10:11]
	v_add_u32_e32 v1, 0x200, v1
	s_andn2_b64 exec, exec, s[10:11]
	s_cbranch_execz .LBB203_56
.LBB203_50:                             ; =>This Inner Loop Header: Depth=1
	ds_read_b32 v11, v1
	ds_read2_b32 v[4:5], v8 offset1:1
	s_waitcnt lgkmcnt(0)
	s_barrier
	v_cmp_gt_i32_e32 vcc, s33, v11
	s_bcnt1_i32_b64 s5, vcc
	s_nop 0
	v_and_b32_e32 v13, vcc_lo, v2
	v_and_b32_e32 v12, vcc_hi, v3
	v_bcnt_u32_b32 v13, v13, 0
	v_bcnt_u32_b32 v12, v12, v13
	v_mov_b32_e32 v13, s5
	ds_write_b32 v7, v13 offset:3072
	s_waitcnt lgkmcnt(0)
	s_barrier
	s_and_saveexec_b64 s[12:13], s[0:1]
	s_cbranch_execz .LBB203_53
; %bb.51:                               ;   in Loop: Header=BB203_50 Depth=1
	ds_read_b32 v13, v6 offset:3072
	s_waitcnt lgkmcnt(0)
	v_add_u32_e32 v12, v13, v12
	s_or_b64 exec, exec, s[12:13]
	s_and_saveexec_b64 s[12:13], vcc
	s_cbranch_execnz .LBB203_54
.LBB203_52:                             ;   in Loop: Header=BB203_50 Depth=1
	s_or_b64 exec, exec, s[12:13]
	s_and_saveexec_b64 s[12:13], s[2:3]
	s_cbranch_execz .LBB203_49
	s_branch .LBB203_55
.LBB203_53:                             ;   in Loop: Header=BB203_50 Depth=1
	s_or_b64 exec, exec, s[12:13]
	s_and_saveexec_b64 s[12:13], vcc
	s_cbranch_execz .LBB203_52
.LBB203_54:                             ;   in Loop: Header=BB203_50 Depth=1
	v_add3_u32 v13, v10, -1, v12
	v_lshl_add_u32 v13, v13, 2, 0
	v_add_u32_e32 v14, v10, v12
	v_lshl_add_u32 v14, v14, 3, 0
	ds_write_b32 v13, v11
	ds_write2_b32 v14, v4, v5 offset0:254 offset1:255
	s_or_b64 exec, exec, s[12:13]
	s_and_saveexec_b64 s[12:13], s[2:3]
	s_cbranch_execz .LBB203_49
.LBB203_55:                             ;   in Loop: Header=BB203_50 Depth=1
	ds_write_b32 v6, v12 offset:3076
	s_branch .LBB203_49
.LBB203_56:
	s_or_b64 exec, exec, s[8:9]
	s_ashr_i32 s5, s4, 31
	s_lshl_b64 s[0:1], s[4:5], 3
	s_add_u32 s4, s34, s0
	s_addc_u32 s5, s35, s1
	s_load_dwordx4 s[0:3], s[4:5], 0x0
	s_waitcnt lgkmcnt(0)
	s_sub_i32 s10, s2, s0
	v_cmp_gt_i32_e32 vcc, s10, v0
	s_and_saveexec_b64 s[4:5], vcc
	s_cbranch_execz .LBB203_66
; %bb.57:
	s_sub_u32 s4, s0, s26
	s_subb_u32 s5, s1, 0
	s_and_b32 s12, s10, 7
	s_sub_i32 s0, s0, s2
	s_cmp_lt_u32 s0, -7
	s_cselect_b64 s[0:1], -1, 0
	s_and_b32 s13, s10, -8
	s_cmp_lg_u32 s12, 0
	v_cndmask_b32_e64 v1, 0, 1, s[0:1]
	s_cselect_b64 s[2:3], -1, 0
	v_cmp_ne_u32_e64 s[0:1], 1, v1
	v_cndmask_b32_e64 v1, 0, 1, s[2:3]
	s_mov_b32 s11, 0
	s_mov_b64 s[8:9], 0
	s_movk_i32 s14, 0x400
	v_cmp_ne_u32_e64 s[2:3], 1, v1
	s_branch .LBB203_59
.LBB203_58:                             ;   in Loop: Header=BB203_59 Depth=1
	v_add_u32_e32 v0, 0x80, v0
	v_cmp_le_i32_e32 vcc, s10, v0
	v_lshl_add_u64 v[4:5], v[4:5], 3, s[6:7]
	s_or_b64 s[8:9], vcc, s[8:9]
	s_waitcnt lgkmcnt(0)
	global_store_dwordx2 v[4:5], v[2:3], off
	s_andn2_b64 exec, exec, s[8:9]
	s_cbranch_execz .LBB203_66
.LBB203_59:                             ; =>This Loop Header: Depth=1
                                        ;     Child Loop BB203_61 Depth 2
                                        ;     Child Loop BB203_65 Depth 2
	v_lshlrev_b32_e32 v1, 2, v0
	v_add_u32_e32 v2, 0, v1
	v_add3_u32 v3, v2, v1, s14
	ds_read_b32 v1, v2
	ds_read2_b32 v[2:3], v3 offset1:1
	s_and_b64 vcc, exec, s[0:1]
	v_mov_b64_e32 v[4:5], s[4:5]
	s_mov_b32 s15, 0
	s_cbranch_vccnz .LBB203_63
; %bb.60:                               ;   in Loop: Header=BB203_59 Depth=1
	s_mov_b32 s16, 0
	v_mov_b64_e32 v[4:5], s[4:5]
.LBB203_61:                             ;   Parent Loop BB203_59 Depth=1
                                        ; =>  This Inner Loop Header: Depth=2
	v_mov_b32_e32 v6, s16
	ds_read2_b32 v[22:23], v6 offset1:1
	ds_read2_b32 v[24:25], v6 offset0:2 offset1:3
	ds_read2_b32 v[26:27], v6 offset0:4 offset1:5
	;; [unrolled: 1-line block ×3, first 2 shown]
	v_mov_b32_e32 v7, s11
	s_waitcnt lgkmcnt(3)
	v_cmp_gt_i32_e32 vcc, v1, v22
	v_mov_b32_e32 v9, s11
	v_mov_b32_e32 v11, s11
	v_cndmask_b32_e64 v6, 0, 1, vcc
	v_cmp_gt_i32_e32 vcc, v1, v23
	v_lshl_add_u64 v[4:5], v[4:5], 0, v[6:7]
	v_mov_b32_e32 v13, s11
	v_cndmask_b32_e64 v8, 0, 1, vcc
	s_waitcnt lgkmcnt(2)
	v_cmp_gt_i32_e32 vcc, v1, v24
	v_lshl_add_u64 v[4:5], v[4:5], 0, v[8:9]
	v_mov_b32_e32 v15, s11
	v_cndmask_b32_e64 v10, 0, 1, vcc
	v_cmp_gt_i32_e32 vcc, v1, v25
	v_lshl_add_u64 v[4:5], v[4:5], 0, v[10:11]
	v_mov_b32_e32 v17, s11
	v_cndmask_b32_e64 v12, 0, 1, vcc
	s_waitcnt lgkmcnt(1)
	v_cmp_gt_i32_e32 vcc, v1, v26
	v_lshl_add_u64 v[4:5], v[4:5], 0, v[12:13]
	;; [unrolled: 9-line block ×3, first 2 shown]
	s_add_i32 s15, s15, 8
	v_cndmask_b32_e64 v18, 0, 1, vcc
	v_cmp_gt_i32_e32 vcc, v1, v29
	s_add_i32 s16, s16, 32
	v_lshl_add_u64 v[4:5], v[4:5], 0, v[18:19]
	v_cndmask_b32_e64 v20, 0, 1, vcc
	s_cmp_eq_u32 s13, s15
	v_lshl_add_u64 v[4:5], v[4:5], 0, v[20:21]
	s_cbranch_scc0 .LBB203_61
; %bb.62:                               ;   in Loop: Header=BB203_59 Depth=1
	s_mov_b32 s15, s13
.LBB203_63:                             ;   in Loop: Header=BB203_59 Depth=1
	s_and_b64 vcc, exec, s[2:3]
	s_cbranch_vccnz .LBB203_58
; %bb.64:                               ;   in Loop: Header=BB203_59 Depth=1
	s_lshl_b32 s15, s15, 2
	s_add_i32 s15, s15, 0
	s_mov_b32 s16, s12
.LBB203_65:                             ;   Parent Loop BB203_59 Depth=1
                                        ; =>  This Inner Loop Header: Depth=2
	v_mov_b32_e32 v6, s15
	ds_read_b32 v6, v6
	v_mov_b32_e32 v7, s11
	s_add_i32 s15, s15, 4
	s_add_i32 s16, s16, -1
	s_cmp_lg_u32 s16, 0
	s_waitcnt lgkmcnt(0)
	v_cmp_gt_i32_e32 vcc, v1, v6
	s_nop 1
	v_cndmask_b32_e64 v6, 0, 1, vcc
	v_lshl_add_u64 v[4:5], v[4:5], 0, v[6:7]
	s_cbranch_scc1 .LBB203_65
	s_branch .LBB203_58
.LBB203_66:
	s_endpgm
	.section	.rodata,"a",@progbits
	.p2align	6, 0x0
	.amdhsa_kernel _ZN9rocsparseL41csrgemm_numeric_fill_block_per_row_kernelILj128ELj16ELj256ELj137ELj64Eli21rocsparse_complex_numIfEEEvT5_PKS3_S5_NS_24const_host_device_scalarIT6_EEPKT4_S5_PKS7_SB_S5_SD_S8_SB_S5_SD_SB_S5_PS7_21rocsparse_index_base_SF_SF_SF_bbb
		.amdhsa_group_segment_fixed_size 0
		.amdhsa_private_segment_fixed_size 0
		.amdhsa_kernarg_size 156
		.amdhsa_user_sgpr_count 2
		.amdhsa_user_sgpr_dispatch_ptr 0
		.amdhsa_user_sgpr_queue_ptr 0
		.amdhsa_user_sgpr_kernarg_segment_ptr 1
		.amdhsa_user_sgpr_dispatch_id 0
		.amdhsa_user_sgpr_kernarg_preload_length 0
		.amdhsa_user_sgpr_kernarg_preload_offset 0
		.amdhsa_user_sgpr_private_segment_size 0
		.amdhsa_uses_dynamic_stack 0
		.amdhsa_enable_private_segment 0
		.amdhsa_system_sgpr_workgroup_id_x 1
		.amdhsa_system_sgpr_workgroup_id_y 0
		.amdhsa_system_sgpr_workgroup_id_z 0
		.amdhsa_system_sgpr_workgroup_info 0
		.amdhsa_system_vgpr_workitem_id 0
		.amdhsa_next_free_vgpr 30
		.amdhsa_next_free_sgpr 57
		.amdhsa_accum_offset 32
		.amdhsa_reserve_vcc 1
		.amdhsa_float_round_mode_32 0
		.amdhsa_float_round_mode_16_64 0
		.amdhsa_float_denorm_mode_32 3
		.amdhsa_float_denorm_mode_16_64 3
		.amdhsa_dx10_clamp 1
		.amdhsa_ieee_mode 1
		.amdhsa_fp16_overflow 0
		.amdhsa_tg_split 0
		.amdhsa_exception_fp_ieee_invalid_op 0
		.amdhsa_exception_fp_denorm_src 0
		.amdhsa_exception_fp_ieee_div_zero 0
		.amdhsa_exception_fp_ieee_overflow 0
		.amdhsa_exception_fp_ieee_underflow 0
		.amdhsa_exception_fp_ieee_inexact 0
		.amdhsa_exception_int_div_zero 0
	.end_amdhsa_kernel
	.section	.text._ZN9rocsparseL41csrgemm_numeric_fill_block_per_row_kernelILj128ELj16ELj256ELj137ELj64Eli21rocsparse_complex_numIfEEEvT5_PKS3_S5_NS_24const_host_device_scalarIT6_EEPKT4_S5_PKS7_SB_S5_SD_S8_SB_S5_SD_SB_S5_PS7_21rocsparse_index_base_SF_SF_SF_bbb,"axG",@progbits,_ZN9rocsparseL41csrgemm_numeric_fill_block_per_row_kernelILj128ELj16ELj256ELj137ELj64Eli21rocsparse_complex_numIfEEEvT5_PKS3_S5_NS_24const_host_device_scalarIT6_EEPKT4_S5_PKS7_SB_S5_SD_S8_SB_S5_SD_SB_S5_PS7_21rocsparse_index_base_SF_SF_SF_bbb,comdat
.Lfunc_end203:
	.size	_ZN9rocsparseL41csrgemm_numeric_fill_block_per_row_kernelILj128ELj16ELj256ELj137ELj64Eli21rocsparse_complex_numIfEEEvT5_PKS3_S5_NS_24const_host_device_scalarIT6_EEPKT4_S5_PKS7_SB_S5_SD_S8_SB_S5_SD_SB_S5_PS7_21rocsparse_index_base_SF_SF_SF_bbb, .Lfunc_end203-_ZN9rocsparseL41csrgemm_numeric_fill_block_per_row_kernelILj128ELj16ELj256ELj137ELj64Eli21rocsparse_complex_numIfEEEvT5_PKS3_S5_NS_24const_host_device_scalarIT6_EEPKT4_S5_PKS7_SB_S5_SD_S8_SB_S5_SD_SB_S5_PS7_21rocsparse_index_base_SF_SF_SF_bbb
                                        ; -- End function
	.set _ZN9rocsparseL41csrgemm_numeric_fill_block_per_row_kernelILj128ELj16ELj256ELj137ELj64Eli21rocsparse_complex_numIfEEEvT5_PKS3_S5_NS_24const_host_device_scalarIT6_EEPKT4_S5_PKS7_SB_S5_SD_S8_SB_S5_SD_SB_S5_PS7_21rocsparse_index_base_SF_SF_SF_bbb.num_vgpr, 30
	.set _ZN9rocsparseL41csrgemm_numeric_fill_block_per_row_kernelILj128ELj16ELj256ELj137ELj64Eli21rocsparse_complex_numIfEEEvT5_PKS3_S5_NS_24const_host_device_scalarIT6_EEPKT4_S5_PKS7_SB_S5_SD_S8_SB_S5_SD_SB_S5_PS7_21rocsparse_index_base_SF_SF_SF_bbb.num_agpr, 0
	.set _ZN9rocsparseL41csrgemm_numeric_fill_block_per_row_kernelILj128ELj16ELj256ELj137ELj64Eli21rocsparse_complex_numIfEEEvT5_PKS3_S5_NS_24const_host_device_scalarIT6_EEPKT4_S5_PKS7_SB_S5_SD_S8_SB_S5_SD_SB_S5_PS7_21rocsparse_index_base_SF_SF_SF_bbb.numbered_sgpr, 57
	.set _ZN9rocsparseL41csrgemm_numeric_fill_block_per_row_kernelILj128ELj16ELj256ELj137ELj64Eli21rocsparse_complex_numIfEEEvT5_PKS3_S5_NS_24const_host_device_scalarIT6_EEPKT4_S5_PKS7_SB_S5_SD_S8_SB_S5_SD_SB_S5_PS7_21rocsparse_index_base_SF_SF_SF_bbb.num_named_barrier, 0
	.set _ZN9rocsparseL41csrgemm_numeric_fill_block_per_row_kernelILj128ELj16ELj256ELj137ELj64Eli21rocsparse_complex_numIfEEEvT5_PKS3_S5_NS_24const_host_device_scalarIT6_EEPKT4_S5_PKS7_SB_S5_SD_S8_SB_S5_SD_SB_S5_PS7_21rocsparse_index_base_SF_SF_SF_bbb.private_seg_size, 0
	.set _ZN9rocsparseL41csrgemm_numeric_fill_block_per_row_kernelILj128ELj16ELj256ELj137ELj64Eli21rocsparse_complex_numIfEEEvT5_PKS3_S5_NS_24const_host_device_scalarIT6_EEPKT4_S5_PKS7_SB_S5_SD_S8_SB_S5_SD_SB_S5_PS7_21rocsparse_index_base_SF_SF_SF_bbb.uses_vcc, 1
	.set _ZN9rocsparseL41csrgemm_numeric_fill_block_per_row_kernelILj128ELj16ELj256ELj137ELj64Eli21rocsparse_complex_numIfEEEvT5_PKS3_S5_NS_24const_host_device_scalarIT6_EEPKT4_S5_PKS7_SB_S5_SD_S8_SB_S5_SD_SB_S5_PS7_21rocsparse_index_base_SF_SF_SF_bbb.uses_flat_scratch, 0
	.set _ZN9rocsparseL41csrgemm_numeric_fill_block_per_row_kernelILj128ELj16ELj256ELj137ELj64Eli21rocsparse_complex_numIfEEEvT5_PKS3_S5_NS_24const_host_device_scalarIT6_EEPKT4_S5_PKS7_SB_S5_SD_S8_SB_S5_SD_SB_S5_PS7_21rocsparse_index_base_SF_SF_SF_bbb.has_dyn_sized_stack, 0
	.set _ZN9rocsparseL41csrgemm_numeric_fill_block_per_row_kernelILj128ELj16ELj256ELj137ELj64Eli21rocsparse_complex_numIfEEEvT5_PKS3_S5_NS_24const_host_device_scalarIT6_EEPKT4_S5_PKS7_SB_S5_SD_S8_SB_S5_SD_SB_S5_PS7_21rocsparse_index_base_SF_SF_SF_bbb.has_recursion, 0
	.set _ZN9rocsparseL41csrgemm_numeric_fill_block_per_row_kernelILj128ELj16ELj256ELj137ELj64Eli21rocsparse_complex_numIfEEEvT5_PKS3_S5_NS_24const_host_device_scalarIT6_EEPKT4_S5_PKS7_SB_S5_SD_S8_SB_S5_SD_SB_S5_PS7_21rocsparse_index_base_SF_SF_SF_bbb.has_indirect_call, 0
	.section	.AMDGPU.csdata,"",@progbits
; Kernel info:
; codeLenInByte = 2468
; TotalNumSgprs: 63
; NumVgprs: 30
; NumAgprs: 0
; TotalNumVgprs: 30
; ScratchSize: 0
; MemoryBound: 0
; FloatMode: 240
; IeeeMode: 1
; LDSByteSize: 0 bytes/workgroup (compile time only)
; SGPRBlocks: 7
; VGPRBlocks: 3
; NumSGPRsForWavesPerEU: 63
; NumVGPRsForWavesPerEU: 30
; AccumOffset: 32
; Occupancy: 8
; WaveLimiterHint : 1
; COMPUTE_PGM_RSRC2:SCRATCH_EN: 0
; COMPUTE_PGM_RSRC2:USER_SGPR: 2
; COMPUTE_PGM_RSRC2:TRAP_HANDLER: 0
; COMPUTE_PGM_RSRC2:TGID_X_EN: 1
; COMPUTE_PGM_RSRC2:TGID_Y_EN: 0
; COMPUTE_PGM_RSRC2:TGID_Z_EN: 0
; COMPUTE_PGM_RSRC2:TIDIG_COMP_CNT: 0
; COMPUTE_PGM_RSRC3_GFX90A:ACCUM_OFFSET: 7
; COMPUTE_PGM_RSRC3_GFX90A:TG_SPLIT: 0
	.section	.text._ZN9rocsparseL41csrgemm_numeric_fill_block_per_row_kernelILj256ELj32ELj512ELj137ELj32Eli21rocsparse_complex_numIfEEEvT5_PKS3_S5_NS_24const_host_device_scalarIT6_EEPKT4_S5_PKS7_SB_S5_SD_S8_SB_S5_SD_SB_S5_PS7_21rocsparse_index_base_SF_SF_SF_bbb,"axG",@progbits,_ZN9rocsparseL41csrgemm_numeric_fill_block_per_row_kernelILj256ELj32ELj512ELj137ELj32Eli21rocsparse_complex_numIfEEEvT5_PKS3_S5_NS_24const_host_device_scalarIT6_EEPKT4_S5_PKS7_SB_S5_SD_S8_SB_S5_SD_SB_S5_PS7_21rocsparse_index_base_SF_SF_SF_bbb,comdat
	.globl	_ZN9rocsparseL41csrgemm_numeric_fill_block_per_row_kernelILj256ELj32ELj512ELj137ELj32Eli21rocsparse_complex_numIfEEEvT5_PKS3_S5_NS_24const_host_device_scalarIT6_EEPKT4_S5_PKS7_SB_S5_SD_S8_SB_S5_SD_SB_S5_PS7_21rocsparse_index_base_SF_SF_SF_bbb ; -- Begin function _ZN9rocsparseL41csrgemm_numeric_fill_block_per_row_kernelILj256ELj32ELj512ELj137ELj32Eli21rocsparse_complex_numIfEEEvT5_PKS3_S5_NS_24const_host_device_scalarIT6_EEPKT4_S5_PKS7_SB_S5_SD_S8_SB_S5_SD_SB_S5_PS7_21rocsparse_index_base_SF_SF_SF_bbb
	.p2align	8
	.type	_ZN9rocsparseL41csrgemm_numeric_fill_block_per_row_kernelILj256ELj32ELj512ELj137ELj32Eli21rocsparse_complex_numIfEEEvT5_PKS3_S5_NS_24const_host_device_scalarIT6_EEPKT4_S5_PKS7_SB_S5_SD_S8_SB_S5_SD_SB_S5_PS7_21rocsparse_index_base_SF_SF_SF_bbb,@function
_ZN9rocsparseL41csrgemm_numeric_fill_block_per_row_kernelILj256ELj32ELj512ELj137ELj32Eli21rocsparse_complex_numIfEEEvT5_PKS3_S5_NS_24const_host_device_scalarIT6_EEPKT4_S5_PKS7_SB_S5_SD_S8_SB_S5_SD_SB_S5_PS7_21rocsparse_index_base_SF_SF_SF_bbb: ; @_ZN9rocsparseL41csrgemm_numeric_fill_block_per_row_kernelILj256ELj32ELj512ELj137ELj32Eli21rocsparse_complex_numIfEEEvT5_PKS3_S5_NS_24const_host_device_scalarIT6_EEPKT4_S5_PKS7_SB_S5_SD_S8_SB_S5_SD_SB_S5_PS7_21rocsparse_index_base_SF_SF_SF_bbb
; %bb.0:
	s_load_dwordx2 s[40:41], s[0:1], 0x70
	s_load_dwordx4 s[28:31], s[0:1], 0x60
	s_load_dwordx8 s[8:15], s[0:1], 0x40
	s_load_dword s3, s[0:1], 0x98
	s_load_dwordx4 s[36:39], s[0:1], 0x8
	s_load_dwordx8 s[16:23], s[0:1], 0x20
	s_load_dwordx2 s[34:35], s[0:1], 0x80
	s_load_dwordx4 s[24:27], s[0:1], 0x88
	s_waitcnt lgkmcnt(0)
	s_bitcmp1_b32 s3, 0
	s_cselect_b64 s[44:45], -1, 0
	s_bitcmp1_b32 s3, 16
	s_cselect_b64 s[4:5], -1, 0
	s_xor_b64 s[4:5], s[4:5], -1
	v_cndmask_b32_e64 v1, 0, 1, s[4:5]
	s_mov_b32 s7, 0
	s_bitcmp0_b32 s3, 0
	v_cmp_ne_u32_e64 s[4:5], 1, v1
	s_mov_b32 s56, 0
	s_cbranch_scc1 .LBB204_5
; %bb.1:
	s_load_dwordx2 s[6:7], s[0:1], 0x18
	s_and_b64 vcc, exec, s[4:5]
	s_waitcnt lgkmcnt(0)
	s_mov_b32 s56, s6
	s_cbranch_vccnz .LBB204_3
; %bb.2:
	s_load_dword s56, s[6:7], 0x0
.LBB204_3:
	s_and_b64 vcc, exec, s[4:5]
	s_cbranch_vccnz .LBB204_5
; %bb.4:
	s_load_dword s7, s[6:7], 0x4
.LBB204_5:
	s_bitcmp1_b32 s3, 8
	s_cselect_b64 s[42:43], -1, 0
	s_bfe_u32 s3, s3, 0x10008
	s_mov_b32 s54, 0
	s_cmp_eq_u32 s3, 0
	s_mov_b32 s55, 0
	s_cbranch_scc1 .LBB204_11
; %bb.6:
	s_and_b64 vcc, exec, s[4:5]
	s_mov_b32 s54, s12
	s_cbranch_vccnz .LBB204_8
; %bb.7:
	s_load_dword s54, s[12:13], 0x0
.LBB204_8:
	s_and_b64 vcc, exec, s[4:5]
	s_cbranch_vccnz .LBB204_10
; %bb.9:
	s_load_dword s13, s[12:13], 0x4
.LBB204_10:
	s_waitcnt lgkmcnt(0)
	s_mov_b32 s55, s13
.LBB204_11:
	s_load_dword s33, s[0:1], 0x0
	s_movk_i32 s0, 0x200
	v_cmp_gt_u32_e64 s[0:1], s0, v0
	v_lshl_add_u32 v12, v0, 3, 0
	v_lshl_add_u32 v1, v0, 2, 0
	s_and_saveexec_b64 s[4:5], s[0:1]
	s_cbranch_execz .LBB204_14
; %bb.12:
	v_add_u32_e32 v2, 0x800, v12
	v_or_b32_e32 v3, 0xffffff00, v0
	v_lshl_add_u32 v4, v0, 2, 0
	s_mov_b64 s[12:13], 0
	s_waitcnt lgkmcnt(0)
	v_mov_b32_e32 v6, s33
	v_mov_b32_e32 v5, 0
.LBB204_13:                             ; =>This Inner Loop Header: Depth=1
	v_add_co_u32_e32 v3, vcc, 0x100, v3
	s_xor_b64 s[46:47], vcc, -1
	s_and_b64 s[46:47], exec, s[46:47]
	ds_write_b32 v4, v6
	ds_write2_b32 v2, v5, v5 offset1:1
	v_add_u32_e32 v2, 0x800, v2
	s_or_b64 s[12:13], s[46:47], s[12:13]
	v_add_u32_e32 v4, 0x400, v4
	s_andn2_b64 exec, exec, s[12:13]
	s_cbranch_execnz .LBB204_13
.LBB204_14:
	s_or_b64 exec, exec, s[4:5]
	s_waitcnt lgkmcnt(0)
	s_barrier
	s_load_dword s3, s[36:37], 0x0
	v_lshrrev_b32_e32 v13, 5, v0
	s_waitcnt lgkmcnt(0)
	s_add_i32 s2, s3, s2
	s_mov_b32 s3, 0
	s_lshl_b64 s[2:3], s[2:3], 2
	s_add_u32 s2, s38, s2
	s_addc_u32 s3, s39, s3
	s_load_dword s36, s[2:3], 0x0
	s_and_b64 vcc, exec, s[44:45]
	s_cbranch_vccz .LBB204_32
; %bb.15:
	s_waitcnt lgkmcnt(0)
	s_ashr_i32 s37, s36, 31
	s_lshl_b64 s[2:3], s[36:37], 3
	s_add_u32 s2, s16, s2
	s_addc_u32 s3, s17, s3
	s_load_dwordx4 s[44:47], s[2:3], 0x0
	v_subrev_co_u32_e32 v2, vcc, s24, v13
	s_nop 1
	v_subb_co_u32_e64 v3, s[2:3], 0, 0, vcc
	s_waitcnt lgkmcnt(0)
	s_sub_u32 s2, s46, s24
	s_subb_u32 s3, s47, 0
	v_lshl_add_u64 v[2:3], s[44:45], 0, v[2:3]
	v_cmp_gt_i64_e32 vcc, s[2:3], v[2:3]
	s_and_saveexec_b64 s[4:5], vcc
	s_cbranch_execz .LBB204_31
; %bb.16:
	v_and_b32_e32 v4, 31, v0
	v_subrev_co_u32_e32 v4, vcc, s25, v4
	s_mov_b32 s6, s25
	s_nop 0
	v_subb_co_u32_e64 v5, s[12:13], 0, 0, vcc
	s_mov_b64 s[12:13], 0
	s_movk_i32 s37, 0x89
	s_branch .LBB204_18
.LBB204_17:                             ;   in Loop: Header=BB204_18 Depth=1
	s_or_b64 exec, exec, s[16:17]
	v_lshl_add_u64 v[2:3], v[2:3], 0, 8
	v_cmp_le_i64_e32 vcc, s[2:3], v[2:3]
	s_or_b64 s[12:13], vcc, s[12:13]
	s_andn2_b64 exec, exec, s[12:13]
	s_cbranch_execz .LBB204_31
.LBB204_18:                             ; =>This Loop Header: Depth=1
                                        ;     Child Loop BB204_22 Depth 2
                                        ;       Child Loop BB204_25 Depth 3
	v_lshl_add_u64 v[6:7], v[2:3], 2, s[18:19]
	global_load_dword v6, v[6:7], off
	s_waitcnt vmcnt(0)
	v_subrev_u32_e32 v6, s24, v6
	v_ashrrev_i32_e32 v7, 31, v6
	v_lshl_add_u64 v[6:7], v[6:7], 3, s[22:23]
	global_load_dwordx4 v[8:11], v[6:7], off
	s_waitcnt vmcnt(0)
	v_subrev_co_u32_e32 v6, vcc, s6, v10
	s_nop 1
	v_subbrev_co_u32_e32 v7, vcc, 0, v11, vcc
	v_lshl_add_u64 v[8:9], v[8:9], 0, v[4:5]
	v_cmp_lt_i64_e32 vcc, v[8:9], v[6:7]
	s_and_saveexec_b64 s[16:17], vcc
	s_cbranch_execz .LBB204_17
; %bb.19:                               ;   in Loop: Header=BB204_18 Depth=1
	v_lshl_add_u64 v[10:11], v[2:3], 3, s[20:21]
	global_load_dwordx2 v[10:11], v[10:11], off
	s_mov_b64 s[38:39], 0
	s_waitcnt vmcnt(0)
	v_mul_f32_e64 v14, v11, -s7
	v_mul_f32_e32 v15, s56, v11
	v_fmac_f32_e32 v14, s56, v10
	v_fmac_f32_e32 v15, s7, v10
	s_branch .LBB204_22
.LBB204_20:                             ;   in Loop: Header=BB204_22 Depth=2
	s_or_b64 exec, exec, s[46:47]
.LBB204_21:                             ;   in Loop: Header=BB204_22 Depth=2
	s_or_b64 exec, exec, s[44:45]
	s_waitcnt vmcnt(0)
	v_mul_f32_e64 v17, v11, -v15
	v_mul_f32_e32 v11, v14, v11
	v_fmac_f32_e32 v17, v14, v10
	v_fmac_f32_e32 v11, v15, v10
	v_lshl_add_u32 v10, v16, 3, 0
	ds_add_f32 v10, v17 offset:2048
	ds_add_f32 v10, v11 offset:2052
	v_lshl_add_u64 v[8:9], v[8:9], 0, 32
	v_cmp_ge_i64_e32 vcc, v[8:9], v[6:7]
	s_or_b64 s[38:39], vcc, s[38:39]
	s_andn2_b64 exec, exec, s[38:39]
	s_cbranch_execz .LBB204_17
.LBB204_22:                             ;   Parent Loop BB204_18 Depth=1
                                        ; =>  This Loop Header: Depth=2
                                        ;       Child Loop BB204_25 Depth 3
	v_lshl_add_u64 v[10:11], v[8:9], 2, s[8:9]
	global_load_dword v16, v[10:11], off
	v_lshl_add_u64 v[10:11], v[8:9], 3, s[10:11]
	global_load_dwordx2 v[10:11], v[10:11], off
	s_waitcnt vmcnt(1)
	v_subrev_u32_e32 v17, s25, v16
	v_mul_lo_u32 v16, v17, s37
	v_and_b32_e32 v16, 0x1ff, v16
	v_lshl_add_u32 v18, v16, 2, 0
	ds_read_b32 v19, v18
	s_waitcnt lgkmcnt(0)
	v_cmp_ne_u32_e32 vcc, v19, v17
	s_and_saveexec_b64 s[44:45], vcc
	s_cbranch_execz .LBB204_21
; %bb.23:                               ;   in Loop: Header=BB204_22 Depth=2
	s_mov_b64 s[46:47], 0
	s_branch .LBB204_25
.LBB204_24:                             ;   in Loop: Header=BB204_25 Depth=3
	s_or_b64 exec, exec, s[52:53]
	s_and_b64 s[48:49], exec, s[50:51]
	s_or_b64 s[46:47], s[48:49], s[46:47]
	s_andn2_b64 exec, exec, s[46:47]
	s_cbranch_execz .LBB204_20
.LBB204_25:                             ;   Parent Loop BB204_18 Depth=1
                                        ;     Parent Loop BB204_22 Depth=2
                                        ; =>    This Inner Loop Header: Depth=3
	v_cmp_ne_u32_e32 vcc, s33, v19
	s_mov_b64 s[48:49], 0
	s_and_saveexec_b64 s[50:51], vcc
	s_xor_b64 s[50:51], exec, s[50:51]
	s_cbranch_execz .LBB204_27
; %bb.26:                               ;   in Loop: Header=BB204_25 Depth=3
	v_add_u32_e32 v16, 1, v16
	s_mov_b64 s[48:49], exec
	v_and_b32_e32 v16, 0x1ff, v16
                                        ; implicit-def: $vgpr18
	s_andn2_saveexec_b64 s[50:51], s[50:51]
	s_cbranch_execz .LBB204_29
	s_branch .LBB204_28
.LBB204_27:                             ;   in Loop: Header=BB204_25 Depth=3
	s_andn2_saveexec_b64 s[50:51], s[50:51]
	s_cbranch_execz .LBB204_29
.LBB204_28:                             ;   in Loop: Header=BB204_25 Depth=3
	v_mov_b32_e32 v19, s33
	ds_cmpst_rtn_b32 v18, v18, v19, v17
	s_andn2_b64 s[48:49], s[48:49], exec
	s_waitcnt lgkmcnt(0)
	v_cmp_ne_u32_e32 vcc, s33, v18
	s_and_b64 s[52:53], vcc, exec
	s_or_b64 s[48:49], s[48:49], s[52:53]
.LBB204_29:                             ;   in Loop: Header=BB204_25 Depth=3
	s_or_b64 exec, exec, s[50:51]
	s_mov_b64 s[50:51], -1
                                        ; implicit-def: $vgpr18
                                        ; implicit-def: $vgpr19
	s_and_saveexec_b64 s[52:53], s[48:49]
	s_cbranch_execz .LBB204_24
; %bb.30:                               ;   in Loop: Header=BB204_25 Depth=3
	v_lshl_add_u32 v18, v16, 2, 0
	ds_read_b32 v19, v18
	s_waitcnt lgkmcnt(0)
	v_cmp_eq_u32_e32 vcc, v19, v17
	s_orn2_b64 s[50:51], vcc, exec
	s_branch .LBB204_24
.LBB204_31:
	s_or_b64 exec, exec, s[4:5]
.LBB204_32:
	s_andn2_b64 vcc, exec, s[42:43]
	s_cbranch_vccnz .LBB204_47
; %bb.33:
	s_waitcnt lgkmcnt(0)
	s_ashr_i32 s37, s36, 31
	s_lshl_b64 s[2:3], s[36:37], 3
	s_add_u32 s2, s14, s2
	s_addc_u32 s3, s15, s3
	s_load_dwordx4 s[4:7], s[2:3], 0x0
	v_subrev_co_u32_e32 v2, vcc, s27, v0
	s_nop 1
	v_subb_co_u32_e64 v3, s[2:3], 0, 0, vcc
	s_waitcnt lgkmcnt(0)
	s_sub_u32 s2, s6, s27
	s_subb_u32 s3, s7, 0
	v_lshl_add_u64 v[2:3], s[4:5], 0, v[2:3]
	v_cmp_gt_i64_e32 vcc, s[2:3], v[2:3]
	s_and_saveexec_b64 s[4:5], vcc
	s_cbranch_execz .LBB204_46
; %bb.34:
	s_mov_b64 s[6:7], 0
	s_movk_i32 s20, 0x89
	s_mov_b64 s[8:9], 0x100
	s_branch .LBB204_37
.LBB204_35:                             ;   in Loop: Header=BB204_37 Depth=1
	s_or_b64 exec, exec, s[12:13]
.LBB204_36:                             ;   in Loop: Header=BB204_37 Depth=1
	s_or_b64 exec, exec, s[10:11]
	s_waitcnt vmcnt(0)
	v_mul_f32_e64 v7, v5, -s55
	v_mul_f32_e32 v5, s54, v5
	v_fmac_f32_e32 v7, s54, v4
	v_fmac_f32_e32 v5, s55, v4
	v_lshl_add_u32 v4, v6, 3, 0
	ds_add_f32 v4, v7 offset:2048
	ds_add_f32 v4, v5 offset:2052
	v_lshl_add_u64 v[2:3], v[2:3], 0, s[8:9]
	v_cmp_le_i64_e32 vcc, s[2:3], v[2:3]
	s_or_b64 s[6:7], vcc, s[6:7]
	s_andn2_b64 exec, exec, s[6:7]
	s_cbranch_execz .LBB204_46
.LBB204_37:                             ; =>This Loop Header: Depth=1
                                        ;     Child Loop BB204_40 Depth 2
	v_lshl_add_u64 v[4:5], v[2:3], 2, s[28:29]
	global_load_dword v6, v[4:5], off
	v_lshl_add_u64 v[4:5], v[2:3], 3, s[30:31]
	global_load_dwordx2 v[4:5], v[4:5], off
	s_waitcnt vmcnt(1)
	v_subrev_u32_e32 v7, s27, v6
	v_mul_lo_u32 v6, v7, s20
	v_and_b32_e32 v6, 0x1ff, v6
	v_lshl_add_u32 v8, v6, 2, 0
	ds_read_b32 v9, v8
	s_waitcnt lgkmcnt(0)
	v_cmp_ne_u32_e32 vcc, v9, v7
	s_and_saveexec_b64 s[10:11], vcc
	s_cbranch_execz .LBB204_36
; %bb.38:                               ;   in Loop: Header=BB204_37 Depth=1
	s_mov_b64 s[12:13], 0
	s_branch .LBB204_40
.LBB204_39:                             ;   in Loop: Header=BB204_40 Depth=2
	s_or_b64 exec, exec, s[18:19]
	s_and_b64 s[14:15], exec, s[16:17]
	s_or_b64 s[12:13], s[14:15], s[12:13]
	s_andn2_b64 exec, exec, s[12:13]
	s_cbranch_execz .LBB204_35
.LBB204_40:                             ;   Parent Loop BB204_37 Depth=1
                                        ; =>  This Inner Loop Header: Depth=2
	v_cmp_ne_u32_e32 vcc, s33, v9
	s_mov_b64 s[14:15], 0
	s_and_saveexec_b64 s[16:17], vcc
	s_xor_b64 s[16:17], exec, s[16:17]
	s_cbranch_execz .LBB204_42
; %bb.41:                               ;   in Loop: Header=BB204_40 Depth=2
	v_add_u32_e32 v6, 1, v6
	s_mov_b64 s[14:15], exec
	v_and_b32_e32 v6, 0x1ff, v6
                                        ; implicit-def: $vgpr8
	s_andn2_saveexec_b64 s[16:17], s[16:17]
	s_cbranch_execz .LBB204_44
	s_branch .LBB204_43
.LBB204_42:                             ;   in Loop: Header=BB204_40 Depth=2
	s_andn2_saveexec_b64 s[16:17], s[16:17]
	s_cbranch_execz .LBB204_44
.LBB204_43:                             ;   in Loop: Header=BB204_40 Depth=2
	v_mov_b32_e32 v9, s33
	ds_cmpst_rtn_b32 v8, v8, v9, v7
	s_andn2_b64 s[14:15], s[14:15], exec
	s_waitcnt lgkmcnt(0)
	v_cmp_ne_u32_e32 vcc, s33, v8
	s_and_b64 s[18:19], vcc, exec
	s_or_b64 s[14:15], s[14:15], s[18:19]
.LBB204_44:                             ;   in Loop: Header=BB204_40 Depth=2
	s_or_b64 exec, exec, s[16:17]
	s_mov_b64 s[16:17], -1
                                        ; implicit-def: $vgpr8
                                        ; implicit-def: $vgpr9
	s_and_saveexec_b64 s[18:19], s[14:15]
	s_cbranch_execz .LBB204_39
; %bb.45:                               ;   in Loop: Header=BB204_40 Depth=2
	v_lshl_add_u32 v8, v6, 2, 0
	ds_read_b32 v9, v8
	s_waitcnt lgkmcnt(0)
	v_cmp_eq_u32_e32 vcc, v9, v7
	s_orn2_b64 s[16:17], vcc, exec
	s_branch .LBB204_39
.LBB204_46:
	s_or_b64 exec, exec, s[4:5]
.LBB204_47:
	s_waitcnt lgkmcnt(0)
	s_barrier
	s_and_saveexec_b64 s[16:17], s[0:1]
	s_cbranch_execz .LBB204_68
; %bb.48:
	v_mbcnt_lo_u32_b32 v2, -1, 0
	v_mbcnt_hi_u32_b32 v2, -1, v2
	v_sub_u32_e32 v2, 63, v2
	s_movk_i32 s0, 0xff
	s_movk_i32 s6, 0x5f
	s_movk_i32 s8, 0x7f
	s_movk_i32 s10, 0x9f
	s_movk_i32 s12, 0xbf
	s_movk_i32 s14, 0xdf
	v_mov_b32_e32 v6, 0
	v_lshrrev_b64 v[2:3], v2, -1
	v_lshl_add_u32 v7, v13, 2, 0
	v_cmp_eq_u32_e64 s[0:1], s0, v0
	v_cmp_lt_u32_e64 s[2:3], 31, v0
	v_cmp_lt_u32_e64 s[4:5], 63, v0
	;; [unrolled: 1-line block ×7, first 2 shown]
	v_add_u32_e32 v8, 0x800, v12
	v_or_b32_e32 v9, 0xffffff00, v0
	s_mov_b64 s[18:19], 0
	v_mov_b32_e32 v10, 0
	s_branch .LBB204_50
.LBB204_49:                             ;   in Loop: Header=BB204_50 Depth=1
	s_or_b64 exec, exec, s[20:21]
	s_waitcnt lgkmcnt(0)
	s_barrier
	ds_read_b32 v4, v6 offset:6172
	v_add_co_u32_e32 v9, vcc, 0x100, v9
	s_xor_b64 s[20:21], vcc, -1
	s_and_b64 s[20:21], exec, s[20:21]
	v_add_u32_e32 v8, 0x800, v8
	s_waitcnt lgkmcnt(0)
	v_add_u32_e32 v10, v4, v10
	s_or_b64 s[18:19], s[20:21], s[18:19]
	v_add_u32_e32 v1, 0x400, v1
	s_andn2_b64 exec, exec, s[18:19]
	s_cbranch_execz .LBB204_68
.LBB204_50:                             ; =>This Inner Loop Header: Depth=1
	ds_read_b32 v11, v1
	ds_read2_b32 v[4:5], v8 offset1:1
	s_waitcnt lgkmcnt(0)
	s_barrier
	v_cmp_gt_i32_e32 vcc, s33, v11
	s_bcnt1_i32_b64 s20, vcc
	s_nop 0
	v_and_b32_e32 v13, vcc_lo, v2
	v_and_b32_e32 v12, vcc_hi, v3
	v_bcnt_u32_b32 v13, v13, 0
	v_bcnt_u32_b32 v12, v12, v13
	v_mov_b32_e32 v13, s20
	ds_write_b32 v7, v13 offset:6144
	s_waitcnt lgkmcnt(0)
	s_barrier
	s_and_saveexec_b64 s[20:21], s[2:3]
	s_cbranch_execz .LBB204_59
; %bb.51:                               ;   in Loop: Header=BB204_50 Depth=1
	ds_read_b32 v13, v6 offset:6144
	s_waitcnt lgkmcnt(0)
	v_add_u32_e32 v12, v13, v12
	s_or_b64 exec, exec, s[20:21]
	s_and_saveexec_b64 s[20:21], s[4:5]
	s_cbranch_execnz .LBB204_60
.LBB204_52:                             ;   in Loop: Header=BB204_50 Depth=1
	s_or_b64 exec, exec, s[20:21]
	s_and_saveexec_b64 s[20:21], s[6:7]
	s_cbranch_execz .LBB204_61
.LBB204_53:                             ;   in Loop: Header=BB204_50 Depth=1
	ds_read_b32 v13, v6 offset:6152
	s_waitcnt lgkmcnt(0)
	v_add_u32_e32 v12, v13, v12
	s_or_b64 exec, exec, s[20:21]
	s_and_saveexec_b64 s[20:21], s[8:9]
	s_cbranch_execnz .LBB204_62
.LBB204_54:                             ;   in Loop: Header=BB204_50 Depth=1
	s_or_b64 exec, exec, s[20:21]
	s_and_saveexec_b64 s[20:21], s[10:11]
	s_cbranch_execz .LBB204_63
.LBB204_55:                             ;   in Loop: Header=BB204_50 Depth=1
	ds_read_b32 v13, v6 offset:6160
	s_waitcnt lgkmcnt(0)
	v_add_u32_e32 v12, v13, v12
	s_or_b64 exec, exec, s[20:21]
	s_and_saveexec_b64 s[20:21], s[12:13]
	s_cbranch_execnz .LBB204_64
.LBB204_56:                             ;   in Loop: Header=BB204_50 Depth=1
	s_or_b64 exec, exec, s[20:21]
	s_and_saveexec_b64 s[20:21], s[14:15]
	s_cbranch_execz .LBB204_65
.LBB204_57:                             ;   in Loop: Header=BB204_50 Depth=1
	ds_read_b32 v13, v6 offset:6168
	s_waitcnt lgkmcnt(0)
	v_add_u32_e32 v12, v13, v12
	s_or_b64 exec, exec, s[20:21]
	s_and_saveexec_b64 s[20:21], vcc
	s_cbranch_execnz .LBB204_66
.LBB204_58:                             ;   in Loop: Header=BB204_50 Depth=1
	s_or_b64 exec, exec, s[20:21]
	s_and_saveexec_b64 s[20:21], s[0:1]
	s_cbranch_execz .LBB204_49
	s_branch .LBB204_67
.LBB204_59:                             ;   in Loop: Header=BB204_50 Depth=1
	s_or_b64 exec, exec, s[20:21]
	s_and_saveexec_b64 s[20:21], s[4:5]
	s_cbranch_execz .LBB204_52
.LBB204_60:                             ;   in Loop: Header=BB204_50 Depth=1
	ds_read_b32 v13, v6 offset:6148
	s_waitcnt lgkmcnt(0)
	v_add_u32_e32 v12, v13, v12
	s_or_b64 exec, exec, s[20:21]
	s_and_saveexec_b64 s[20:21], s[6:7]
	s_cbranch_execnz .LBB204_53
.LBB204_61:                             ;   in Loop: Header=BB204_50 Depth=1
	s_or_b64 exec, exec, s[20:21]
	s_and_saveexec_b64 s[20:21], s[8:9]
	s_cbranch_execz .LBB204_54
.LBB204_62:                             ;   in Loop: Header=BB204_50 Depth=1
	ds_read_b32 v13, v6 offset:6156
	s_waitcnt lgkmcnt(0)
	v_add_u32_e32 v12, v13, v12
	s_or_b64 exec, exec, s[20:21]
	s_and_saveexec_b64 s[20:21], s[10:11]
	s_cbranch_execnz .LBB204_55
.LBB204_63:                             ;   in Loop: Header=BB204_50 Depth=1
	s_or_b64 exec, exec, s[20:21]
	s_and_saveexec_b64 s[20:21], s[12:13]
	s_cbranch_execz .LBB204_56
.LBB204_64:                             ;   in Loop: Header=BB204_50 Depth=1
	ds_read_b32 v13, v6 offset:6164
	s_waitcnt lgkmcnt(0)
	v_add_u32_e32 v12, v13, v12
	s_or_b64 exec, exec, s[20:21]
	s_and_saveexec_b64 s[20:21], s[14:15]
	s_cbranch_execnz .LBB204_57
.LBB204_65:                             ;   in Loop: Header=BB204_50 Depth=1
	s_or_b64 exec, exec, s[20:21]
	s_and_saveexec_b64 s[20:21], vcc
	s_cbranch_execz .LBB204_58
.LBB204_66:                             ;   in Loop: Header=BB204_50 Depth=1
	v_add3_u32 v13, v10, -1, v12
	v_add_u32_e32 v14, v10, v12
	v_lshl_add_u32 v13, v13, 2, 0
	v_lshl_add_u32 v14, v14, 3, 0
	v_add_u32_e32 v14, 0x7f8, v14
	ds_write_b32 v13, v11
	ds_write2_b32 v14, v4, v5 offset1:1
	s_or_b64 exec, exec, s[20:21]
	s_and_saveexec_b64 s[20:21], s[0:1]
	s_cbranch_execz .LBB204_49
.LBB204_67:                             ;   in Loop: Header=BB204_50 Depth=1
	ds_write_b32 v6, v12 offset:6172
	s_branch .LBB204_49
.LBB204_68:
	s_or_b64 exec, exec, s[16:17]
	s_ashr_i32 s37, s36, 31
	s_lshl_b64 s[0:1], s[36:37], 3
	s_add_u32 s4, s40, s0
	s_addc_u32 s5, s41, s1
	s_load_dwordx4 s[0:3], s[4:5], 0x0
	s_waitcnt lgkmcnt(0)
	s_sub_i32 s8, s2, s0
	v_cmp_gt_i32_e32 vcc, s8, v0
	s_and_saveexec_b64 s[4:5], vcc
	s_cbranch_execz .LBB204_78
; %bb.69:
	s_sub_u32 s4, s0, s26
	s_subb_u32 s5, s1, 0
	s_and_b32 s10, s8, 7
	s_sub_i32 s0, s0, s2
	s_cmp_lt_u32 s0, -7
	s_cselect_b64 s[0:1], -1, 0
	s_and_b32 s11, s8, -8
	s_cmp_lg_u32 s10, 0
	v_cndmask_b32_e64 v1, 0, 1, s[0:1]
	s_cselect_b64 s[2:3], -1, 0
	v_cmp_ne_u32_e64 s[0:1], 1, v1
	v_cndmask_b32_e64 v1, 0, 1, s[2:3]
	s_mov_b32 s9, 0
	s_mov_b64 s[6:7], 0
	s_movk_i32 s12, 0x800
	v_cmp_ne_u32_e64 s[2:3], 1, v1
	s_branch .LBB204_71
.LBB204_70:                             ;   in Loop: Header=BB204_71 Depth=1
	v_add_u32_e32 v0, 0x100, v0
	v_cmp_le_i32_e32 vcc, s8, v0
	v_lshl_add_u64 v[4:5], v[4:5], 3, s[34:35]
	s_or_b64 s[6:7], vcc, s[6:7]
	s_waitcnt lgkmcnt(0)
	global_store_dwordx2 v[4:5], v[2:3], off
	s_andn2_b64 exec, exec, s[6:7]
	s_cbranch_execz .LBB204_78
.LBB204_71:                             ; =>This Loop Header: Depth=1
                                        ;     Child Loop BB204_73 Depth 2
                                        ;     Child Loop BB204_77 Depth 2
	v_lshlrev_b32_e32 v1, 2, v0
	v_add_u32_e32 v2, 0, v1
	v_add3_u32 v3, v2, v1, s12
	ds_read_b32 v1, v2
	ds_read2_b32 v[2:3], v3 offset1:1
	s_and_b64 vcc, exec, s[0:1]
	v_mov_b64_e32 v[4:5], s[4:5]
	s_mov_b32 s13, 0
	s_cbranch_vccnz .LBB204_75
; %bb.72:                               ;   in Loop: Header=BB204_71 Depth=1
	s_mov_b32 s14, 0
	v_mov_b64_e32 v[4:5], s[4:5]
.LBB204_73:                             ;   Parent Loop BB204_71 Depth=1
                                        ; =>  This Inner Loop Header: Depth=2
	v_mov_b32_e32 v6, s14
	ds_read2_b32 v[22:23], v6 offset1:1
	ds_read2_b32 v[24:25], v6 offset0:2 offset1:3
	ds_read2_b32 v[26:27], v6 offset0:4 offset1:5
	ds_read2_b32 v[28:29], v6 offset0:6 offset1:7
	v_mov_b32_e32 v7, s9
	s_waitcnt lgkmcnt(3)
	v_cmp_gt_i32_e32 vcc, v1, v22
	v_mov_b32_e32 v9, s9
	v_mov_b32_e32 v11, s9
	v_cndmask_b32_e64 v6, 0, 1, vcc
	v_cmp_gt_i32_e32 vcc, v1, v23
	v_lshl_add_u64 v[4:5], v[4:5], 0, v[6:7]
	v_mov_b32_e32 v13, s9
	v_cndmask_b32_e64 v8, 0, 1, vcc
	s_waitcnt lgkmcnt(2)
	v_cmp_gt_i32_e32 vcc, v1, v24
	v_lshl_add_u64 v[4:5], v[4:5], 0, v[8:9]
	v_mov_b32_e32 v15, s9
	v_cndmask_b32_e64 v10, 0, 1, vcc
	v_cmp_gt_i32_e32 vcc, v1, v25
	v_lshl_add_u64 v[4:5], v[4:5], 0, v[10:11]
	v_mov_b32_e32 v17, s9
	v_cndmask_b32_e64 v12, 0, 1, vcc
	s_waitcnt lgkmcnt(1)
	v_cmp_gt_i32_e32 vcc, v1, v26
	v_lshl_add_u64 v[4:5], v[4:5], 0, v[12:13]
	v_mov_b32_e32 v19, s9
	v_cndmask_b32_e64 v14, 0, 1, vcc
	v_cmp_gt_i32_e32 vcc, v1, v27
	v_lshl_add_u64 v[4:5], v[4:5], 0, v[14:15]
	v_mov_b32_e32 v21, s9
	v_cndmask_b32_e64 v16, 0, 1, vcc
	s_waitcnt lgkmcnt(0)
	v_cmp_gt_i32_e32 vcc, v1, v28
	v_lshl_add_u64 v[4:5], v[4:5], 0, v[16:17]
	s_add_i32 s13, s13, 8
	v_cndmask_b32_e64 v18, 0, 1, vcc
	v_cmp_gt_i32_e32 vcc, v1, v29
	s_add_i32 s14, s14, 32
	v_lshl_add_u64 v[4:5], v[4:5], 0, v[18:19]
	v_cndmask_b32_e64 v20, 0, 1, vcc
	s_cmp_eq_u32 s11, s13
	v_lshl_add_u64 v[4:5], v[4:5], 0, v[20:21]
	s_cbranch_scc0 .LBB204_73
; %bb.74:                               ;   in Loop: Header=BB204_71 Depth=1
	s_mov_b32 s13, s11
.LBB204_75:                             ;   in Loop: Header=BB204_71 Depth=1
	s_and_b64 vcc, exec, s[2:3]
	s_cbranch_vccnz .LBB204_70
; %bb.76:                               ;   in Loop: Header=BB204_71 Depth=1
	s_lshl_b32 s13, s13, 2
	s_add_i32 s13, s13, 0
	s_mov_b32 s14, s10
.LBB204_77:                             ;   Parent Loop BB204_71 Depth=1
                                        ; =>  This Inner Loop Header: Depth=2
	v_mov_b32_e32 v6, s13
	ds_read_b32 v6, v6
	v_mov_b32_e32 v7, s9
	s_add_i32 s13, s13, 4
	s_add_i32 s14, s14, -1
	s_cmp_lg_u32 s14, 0
	s_waitcnt lgkmcnt(0)
	v_cmp_gt_i32_e32 vcc, v1, v6
	s_nop 1
	v_cndmask_b32_e64 v6, 0, 1, vcc
	v_lshl_add_u64 v[4:5], v[4:5], 0, v[6:7]
	s_cbranch_scc1 .LBB204_77
	s_branch .LBB204_70
.LBB204_78:
	s_endpgm
	.section	.rodata,"a",@progbits
	.p2align	6, 0x0
	.amdhsa_kernel _ZN9rocsparseL41csrgemm_numeric_fill_block_per_row_kernelILj256ELj32ELj512ELj137ELj32Eli21rocsparse_complex_numIfEEEvT5_PKS3_S5_NS_24const_host_device_scalarIT6_EEPKT4_S5_PKS7_SB_S5_SD_S8_SB_S5_SD_SB_S5_PS7_21rocsparse_index_base_SF_SF_SF_bbb
		.amdhsa_group_segment_fixed_size 0
		.amdhsa_private_segment_fixed_size 0
		.amdhsa_kernarg_size 156
		.amdhsa_user_sgpr_count 2
		.amdhsa_user_sgpr_dispatch_ptr 0
		.amdhsa_user_sgpr_queue_ptr 0
		.amdhsa_user_sgpr_kernarg_segment_ptr 1
		.amdhsa_user_sgpr_dispatch_id 0
		.amdhsa_user_sgpr_kernarg_preload_length 0
		.amdhsa_user_sgpr_kernarg_preload_offset 0
		.amdhsa_user_sgpr_private_segment_size 0
		.amdhsa_uses_dynamic_stack 0
		.amdhsa_enable_private_segment 0
		.amdhsa_system_sgpr_workgroup_id_x 1
		.amdhsa_system_sgpr_workgroup_id_y 0
		.amdhsa_system_sgpr_workgroup_id_z 0
		.amdhsa_system_sgpr_workgroup_info 0
		.amdhsa_system_vgpr_workitem_id 0
		.amdhsa_next_free_vgpr 30
		.amdhsa_next_free_sgpr 57
		.amdhsa_accum_offset 32
		.amdhsa_reserve_vcc 1
		.amdhsa_float_round_mode_32 0
		.amdhsa_float_round_mode_16_64 0
		.amdhsa_float_denorm_mode_32 3
		.amdhsa_float_denorm_mode_16_64 3
		.amdhsa_dx10_clamp 1
		.amdhsa_ieee_mode 1
		.amdhsa_fp16_overflow 0
		.amdhsa_tg_split 0
		.amdhsa_exception_fp_ieee_invalid_op 0
		.amdhsa_exception_fp_denorm_src 0
		.amdhsa_exception_fp_ieee_div_zero 0
		.amdhsa_exception_fp_ieee_overflow 0
		.amdhsa_exception_fp_ieee_underflow 0
		.amdhsa_exception_fp_ieee_inexact 0
		.amdhsa_exception_int_div_zero 0
	.end_amdhsa_kernel
	.section	.text._ZN9rocsparseL41csrgemm_numeric_fill_block_per_row_kernelILj256ELj32ELj512ELj137ELj32Eli21rocsparse_complex_numIfEEEvT5_PKS3_S5_NS_24const_host_device_scalarIT6_EEPKT4_S5_PKS7_SB_S5_SD_S8_SB_S5_SD_SB_S5_PS7_21rocsparse_index_base_SF_SF_SF_bbb,"axG",@progbits,_ZN9rocsparseL41csrgemm_numeric_fill_block_per_row_kernelILj256ELj32ELj512ELj137ELj32Eli21rocsparse_complex_numIfEEEvT5_PKS3_S5_NS_24const_host_device_scalarIT6_EEPKT4_S5_PKS7_SB_S5_SD_S8_SB_S5_SD_SB_S5_PS7_21rocsparse_index_base_SF_SF_SF_bbb,comdat
.Lfunc_end204:
	.size	_ZN9rocsparseL41csrgemm_numeric_fill_block_per_row_kernelILj256ELj32ELj512ELj137ELj32Eli21rocsparse_complex_numIfEEEvT5_PKS3_S5_NS_24const_host_device_scalarIT6_EEPKT4_S5_PKS7_SB_S5_SD_S8_SB_S5_SD_SB_S5_PS7_21rocsparse_index_base_SF_SF_SF_bbb, .Lfunc_end204-_ZN9rocsparseL41csrgemm_numeric_fill_block_per_row_kernelILj256ELj32ELj512ELj137ELj32Eli21rocsparse_complex_numIfEEEvT5_PKS3_S5_NS_24const_host_device_scalarIT6_EEPKT4_S5_PKS7_SB_S5_SD_S8_SB_S5_SD_SB_S5_PS7_21rocsparse_index_base_SF_SF_SF_bbb
                                        ; -- End function
	.set _ZN9rocsparseL41csrgemm_numeric_fill_block_per_row_kernelILj256ELj32ELj512ELj137ELj32Eli21rocsparse_complex_numIfEEEvT5_PKS3_S5_NS_24const_host_device_scalarIT6_EEPKT4_S5_PKS7_SB_S5_SD_S8_SB_S5_SD_SB_S5_PS7_21rocsparse_index_base_SF_SF_SF_bbb.num_vgpr, 30
	.set _ZN9rocsparseL41csrgemm_numeric_fill_block_per_row_kernelILj256ELj32ELj512ELj137ELj32Eli21rocsparse_complex_numIfEEEvT5_PKS3_S5_NS_24const_host_device_scalarIT6_EEPKT4_S5_PKS7_SB_S5_SD_S8_SB_S5_SD_SB_S5_PS7_21rocsparse_index_base_SF_SF_SF_bbb.num_agpr, 0
	.set _ZN9rocsparseL41csrgemm_numeric_fill_block_per_row_kernelILj256ELj32ELj512ELj137ELj32Eli21rocsparse_complex_numIfEEEvT5_PKS3_S5_NS_24const_host_device_scalarIT6_EEPKT4_S5_PKS7_SB_S5_SD_S8_SB_S5_SD_SB_S5_PS7_21rocsparse_index_base_SF_SF_SF_bbb.numbered_sgpr, 57
	.set _ZN9rocsparseL41csrgemm_numeric_fill_block_per_row_kernelILj256ELj32ELj512ELj137ELj32Eli21rocsparse_complex_numIfEEEvT5_PKS3_S5_NS_24const_host_device_scalarIT6_EEPKT4_S5_PKS7_SB_S5_SD_S8_SB_S5_SD_SB_S5_PS7_21rocsparse_index_base_SF_SF_SF_bbb.num_named_barrier, 0
	.set _ZN9rocsparseL41csrgemm_numeric_fill_block_per_row_kernelILj256ELj32ELj512ELj137ELj32Eli21rocsparse_complex_numIfEEEvT5_PKS3_S5_NS_24const_host_device_scalarIT6_EEPKT4_S5_PKS7_SB_S5_SD_S8_SB_S5_SD_SB_S5_PS7_21rocsparse_index_base_SF_SF_SF_bbb.private_seg_size, 0
	.set _ZN9rocsparseL41csrgemm_numeric_fill_block_per_row_kernelILj256ELj32ELj512ELj137ELj32Eli21rocsparse_complex_numIfEEEvT5_PKS3_S5_NS_24const_host_device_scalarIT6_EEPKT4_S5_PKS7_SB_S5_SD_S8_SB_S5_SD_SB_S5_PS7_21rocsparse_index_base_SF_SF_SF_bbb.uses_vcc, 1
	.set _ZN9rocsparseL41csrgemm_numeric_fill_block_per_row_kernelILj256ELj32ELj512ELj137ELj32Eli21rocsparse_complex_numIfEEEvT5_PKS3_S5_NS_24const_host_device_scalarIT6_EEPKT4_S5_PKS7_SB_S5_SD_S8_SB_S5_SD_SB_S5_PS7_21rocsparse_index_base_SF_SF_SF_bbb.uses_flat_scratch, 0
	.set _ZN9rocsparseL41csrgemm_numeric_fill_block_per_row_kernelILj256ELj32ELj512ELj137ELj32Eli21rocsparse_complex_numIfEEEvT5_PKS3_S5_NS_24const_host_device_scalarIT6_EEPKT4_S5_PKS7_SB_S5_SD_S8_SB_S5_SD_SB_S5_PS7_21rocsparse_index_base_SF_SF_SF_bbb.has_dyn_sized_stack, 0
	.set _ZN9rocsparseL41csrgemm_numeric_fill_block_per_row_kernelILj256ELj32ELj512ELj137ELj32Eli21rocsparse_complex_numIfEEEvT5_PKS3_S5_NS_24const_host_device_scalarIT6_EEPKT4_S5_PKS7_SB_S5_SD_S8_SB_S5_SD_SB_S5_PS7_21rocsparse_index_base_SF_SF_SF_bbb.has_recursion, 0
	.set _ZN9rocsparseL41csrgemm_numeric_fill_block_per_row_kernelILj256ELj32ELj512ELj137ELj32Eli21rocsparse_complex_numIfEEEvT5_PKS3_S5_NS_24const_host_device_scalarIT6_EEPKT4_S5_PKS7_SB_S5_SD_S8_SB_S5_SD_SB_S5_PS7_21rocsparse_index_base_SF_SF_SF_bbb.has_indirect_call, 0
	.section	.AMDGPU.csdata,"",@progbits
; Kernel info:
; codeLenInByte = 2784
; TotalNumSgprs: 63
; NumVgprs: 30
; NumAgprs: 0
; TotalNumVgprs: 30
; ScratchSize: 0
; MemoryBound: 0
; FloatMode: 240
; IeeeMode: 1
; LDSByteSize: 0 bytes/workgroup (compile time only)
; SGPRBlocks: 7
; VGPRBlocks: 3
; NumSGPRsForWavesPerEU: 63
; NumVGPRsForWavesPerEU: 30
; AccumOffset: 32
; Occupancy: 8
; WaveLimiterHint : 1
; COMPUTE_PGM_RSRC2:SCRATCH_EN: 0
; COMPUTE_PGM_RSRC2:USER_SGPR: 2
; COMPUTE_PGM_RSRC2:TRAP_HANDLER: 0
; COMPUTE_PGM_RSRC2:TGID_X_EN: 1
; COMPUTE_PGM_RSRC2:TGID_Y_EN: 0
; COMPUTE_PGM_RSRC2:TGID_Z_EN: 0
; COMPUTE_PGM_RSRC2:TIDIG_COMP_CNT: 0
; COMPUTE_PGM_RSRC3_GFX90A:ACCUM_OFFSET: 7
; COMPUTE_PGM_RSRC3_GFX90A:TG_SPLIT: 0
	.section	.text._ZN9rocsparseL41csrgemm_numeric_fill_block_per_row_kernelILj256ELj32ELj512ELj137ELj64Eli21rocsparse_complex_numIfEEEvT5_PKS3_S5_NS_24const_host_device_scalarIT6_EEPKT4_S5_PKS7_SB_S5_SD_S8_SB_S5_SD_SB_S5_PS7_21rocsparse_index_base_SF_SF_SF_bbb,"axG",@progbits,_ZN9rocsparseL41csrgemm_numeric_fill_block_per_row_kernelILj256ELj32ELj512ELj137ELj64Eli21rocsparse_complex_numIfEEEvT5_PKS3_S5_NS_24const_host_device_scalarIT6_EEPKT4_S5_PKS7_SB_S5_SD_S8_SB_S5_SD_SB_S5_PS7_21rocsparse_index_base_SF_SF_SF_bbb,comdat
	.globl	_ZN9rocsparseL41csrgemm_numeric_fill_block_per_row_kernelILj256ELj32ELj512ELj137ELj64Eli21rocsparse_complex_numIfEEEvT5_PKS3_S5_NS_24const_host_device_scalarIT6_EEPKT4_S5_PKS7_SB_S5_SD_S8_SB_S5_SD_SB_S5_PS7_21rocsparse_index_base_SF_SF_SF_bbb ; -- Begin function _ZN9rocsparseL41csrgemm_numeric_fill_block_per_row_kernelILj256ELj32ELj512ELj137ELj64Eli21rocsparse_complex_numIfEEEvT5_PKS3_S5_NS_24const_host_device_scalarIT6_EEPKT4_S5_PKS7_SB_S5_SD_S8_SB_S5_SD_SB_S5_PS7_21rocsparse_index_base_SF_SF_SF_bbb
	.p2align	8
	.type	_ZN9rocsparseL41csrgemm_numeric_fill_block_per_row_kernelILj256ELj32ELj512ELj137ELj64Eli21rocsparse_complex_numIfEEEvT5_PKS3_S5_NS_24const_host_device_scalarIT6_EEPKT4_S5_PKS7_SB_S5_SD_S8_SB_S5_SD_SB_S5_PS7_21rocsparse_index_base_SF_SF_SF_bbb,@function
_ZN9rocsparseL41csrgemm_numeric_fill_block_per_row_kernelILj256ELj32ELj512ELj137ELj64Eli21rocsparse_complex_numIfEEEvT5_PKS3_S5_NS_24const_host_device_scalarIT6_EEPKT4_S5_PKS7_SB_S5_SD_S8_SB_S5_SD_SB_S5_PS7_21rocsparse_index_base_SF_SF_SF_bbb: ; @_ZN9rocsparseL41csrgemm_numeric_fill_block_per_row_kernelILj256ELj32ELj512ELj137ELj64Eli21rocsparse_complex_numIfEEEvT5_PKS3_S5_NS_24const_host_device_scalarIT6_EEPKT4_S5_PKS7_SB_S5_SD_S8_SB_S5_SD_SB_S5_PS7_21rocsparse_index_base_SF_SF_SF_bbb
; %bb.0:
	s_load_dwordx2 s[40:41], s[0:1], 0x70
	s_load_dwordx4 s[28:31], s[0:1], 0x60
	s_load_dwordx8 s[8:15], s[0:1], 0x40
	s_load_dword s3, s[0:1], 0x98
	s_load_dwordx4 s[36:39], s[0:1], 0x8
	s_load_dwordx8 s[16:23], s[0:1], 0x20
	s_load_dwordx2 s[34:35], s[0:1], 0x80
	s_load_dwordx4 s[24:27], s[0:1], 0x88
	s_waitcnt lgkmcnt(0)
	s_bitcmp1_b32 s3, 0
	s_cselect_b64 s[44:45], -1, 0
	s_bitcmp1_b32 s3, 16
	s_cselect_b64 s[4:5], -1, 0
	s_xor_b64 s[4:5], s[4:5], -1
	v_cndmask_b32_e64 v1, 0, 1, s[4:5]
	s_mov_b32 s7, 0
	s_bitcmp0_b32 s3, 0
	v_cmp_ne_u32_e64 s[4:5], 1, v1
	s_mov_b32 s56, 0
	s_cbranch_scc1 .LBB205_5
; %bb.1:
	s_load_dwordx2 s[6:7], s[0:1], 0x18
	s_and_b64 vcc, exec, s[4:5]
	s_waitcnt lgkmcnt(0)
	s_mov_b32 s56, s6
	s_cbranch_vccnz .LBB205_3
; %bb.2:
	s_load_dword s56, s[6:7], 0x0
.LBB205_3:
	s_and_b64 vcc, exec, s[4:5]
	s_cbranch_vccnz .LBB205_5
; %bb.4:
	s_load_dword s7, s[6:7], 0x4
.LBB205_5:
	s_bitcmp1_b32 s3, 8
	s_cselect_b64 s[42:43], -1, 0
	s_bfe_u32 s3, s3, 0x10008
	s_mov_b32 s54, 0
	s_cmp_eq_u32 s3, 0
	s_mov_b32 s55, 0
	s_cbranch_scc1 .LBB205_11
; %bb.6:
	s_and_b64 vcc, exec, s[4:5]
	s_mov_b32 s54, s12
	s_cbranch_vccnz .LBB205_8
; %bb.7:
	s_load_dword s54, s[12:13], 0x0
.LBB205_8:
	s_and_b64 vcc, exec, s[4:5]
	s_cbranch_vccnz .LBB205_10
; %bb.9:
	s_load_dword s13, s[12:13], 0x4
.LBB205_10:
	s_waitcnt lgkmcnt(0)
	s_mov_b32 s55, s13
.LBB205_11:
	s_load_dword s33, s[0:1], 0x0
	s_movk_i32 s0, 0x200
	v_cmp_gt_u32_e64 s[0:1], s0, v0
	v_lshl_add_u32 v12, v0, 3, 0
	v_lshl_add_u32 v1, v0, 2, 0
	s_and_saveexec_b64 s[4:5], s[0:1]
	s_cbranch_execz .LBB205_14
; %bb.12:
	v_add_u32_e32 v2, 0x800, v12
	v_or_b32_e32 v3, 0xffffff00, v0
	v_lshl_add_u32 v4, v0, 2, 0
	s_mov_b64 s[12:13], 0
	s_waitcnt lgkmcnt(0)
	v_mov_b32_e32 v6, s33
	v_mov_b32_e32 v5, 0
.LBB205_13:                             ; =>This Inner Loop Header: Depth=1
	v_add_co_u32_e32 v3, vcc, 0x100, v3
	s_xor_b64 s[46:47], vcc, -1
	s_and_b64 s[46:47], exec, s[46:47]
	ds_write_b32 v4, v6
	ds_write2_b32 v2, v5, v5 offset1:1
	v_add_u32_e32 v2, 0x800, v2
	s_or_b64 s[12:13], s[46:47], s[12:13]
	v_add_u32_e32 v4, 0x400, v4
	s_andn2_b64 exec, exec, s[12:13]
	s_cbranch_execnz .LBB205_13
.LBB205_14:
	s_or_b64 exec, exec, s[4:5]
	s_waitcnt lgkmcnt(0)
	s_barrier
	s_load_dword s3, s[36:37], 0x0
	s_waitcnt lgkmcnt(0)
	s_add_i32 s2, s3, s2
	s_mov_b32 s3, 0
	s_lshl_b64 s[2:3], s[2:3], 2
	s_add_u32 s2, s38, s2
	s_addc_u32 s3, s39, s3
	s_load_dword s12, s[2:3], 0x0
	s_and_b64 vcc, exec, s[44:45]
	s_cbranch_vccz .LBB205_32
; %bb.15:
	s_waitcnt lgkmcnt(0)
	s_ashr_i32 s13, s12, 31
	s_lshl_b64 s[2:3], s[12:13], 3
	s_add_u32 s2, s16, s2
	s_addc_u32 s3, s17, s3
	s_load_dwordx4 s[36:39], s[2:3], 0x0
	v_lshrrev_b32_e32 v2, 5, v0
	v_subrev_co_u32_e32 v2, vcc, s24, v2
	s_waitcnt lgkmcnt(0)
	s_sub_u32 s2, s38, s24
	v_subb_co_u32_e64 v3, s[4:5], 0, 0, vcc
	s_subb_u32 s3, s39, 0
	v_lshl_add_u64 v[2:3], s[36:37], 0, v[2:3]
	v_cmp_gt_i64_e32 vcc, s[2:3], v[2:3]
	s_and_saveexec_b64 s[4:5], vcc
	s_cbranch_execz .LBB205_31
; %bb.16:
	v_and_b32_e32 v4, 31, v0
	v_subrev_co_u32_e32 v4, vcc, s25, v4
	s_mov_b32 s6, s25
	s_nop 0
	v_subb_co_u32_e64 v5, s[16:17], 0, 0, vcc
	s_mov_b64 s[16:17], 0
	s_movk_i32 s13, 0x89
	s_branch .LBB205_18
.LBB205_17:                             ;   in Loop: Header=BB205_18 Depth=1
	s_or_b64 exec, exec, s[36:37]
	v_lshl_add_u64 v[2:3], v[2:3], 0, 8
	v_cmp_le_i64_e32 vcc, s[2:3], v[2:3]
	s_or_b64 s[16:17], vcc, s[16:17]
	s_andn2_b64 exec, exec, s[16:17]
	s_cbranch_execz .LBB205_31
.LBB205_18:                             ; =>This Loop Header: Depth=1
                                        ;     Child Loop BB205_22 Depth 2
                                        ;       Child Loop BB205_25 Depth 3
	v_lshl_add_u64 v[6:7], v[2:3], 2, s[18:19]
	global_load_dword v6, v[6:7], off
	s_waitcnt vmcnt(0)
	v_subrev_u32_e32 v6, s24, v6
	v_ashrrev_i32_e32 v7, 31, v6
	v_lshl_add_u64 v[6:7], v[6:7], 3, s[22:23]
	global_load_dwordx4 v[8:11], v[6:7], off
	s_waitcnt vmcnt(0)
	v_subrev_co_u32_e32 v6, vcc, s6, v10
	s_nop 1
	v_subbrev_co_u32_e32 v7, vcc, 0, v11, vcc
	v_lshl_add_u64 v[8:9], v[8:9], 0, v[4:5]
	v_cmp_lt_i64_e32 vcc, v[8:9], v[6:7]
	s_and_saveexec_b64 s[36:37], vcc
	s_cbranch_execz .LBB205_17
; %bb.19:                               ;   in Loop: Header=BB205_18 Depth=1
	v_lshl_add_u64 v[10:11], v[2:3], 3, s[20:21]
	global_load_dwordx2 v[10:11], v[10:11], off
	s_mov_b64 s[38:39], 0
	s_waitcnt vmcnt(0)
	v_mul_f32_e64 v13, v11, -s7
	v_mul_f32_e32 v14, s56, v11
	v_fmac_f32_e32 v13, s56, v10
	v_fmac_f32_e32 v14, s7, v10
	s_branch .LBB205_22
.LBB205_20:                             ;   in Loop: Header=BB205_22 Depth=2
	s_or_b64 exec, exec, s[46:47]
.LBB205_21:                             ;   in Loop: Header=BB205_22 Depth=2
	s_or_b64 exec, exec, s[44:45]
	s_waitcnt vmcnt(0)
	v_mul_f32_e64 v16, v11, -v14
	v_mul_f32_e32 v11, v13, v11
	v_fmac_f32_e32 v16, v13, v10
	v_fmac_f32_e32 v11, v14, v10
	v_lshl_add_u32 v10, v15, 3, 0
	ds_add_f32 v10, v16 offset:2048
	ds_add_f32 v10, v11 offset:2052
	v_lshl_add_u64 v[8:9], v[8:9], 0, 32
	v_cmp_ge_i64_e32 vcc, v[8:9], v[6:7]
	s_or_b64 s[38:39], vcc, s[38:39]
	s_andn2_b64 exec, exec, s[38:39]
	s_cbranch_execz .LBB205_17
.LBB205_22:                             ;   Parent Loop BB205_18 Depth=1
                                        ; =>  This Loop Header: Depth=2
                                        ;       Child Loop BB205_25 Depth 3
	v_lshl_add_u64 v[10:11], v[8:9], 2, s[8:9]
	global_load_dword v15, v[10:11], off
	v_lshl_add_u64 v[10:11], v[8:9], 3, s[10:11]
	global_load_dwordx2 v[10:11], v[10:11], off
	s_waitcnt vmcnt(1)
	v_subrev_u32_e32 v16, s25, v15
	v_mul_lo_u32 v15, v16, s13
	v_and_b32_e32 v15, 0x1ff, v15
	v_lshl_add_u32 v17, v15, 2, 0
	ds_read_b32 v18, v17
	s_waitcnt lgkmcnt(0)
	v_cmp_ne_u32_e32 vcc, v18, v16
	s_and_saveexec_b64 s[44:45], vcc
	s_cbranch_execz .LBB205_21
; %bb.23:                               ;   in Loop: Header=BB205_22 Depth=2
	s_mov_b64 s[46:47], 0
	s_branch .LBB205_25
.LBB205_24:                             ;   in Loop: Header=BB205_25 Depth=3
	s_or_b64 exec, exec, s[52:53]
	s_and_b64 s[48:49], exec, s[50:51]
	s_or_b64 s[46:47], s[48:49], s[46:47]
	s_andn2_b64 exec, exec, s[46:47]
	s_cbranch_execz .LBB205_20
.LBB205_25:                             ;   Parent Loop BB205_18 Depth=1
                                        ;     Parent Loop BB205_22 Depth=2
                                        ; =>    This Inner Loop Header: Depth=3
	v_cmp_ne_u32_e32 vcc, s33, v18
	s_mov_b64 s[48:49], 0
	s_and_saveexec_b64 s[50:51], vcc
	s_xor_b64 s[50:51], exec, s[50:51]
	s_cbranch_execz .LBB205_27
; %bb.26:                               ;   in Loop: Header=BB205_25 Depth=3
	v_add_u32_e32 v15, 1, v15
	s_mov_b64 s[48:49], exec
	v_and_b32_e32 v15, 0x1ff, v15
                                        ; implicit-def: $vgpr17
	s_andn2_saveexec_b64 s[50:51], s[50:51]
	s_cbranch_execz .LBB205_29
	s_branch .LBB205_28
.LBB205_27:                             ;   in Loop: Header=BB205_25 Depth=3
	s_andn2_saveexec_b64 s[50:51], s[50:51]
	s_cbranch_execz .LBB205_29
.LBB205_28:                             ;   in Loop: Header=BB205_25 Depth=3
	v_mov_b32_e32 v18, s33
	ds_cmpst_rtn_b32 v17, v17, v18, v16
	s_andn2_b64 s[48:49], s[48:49], exec
	s_waitcnt lgkmcnt(0)
	v_cmp_ne_u32_e32 vcc, s33, v17
	s_and_b64 s[52:53], vcc, exec
	s_or_b64 s[48:49], s[48:49], s[52:53]
.LBB205_29:                             ;   in Loop: Header=BB205_25 Depth=3
	s_or_b64 exec, exec, s[50:51]
	s_mov_b64 s[50:51], -1
                                        ; implicit-def: $vgpr17
                                        ; implicit-def: $vgpr18
	s_and_saveexec_b64 s[52:53], s[48:49]
	s_cbranch_execz .LBB205_24
; %bb.30:                               ;   in Loop: Header=BB205_25 Depth=3
	v_lshl_add_u32 v17, v15, 2, 0
	ds_read_b32 v18, v17
	s_waitcnt lgkmcnt(0)
	v_cmp_eq_u32_e32 vcc, v18, v16
	s_orn2_b64 s[50:51], vcc, exec
	s_branch .LBB205_24
.LBB205_31:
	s_or_b64 exec, exec, s[4:5]
.LBB205_32:
	s_andn2_b64 vcc, exec, s[42:43]
	s_cbranch_vccnz .LBB205_47
; %bb.33:
	s_waitcnt lgkmcnt(0)
	s_ashr_i32 s13, s12, 31
	s_lshl_b64 s[2:3], s[12:13], 3
	s_add_u32 s2, s14, s2
	s_addc_u32 s3, s15, s3
	s_load_dwordx4 s[4:7], s[2:3], 0x0
	v_subrev_co_u32_e32 v2, vcc, s27, v0
	s_nop 1
	v_subb_co_u32_e64 v3, s[2:3], 0, 0, vcc
	s_waitcnt lgkmcnt(0)
	s_sub_u32 s2, s6, s27
	s_subb_u32 s3, s7, 0
	v_lshl_add_u64 v[2:3], s[4:5], 0, v[2:3]
	v_cmp_gt_i64_e32 vcc, s[2:3], v[2:3]
	s_and_saveexec_b64 s[4:5], vcc
	s_cbranch_execz .LBB205_46
; %bb.34:
	s_mov_b64 s[6:7], 0
	s_movk_i32 s13, 0x89
	s_mov_b64 s[8:9], 0x100
	s_branch .LBB205_37
.LBB205_35:                             ;   in Loop: Header=BB205_37 Depth=1
	s_or_b64 exec, exec, s[14:15]
.LBB205_36:                             ;   in Loop: Header=BB205_37 Depth=1
	s_or_b64 exec, exec, s[10:11]
	s_waitcnt vmcnt(0)
	v_mul_f32_e64 v7, v5, -s55
	v_mul_f32_e32 v5, s54, v5
	v_fmac_f32_e32 v7, s54, v4
	v_fmac_f32_e32 v5, s55, v4
	v_lshl_add_u32 v4, v6, 3, 0
	ds_add_f32 v4, v7 offset:2048
	ds_add_f32 v4, v5 offset:2052
	v_lshl_add_u64 v[2:3], v[2:3], 0, s[8:9]
	v_cmp_le_i64_e32 vcc, s[2:3], v[2:3]
	s_or_b64 s[6:7], vcc, s[6:7]
	s_andn2_b64 exec, exec, s[6:7]
	s_cbranch_execz .LBB205_46
.LBB205_37:                             ; =>This Loop Header: Depth=1
                                        ;     Child Loop BB205_40 Depth 2
	v_lshl_add_u64 v[4:5], v[2:3], 2, s[28:29]
	global_load_dword v6, v[4:5], off
	v_lshl_add_u64 v[4:5], v[2:3], 3, s[30:31]
	global_load_dwordx2 v[4:5], v[4:5], off
	s_waitcnt vmcnt(1)
	v_subrev_u32_e32 v7, s27, v6
	v_mul_lo_u32 v6, v7, s13
	v_and_b32_e32 v6, 0x1ff, v6
	v_lshl_add_u32 v8, v6, 2, 0
	ds_read_b32 v9, v8
	s_waitcnt lgkmcnt(0)
	v_cmp_ne_u32_e32 vcc, v9, v7
	s_and_saveexec_b64 s[10:11], vcc
	s_cbranch_execz .LBB205_36
; %bb.38:                               ;   in Loop: Header=BB205_37 Depth=1
	s_mov_b64 s[14:15], 0
	s_branch .LBB205_40
.LBB205_39:                             ;   in Loop: Header=BB205_40 Depth=2
	s_or_b64 exec, exec, s[20:21]
	s_and_b64 s[16:17], exec, s[18:19]
	s_or_b64 s[14:15], s[16:17], s[14:15]
	s_andn2_b64 exec, exec, s[14:15]
	s_cbranch_execz .LBB205_35
.LBB205_40:                             ;   Parent Loop BB205_37 Depth=1
                                        ; =>  This Inner Loop Header: Depth=2
	v_cmp_ne_u32_e32 vcc, s33, v9
	s_mov_b64 s[16:17], 0
	s_and_saveexec_b64 s[18:19], vcc
	s_xor_b64 s[18:19], exec, s[18:19]
	s_cbranch_execz .LBB205_42
; %bb.41:                               ;   in Loop: Header=BB205_40 Depth=2
	v_add_u32_e32 v6, 1, v6
	s_mov_b64 s[16:17], exec
	v_and_b32_e32 v6, 0x1ff, v6
                                        ; implicit-def: $vgpr8
	s_andn2_saveexec_b64 s[18:19], s[18:19]
	s_cbranch_execz .LBB205_44
	s_branch .LBB205_43
.LBB205_42:                             ;   in Loop: Header=BB205_40 Depth=2
	s_andn2_saveexec_b64 s[18:19], s[18:19]
	s_cbranch_execz .LBB205_44
.LBB205_43:                             ;   in Loop: Header=BB205_40 Depth=2
	v_mov_b32_e32 v9, s33
	ds_cmpst_rtn_b32 v8, v8, v9, v7
	s_andn2_b64 s[16:17], s[16:17], exec
	s_waitcnt lgkmcnt(0)
	v_cmp_ne_u32_e32 vcc, s33, v8
	s_and_b64 s[20:21], vcc, exec
	s_or_b64 s[16:17], s[16:17], s[20:21]
.LBB205_44:                             ;   in Loop: Header=BB205_40 Depth=2
	s_or_b64 exec, exec, s[18:19]
	s_mov_b64 s[18:19], -1
                                        ; implicit-def: $vgpr8
                                        ; implicit-def: $vgpr9
	s_and_saveexec_b64 s[20:21], s[16:17]
	s_cbranch_execz .LBB205_39
; %bb.45:                               ;   in Loop: Header=BB205_40 Depth=2
	v_lshl_add_u32 v8, v6, 2, 0
	ds_read_b32 v9, v8
	s_waitcnt lgkmcnt(0)
	v_cmp_eq_u32_e32 vcc, v9, v7
	s_orn2_b64 s[18:19], vcc, exec
	s_branch .LBB205_39
.LBB205_46:
	s_or_b64 exec, exec, s[4:5]
.LBB205_47:
	s_waitcnt lgkmcnt(0)
	s_barrier
	s_and_saveexec_b64 s[8:9], s[0:1]
	s_cbranch_execz .LBB205_60
; %bb.48:
	v_mbcnt_lo_u32_b32 v2, -1, 0
	v_mbcnt_hi_u32_b32 v2, -1, v2
	v_lshrrev_b32_e32 v4, 4, v0
	v_sub_u32_e32 v2, 63, v2
	v_and_b32_e32 v4, 12, v4
	s_movk_i32 s0, 0xff
	s_movk_i32 s4, 0x7f
	s_movk_i32 s6, 0xbf
	v_mov_b32_e32 v6, 0
	v_lshrrev_b64 v[2:3], v2, -1
	v_add_u32_e32 v7, 0, v4
	v_cmp_eq_u32_e64 s[0:1], s0, v0
	v_cmp_lt_u32_e64 s[2:3], 63, v0
	v_cmp_lt_u32_e64 s[4:5], s4, v0
	;; [unrolled: 1-line block ×3, first 2 shown]
	v_add_u32_e32 v8, 0x800, v12
	v_or_b32_e32 v9, 0xffffff00, v0
	s_mov_b64 s[10:11], 0
	v_mov_b32_e32 v10, 0
	s_branch .LBB205_50
.LBB205_49:                             ;   in Loop: Header=BB205_50 Depth=1
	s_or_b64 exec, exec, s[14:15]
	s_waitcnt lgkmcnt(0)
	s_barrier
	ds_read_b32 v4, v6 offset:6156
	v_add_co_u32_e32 v9, vcc, 0x100, v9
	s_xor_b64 s[14:15], vcc, -1
	s_and_b64 s[14:15], exec, s[14:15]
	v_add_u32_e32 v8, 0x800, v8
	s_waitcnt lgkmcnt(0)
	v_add_u32_e32 v10, v4, v10
	s_or_b64 s[10:11], s[14:15], s[10:11]
	v_add_u32_e32 v1, 0x400, v1
	s_andn2_b64 exec, exec, s[10:11]
	s_cbranch_execz .LBB205_60
.LBB205_50:                             ; =>This Inner Loop Header: Depth=1
	ds_read_b32 v11, v1
	ds_read2_b32 v[4:5], v8 offset1:1
	s_waitcnt lgkmcnt(0)
	s_barrier
	v_cmp_gt_i32_e32 vcc, s33, v11
	s_bcnt1_i32_b64 s13, vcc
	s_nop 0
	v_and_b32_e32 v13, vcc_lo, v2
	v_and_b32_e32 v12, vcc_hi, v3
	v_bcnt_u32_b32 v13, v13, 0
	v_bcnt_u32_b32 v12, v12, v13
	v_mov_b32_e32 v13, s13
	ds_write_b32 v7, v13 offset:6144
	s_waitcnt lgkmcnt(0)
	s_barrier
	s_and_saveexec_b64 s[14:15], s[2:3]
	s_cbranch_execz .LBB205_55
; %bb.51:                               ;   in Loop: Header=BB205_50 Depth=1
	ds_read_b32 v13, v6 offset:6144
	s_waitcnt lgkmcnt(0)
	v_add_u32_e32 v12, v13, v12
	s_or_b64 exec, exec, s[14:15]
	s_and_saveexec_b64 s[14:15], s[4:5]
	s_cbranch_execnz .LBB205_56
.LBB205_52:                             ;   in Loop: Header=BB205_50 Depth=1
	s_or_b64 exec, exec, s[14:15]
	s_and_saveexec_b64 s[14:15], s[6:7]
	s_cbranch_execz .LBB205_57
.LBB205_53:                             ;   in Loop: Header=BB205_50 Depth=1
	ds_read_b32 v13, v6 offset:6152
	s_waitcnt lgkmcnt(0)
	v_add_u32_e32 v12, v13, v12
	s_or_b64 exec, exec, s[14:15]
	s_and_saveexec_b64 s[14:15], vcc
	s_cbranch_execnz .LBB205_58
.LBB205_54:                             ;   in Loop: Header=BB205_50 Depth=1
	s_or_b64 exec, exec, s[14:15]
	s_and_saveexec_b64 s[14:15], s[0:1]
	s_cbranch_execz .LBB205_49
	s_branch .LBB205_59
.LBB205_55:                             ;   in Loop: Header=BB205_50 Depth=1
	s_or_b64 exec, exec, s[14:15]
	s_and_saveexec_b64 s[14:15], s[4:5]
	s_cbranch_execz .LBB205_52
.LBB205_56:                             ;   in Loop: Header=BB205_50 Depth=1
	ds_read_b32 v13, v6 offset:6148
	s_waitcnt lgkmcnt(0)
	v_add_u32_e32 v12, v13, v12
	s_or_b64 exec, exec, s[14:15]
	s_and_saveexec_b64 s[14:15], s[6:7]
	s_cbranch_execnz .LBB205_53
.LBB205_57:                             ;   in Loop: Header=BB205_50 Depth=1
	s_or_b64 exec, exec, s[14:15]
	s_and_saveexec_b64 s[14:15], vcc
	s_cbranch_execz .LBB205_54
.LBB205_58:                             ;   in Loop: Header=BB205_50 Depth=1
	v_add3_u32 v13, v10, -1, v12
	v_add_u32_e32 v14, v10, v12
	v_lshl_add_u32 v13, v13, 2, 0
	v_lshl_add_u32 v14, v14, 3, 0
	v_add_u32_e32 v14, 0x7f8, v14
	ds_write_b32 v13, v11
	ds_write2_b32 v14, v4, v5 offset1:1
	s_or_b64 exec, exec, s[14:15]
	s_and_saveexec_b64 s[14:15], s[0:1]
	s_cbranch_execz .LBB205_49
.LBB205_59:                             ;   in Loop: Header=BB205_50 Depth=1
	ds_write_b32 v6, v12 offset:6156
	s_branch .LBB205_49
.LBB205_60:
	s_or_b64 exec, exec, s[8:9]
	s_ashr_i32 s13, s12, 31
	s_lshl_b64 s[0:1], s[12:13], 3
	s_add_u32 s4, s40, s0
	s_addc_u32 s5, s41, s1
	s_load_dwordx4 s[0:3], s[4:5], 0x0
	s_waitcnt lgkmcnt(0)
	s_sub_i32 s8, s2, s0
	v_cmp_gt_i32_e32 vcc, s8, v0
	s_and_saveexec_b64 s[4:5], vcc
	s_cbranch_execz .LBB205_70
; %bb.61:
	s_sub_u32 s4, s0, s26
	s_subb_u32 s5, s1, 0
	s_and_b32 s10, s8, 7
	s_sub_i32 s0, s0, s2
	s_cmp_lt_u32 s0, -7
	s_cselect_b64 s[0:1], -1, 0
	s_and_b32 s11, s8, -8
	s_cmp_lg_u32 s10, 0
	v_cndmask_b32_e64 v1, 0, 1, s[0:1]
	s_cselect_b64 s[2:3], -1, 0
	v_cmp_ne_u32_e64 s[0:1], 1, v1
	v_cndmask_b32_e64 v1, 0, 1, s[2:3]
	s_mov_b32 s9, 0
	s_mov_b64 s[6:7], 0
	s_movk_i32 s12, 0x800
	v_cmp_ne_u32_e64 s[2:3], 1, v1
	s_branch .LBB205_63
.LBB205_62:                             ;   in Loop: Header=BB205_63 Depth=1
	v_add_u32_e32 v0, 0x100, v0
	v_cmp_le_i32_e32 vcc, s8, v0
	v_lshl_add_u64 v[4:5], v[4:5], 3, s[34:35]
	s_or_b64 s[6:7], vcc, s[6:7]
	s_waitcnt lgkmcnt(0)
	global_store_dwordx2 v[4:5], v[2:3], off
	s_andn2_b64 exec, exec, s[6:7]
	s_cbranch_execz .LBB205_70
.LBB205_63:                             ; =>This Loop Header: Depth=1
                                        ;     Child Loop BB205_65 Depth 2
                                        ;     Child Loop BB205_69 Depth 2
	v_lshlrev_b32_e32 v1, 2, v0
	v_add_u32_e32 v2, 0, v1
	v_add3_u32 v3, v2, v1, s12
	ds_read_b32 v1, v2
	ds_read2_b32 v[2:3], v3 offset1:1
	s_and_b64 vcc, exec, s[0:1]
	v_mov_b64_e32 v[4:5], s[4:5]
	s_mov_b32 s13, 0
	s_cbranch_vccnz .LBB205_67
; %bb.64:                               ;   in Loop: Header=BB205_63 Depth=1
	s_mov_b32 s14, 0
	v_mov_b64_e32 v[4:5], s[4:5]
.LBB205_65:                             ;   Parent Loop BB205_63 Depth=1
                                        ; =>  This Inner Loop Header: Depth=2
	v_mov_b32_e32 v6, s14
	ds_read2_b32 v[22:23], v6 offset1:1
	ds_read2_b32 v[24:25], v6 offset0:2 offset1:3
	ds_read2_b32 v[26:27], v6 offset0:4 offset1:5
	;; [unrolled: 1-line block ×3, first 2 shown]
	v_mov_b32_e32 v7, s9
	s_waitcnt lgkmcnt(3)
	v_cmp_gt_i32_e32 vcc, v1, v22
	v_mov_b32_e32 v9, s9
	v_mov_b32_e32 v11, s9
	v_cndmask_b32_e64 v6, 0, 1, vcc
	v_cmp_gt_i32_e32 vcc, v1, v23
	v_lshl_add_u64 v[4:5], v[4:5], 0, v[6:7]
	v_mov_b32_e32 v13, s9
	v_cndmask_b32_e64 v8, 0, 1, vcc
	s_waitcnt lgkmcnt(2)
	v_cmp_gt_i32_e32 vcc, v1, v24
	v_lshl_add_u64 v[4:5], v[4:5], 0, v[8:9]
	v_mov_b32_e32 v15, s9
	v_cndmask_b32_e64 v10, 0, 1, vcc
	v_cmp_gt_i32_e32 vcc, v1, v25
	v_lshl_add_u64 v[4:5], v[4:5], 0, v[10:11]
	v_mov_b32_e32 v17, s9
	v_cndmask_b32_e64 v12, 0, 1, vcc
	s_waitcnt lgkmcnt(1)
	v_cmp_gt_i32_e32 vcc, v1, v26
	v_lshl_add_u64 v[4:5], v[4:5], 0, v[12:13]
	;; [unrolled: 9-line block ×3, first 2 shown]
	s_add_i32 s13, s13, 8
	v_cndmask_b32_e64 v18, 0, 1, vcc
	v_cmp_gt_i32_e32 vcc, v1, v29
	s_add_i32 s14, s14, 32
	v_lshl_add_u64 v[4:5], v[4:5], 0, v[18:19]
	v_cndmask_b32_e64 v20, 0, 1, vcc
	s_cmp_eq_u32 s11, s13
	v_lshl_add_u64 v[4:5], v[4:5], 0, v[20:21]
	s_cbranch_scc0 .LBB205_65
; %bb.66:                               ;   in Loop: Header=BB205_63 Depth=1
	s_mov_b32 s13, s11
.LBB205_67:                             ;   in Loop: Header=BB205_63 Depth=1
	s_and_b64 vcc, exec, s[2:3]
	s_cbranch_vccnz .LBB205_62
; %bb.68:                               ;   in Loop: Header=BB205_63 Depth=1
	s_lshl_b32 s13, s13, 2
	s_add_i32 s13, s13, 0
	s_mov_b32 s14, s10
.LBB205_69:                             ;   Parent Loop BB205_63 Depth=1
                                        ; =>  This Inner Loop Header: Depth=2
	v_mov_b32_e32 v6, s13
	ds_read_b32 v6, v6
	v_mov_b32_e32 v7, s9
	s_add_i32 s13, s13, 4
	s_add_i32 s14, s14, -1
	s_cmp_lg_u32 s14, 0
	s_waitcnt lgkmcnt(0)
	v_cmp_gt_i32_e32 vcc, v1, v6
	s_nop 1
	v_cndmask_b32_e64 v6, 0, 1, vcc
	v_lshl_add_u64 v[4:5], v[4:5], 0, v[6:7]
	s_cbranch_scc1 .LBB205_69
	s_branch .LBB205_62
.LBB205_70:
	s_endpgm
	.section	.rodata,"a",@progbits
	.p2align	6, 0x0
	.amdhsa_kernel _ZN9rocsparseL41csrgemm_numeric_fill_block_per_row_kernelILj256ELj32ELj512ELj137ELj64Eli21rocsparse_complex_numIfEEEvT5_PKS3_S5_NS_24const_host_device_scalarIT6_EEPKT4_S5_PKS7_SB_S5_SD_S8_SB_S5_SD_SB_S5_PS7_21rocsparse_index_base_SF_SF_SF_bbb
		.amdhsa_group_segment_fixed_size 0
		.amdhsa_private_segment_fixed_size 0
		.amdhsa_kernarg_size 156
		.amdhsa_user_sgpr_count 2
		.amdhsa_user_sgpr_dispatch_ptr 0
		.amdhsa_user_sgpr_queue_ptr 0
		.amdhsa_user_sgpr_kernarg_segment_ptr 1
		.amdhsa_user_sgpr_dispatch_id 0
		.amdhsa_user_sgpr_kernarg_preload_length 0
		.amdhsa_user_sgpr_kernarg_preload_offset 0
		.amdhsa_user_sgpr_private_segment_size 0
		.amdhsa_uses_dynamic_stack 0
		.amdhsa_enable_private_segment 0
		.amdhsa_system_sgpr_workgroup_id_x 1
		.amdhsa_system_sgpr_workgroup_id_y 0
		.amdhsa_system_sgpr_workgroup_id_z 0
		.amdhsa_system_sgpr_workgroup_info 0
		.amdhsa_system_vgpr_workitem_id 0
		.amdhsa_next_free_vgpr 30
		.amdhsa_next_free_sgpr 57
		.amdhsa_accum_offset 32
		.amdhsa_reserve_vcc 1
		.amdhsa_float_round_mode_32 0
		.amdhsa_float_round_mode_16_64 0
		.amdhsa_float_denorm_mode_32 3
		.amdhsa_float_denorm_mode_16_64 3
		.amdhsa_dx10_clamp 1
		.amdhsa_ieee_mode 1
		.amdhsa_fp16_overflow 0
		.amdhsa_tg_split 0
		.amdhsa_exception_fp_ieee_invalid_op 0
		.amdhsa_exception_fp_denorm_src 0
		.amdhsa_exception_fp_ieee_div_zero 0
		.amdhsa_exception_fp_ieee_overflow 0
		.amdhsa_exception_fp_ieee_underflow 0
		.amdhsa_exception_fp_ieee_inexact 0
		.amdhsa_exception_int_div_zero 0
	.end_amdhsa_kernel
	.section	.text._ZN9rocsparseL41csrgemm_numeric_fill_block_per_row_kernelILj256ELj32ELj512ELj137ELj64Eli21rocsparse_complex_numIfEEEvT5_PKS3_S5_NS_24const_host_device_scalarIT6_EEPKT4_S5_PKS7_SB_S5_SD_S8_SB_S5_SD_SB_S5_PS7_21rocsparse_index_base_SF_SF_SF_bbb,"axG",@progbits,_ZN9rocsparseL41csrgemm_numeric_fill_block_per_row_kernelILj256ELj32ELj512ELj137ELj64Eli21rocsparse_complex_numIfEEEvT5_PKS3_S5_NS_24const_host_device_scalarIT6_EEPKT4_S5_PKS7_SB_S5_SD_S8_SB_S5_SD_SB_S5_PS7_21rocsparse_index_base_SF_SF_SF_bbb,comdat
.Lfunc_end205:
	.size	_ZN9rocsparseL41csrgemm_numeric_fill_block_per_row_kernelILj256ELj32ELj512ELj137ELj64Eli21rocsparse_complex_numIfEEEvT5_PKS3_S5_NS_24const_host_device_scalarIT6_EEPKT4_S5_PKS7_SB_S5_SD_S8_SB_S5_SD_SB_S5_PS7_21rocsparse_index_base_SF_SF_SF_bbb, .Lfunc_end205-_ZN9rocsparseL41csrgemm_numeric_fill_block_per_row_kernelILj256ELj32ELj512ELj137ELj64Eli21rocsparse_complex_numIfEEEvT5_PKS3_S5_NS_24const_host_device_scalarIT6_EEPKT4_S5_PKS7_SB_S5_SD_S8_SB_S5_SD_SB_S5_PS7_21rocsparse_index_base_SF_SF_SF_bbb
                                        ; -- End function
	.set _ZN9rocsparseL41csrgemm_numeric_fill_block_per_row_kernelILj256ELj32ELj512ELj137ELj64Eli21rocsparse_complex_numIfEEEvT5_PKS3_S5_NS_24const_host_device_scalarIT6_EEPKT4_S5_PKS7_SB_S5_SD_S8_SB_S5_SD_SB_S5_PS7_21rocsparse_index_base_SF_SF_SF_bbb.num_vgpr, 30
	.set _ZN9rocsparseL41csrgemm_numeric_fill_block_per_row_kernelILj256ELj32ELj512ELj137ELj64Eli21rocsparse_complex_numIfEEEvT5_PKS3_S5_NS_24const_host_device_scalarIT6_EEPKT4_S5_PKS7_SB_S5_SD_S8_SB_S5_SD_SB_S5_PS7_21rocsparse_index_base_SF_SF_SF_bbb.num_agpr, 0
	.set _ZN9rocsparseL41csrgemm_numeric_fill_block_per_row_kernelILj256ELj32ELj512ELj137ELj64Eli21rocsparse_complex_numIfEEEvT5_PKS3_S5_NS_24const_host_device_scalarIT6_EEPKT4_S5_PKS7_SB_S5_SD_S8_SB_S5_SD_SB_S5_PS7_21rocsparse_index_base_SF_SF_SF_bbb.numbered_sgpr, 57
	.set _ZN9rocsparseL41csrgemm_numeric_fill_block_per_row_kernelILj256ELj32ELj512ELj137ELj64Eli21rocsparse_complex_numIfEEEvT5_PKS3_S5_NS_24const_host_device_scalarIT6_EEPKT4_S5_PKS7_SB_S5_SD_S8_SB_S5_SD_SB_S5_PS7_21rocsparse_index_base_SF_SF_SF_bbb.num_named_barrier, 0
	.set _ZN9rocsparseL41csrgemm_numeric_fill_block_per_row_kernelILj256ELj32ELj512ELj137ELj64Eli21rocsparse_complex_numIfEEEvT5_PKS3_S5_NS_24const_host_device_scalarIT6_EEPKT4_S5_PKS7_SB_S5_SD_S8_SB_S5_SD_SB_S5_PS7_21rocsparse_index_base_SF_SF_SF_bbb.private_seg_size, 0
	.set _ZN9rocsparseL41csrgemm_numeric_fill_block_per_row_kernelILj256ELj32ELj512ELj137ELj64Eli21rocsparse_complex_numIfEEEvT5_PKS3_S5_NS_24const_host_device_scalarIT6_EEPKT4_S5_PKS7_SB_S5_SD_S8_SB_S5_SD_SB_S5_PS7_21rocsparse_index_base_SF_SF_SF_bbb.uses_vcc, 1
	.set _ZN9rocsparseL41csrgemm_numeric_fill_block_per_row_kernelILj256ELj32ELj512ELj137ELj64Eli21rocsparse_complex_numIfEEEvT5_PKS3_S5_NS_24const_host_device_scalarIT6_EEPKT4_S5_PKS7_SB_S5_SD_S8_SB_S5_SD_SB_S5_PS7_21rocsparse_index_base_SF_SF_SF_bbb.uses_flat_scratch, 0
	.set _ZN9rocsparseL41csrgemm_numeric_fill_block_per_row_kernelILj256ELj32ELj512ELj137ELj64Eli21rocsparse_complex_numIfEEEvT5_PKS3_S5_NS_24const_host_device_scalarIT6_EEPKT4_S5_PKS7_SB_S5_SD_S8_SB_S5_SD_SB_S5_PS7_21rocsparse_index_base_SF_SF_SF_bbb.has_dyn_sized_stack, 0
	.set _ZN9rocsparseL41csrgemm_numeric_fill_block_per_row_kernelILj256ELj32ELj512ELj137ELj64Eli21rocsparse_complex_numIfEEEvT5_PKS3_S5_NS_24const_host_device_scalarIT6_EEPKT4_S5_PKS7_SB_S5_SD_S8_SB_S5_SD_SB_S5_PS7_21rocsparse_index_base_SF_SF_SF_bbb.has_recursion, 0
	.set _ZN9rocsparseL41csrgemm_numeric_fill_block_per_row_kernelILj256ELj32ELj512ELj137ELj64Eli21rocsparse_complex_numIfEEEvT5_PKS3_S5_NS_24const_host_device_scalarIT6_EEPKT4_S5_PKS7_SB_S5_SD_S8_SB_S5_SD_SB_S5_PS7_21rocsparse_index_base_SF_SF_SF_bbb.has_indirect_call, 0
	.section	.AMDGPU.csdata,"",@progbits
; Kernel info:
; codeLenInByte = 2580
; TotalNumSgprs: 63
; NumVgprs: 30
; NumAgprs: 0
; TotalNumVgprs: 30
; ScratchSize: 0
; MemoryBound: 0
; FloatMode: 240
; IeeeMode: 1
; LDSByteSize: 0 bytes/workgroup (compile time only)
; SGPRBlocks: 7
; VGPRBlocks: 3
; NumSGPRsForWavesPerEU: 63
; NumVGPRsForWavesPerEU: 30
; AccumOffset: 32
; Occupancy: 8
; WaveLimiterHint : 1
; COMPUTE_PGM_RSRC2:SCRATCH_EN: 0
; COMPUTE_PGM_RSRC2:USER_SGPR: 2
; COMPUTE_PGM_RSRC2:TRAP_HANDLER: 0
; COMPUTE_PGM_RSRC2:TGID_X_EN: 1
; COMPUTE_PGM_RSRC2:TGID_Y_EN: 0
; COMPUTE_PGM_RSRC2:TGID_Z_EN: 0
; COMPUTE_PGM_RSRC2:TIDIG_COMP_CNT: 0
; COMPUTE_PGM_RSRC3_GFX90A:ACCUM_OFFSET: 7
; COMPUTE_PGM_RSRC3_GFX90A:TG_SPLIT: 0
	.section	.text._ZN9rocsparseL41csrgemm_numeric_fill_block_per_row_kernelILj512ELj32ELj1024ELj137ELj32Eli21rocsparse_complex_numIfEEEvT5_PKS3_S5_NS_24const_host_device_scalarIT6_EEPKT4_S5_PKS7_SB_S5_SD_S8_SB_S5_SD_SB_S5_PS7_21rocsparse_index_base_SF_SF_SF_bbb,"axG",@progbits,_ZN9rocsparseL41csrgemm_numeric_fill_block_per_row_kernelILj512ELj32ELj1024ELj137ELj32Eli21rocsparse_complex_numIfEEEvT5_PKS3_S5_NS_24const_host_device_scalarIT6_EEPKT4_S5_PKS7_SB_S5_SD_S8_SB_S5_SD_SB_S5_PS7_21rocsparse_index_base_SF_SF_SF_bbb,comdat
	.globl	_ZN9rocsparseL41csrgemm_numeric_fill_block_per_row_kernelILj512ELj32ELj1024ELj137ELj32Eli21rocsparse_complex_numIfEEEvT5_PKS3_S5_NS_24const_host_device_scalarIT6_EEPKT4_S5_PKS7_SB_S5_SD_S8_SB_S5_SD_SB_S5_PS7_21rocsparse_index_base_SF_SF_SF_bbb ; -- Begin function _ZN9rocsparseL41csrgemm_numeric_fill_block_per_row_kernelILj512ELj32ELj1024ELj137ELj32Eli21rocsparse_complex_numIfEEEvT5_PKS3_S5_NS_24const_host_device_scalarIT6_EEPKT4_S5_PKS7_SB_S5_SD_S8_SB_S5_SD_SB_S5_PS7_21rocsparse_index_base_SF_SF_SF_bbb
	.p2align	8
	.type	_ZN9rocsparseL41csrgemm_numeric_fill_block_per_row_kernelILj512ELj32ELj1024ELj137ELj32Eli21rocsparse_complex_numIfEEEvT5_PKS3_S5_NS_24const_host_device_scalarIT6_EEPKT4_S5_PKS7_SB_S5_SD_S8_SB_S5_SD_SB_S5_PS7_21rocsparse_index_base_SF_SF_SF_bbb,@function
_ZN9rocsparseL41csrgemm_numeric_fill_block_per_row_kernelILj512ELj32ELj1024ELj137ELj32Eli21rocsparse_complex_numIfEEEvT5_PKS3_S5_NS_24const_host_device_scalarIT6_EEPKT4_S5_PKS7_SB_S5_SD_S8_SB_S5_SD_SB_S5_PS7_21rocsparse_index_base_SF_SF_SF_bbb: ; @_ZN9rocsparseL41csrgemm_numeric_fill_block_per_row_kernelILj512ELj32ELj1024ELj137ELj32Eli21rocsparse_complex_numIfEEEvT5_PKS3_S5_NS_24const_host_device_scalarIT6_EEPKT4_S5_PKS7_SB_S5_SD_S8_SB_S5_SD_SB_S5_PS7_21rocsparse_index_base_SF_SF_SF_bbb
; %bb.0:
	s_load_dwordx2 s[40:41], s[0:1], 0x70
	s_load_dwordx4 s[24:27], s[0:1], 0x60
	s_load_dwordx8 s[8:15], s[0:1], 0x40
	s_load_dword s3, s[0:1], 0x98
	s_load_dwordx4 s[28:31], s[0:1], 0x8
	s_load_dwordx8 s[16:23], s[0:1], 0x20
	s_load_dwordx2 s[34:35], s[0:1], 0x80
	s_load_dwordx4 s[36:39], s[0:1], 0x88
	s_waitcnt lgkmcnt(0)
	s_bitcmp1_b32 s3, 0
	s_cselect_b64 s[46:47], -1, 0
	s_bitcmp1_b32 s3, 16
	s_cselect_b64 s[4:5], -1, 0
	s_xor_b64 s[4:5], s[4:5], -1
	v_cndmask_b32_e64 v1, 0, 1, s[4:5]
	s_mov_b32 s7, 0
	s_bitcmp0_b32 s3, 0
	v_cmp_ne_u32_e64 s[4:5], 1, v1
	s_mov_b32 s54, 0
	s_cbranch_scc1 .LBB206_5
; %bb.1:
	s_load_dwordx2 s[6:7], s[0:1], 0x18
	s_and_b64 vcc, exec, s[4:5]
	s_waitcnt lgkmcnt(0)
	s_mov_b32 s54, s6
	s_cbranch_vccnz .LBB206_3
; %bb.2:
	s_load_dword s54, s[6:7], 0x0
.LBB206_3:
	s_and_b64 vcc, exec, s[4:5]
	s_cbranch_vccnz .LBB206_5
; %bb.4:
	s_load_dword s7, s[6:7], 0x4
.LBB206_5:
	s_bitcmp1_b32 s3, 8
	s_cselect_b64 s[44:45], -1, 0
	s_bfe_u32 s3, s3, 0x10008
	s_mov_b32 s52, 0
	s_cmp_eq_u32 s3, 0
	s_mov_b32 s53, 0
	s_cbranch_scc1 .LBB206_11
; %bb.6:
	s_and_b64 vcc, exec, s[4:5]
	s_mov_b32 s52, s12
	s_cbranch_vccnz .LBB206_8
; %bb.7:
	s_load_dword s52, s[12:13], 0x0
.LBB206_8:
	s_and_b64 vcc, exec, s[4:5]
	s_cbranch_vccnz .LBB206_10
; %bb.9:
	s_load_dword s13, s[12:13], 0x4
.LBB206_10:
	s_waitcnt lgkmcnt(0)
	s_mov_b32 s53, s13
.LBB206_11:
	s_load_dword s33, s[0:1], 0x0
	v_lshl_add_u32 v1, v0, 3, 0
	v_add_u32_e32 v1, 0x1000, v1
	v_or_b32_e32 v12, 0xfffffe00, v0
	v_lshl_add_u32 v13, v0, 2, 0
	s_mov_b64 s[0:1], 0
	s_waitcnt lgkmcnt(0)
	v_mov_b32_e32 v6, s33
	v_mov_b32_e32 v2, 0
	v_mov_b32_e32 v3, v13
	v_mov_b32_e32 v4, v12
	v_mov_b32_e32 v5, v1
.LBB206_12:                             ; =>This Inner Loop Header: Depth=1
	v_add_co_u32_e32 v4, vcc, 0x200, v4
	s_xor_b64 s[4:5], vcc, -1
	s_and_b64 s[4:5], exec, s[4:5]
	ds_write_b32 v3, v6
	ds_write2_b32 v5, v2, v2 offset1:1
	v_add_u32_e32 v5, 0x1000, v5
	s_or_b64 s[0:1], s[4:5], s[0:1]
	v_add_u32_e32 v3, 0x800, v3
	s_andn2_b64 exec, exec, s[0:1]
	s_cbranch_execnz .LBB206_12
; %bb.13:
	s_or_b64 exec, exec, s[0:1]
	s_waitcnt lgkmcnt(0)
	s_barrier
	s_load_dword s0, s[28:29], 0x0
	s_mov_b32 s1, 0
	v_lshrrev_b32_e32 v14, 5, v0
	s_waitcnt lgkmcnt(0)
	s_add_i32 s0, s0, s2
	s_lshl_b64 s[0:1], s[0:1], 2
	s_add_u32 s0, s30, s0
	s_addc_u32 s1, s31, s1
	s_load_dword s42, s[0:1], 0x0
	s_and_b64 vcc, exec, s[46:47]
	s_cbranch_vccz .LBB206_31
; %bb.14:
	s_waitcnt lgkmcnt(0)
	s_ashr_i32 s43, s42, 31
	s_lshl_b64 s[0:1], s[42:43], 3
	s_add_u32 s0, s16, s0
	s_addc_u32 s1, s17, s1
	s_load_dwordx4 s[28:31], s[0:1], 0x0
	v_subrev_co_u32_e32 v2, vcc, s36, v14
	s_nop 1
	v_subb_co_u32_e64 v3, s[0:1], 0, 0, vcc
	s_waitcnt lgkmcnt(0)
	s_sub_u32 s0, s30, s36
	s_subb_u32 s1, s31, 0
	v_lshl_add_u64 v[2:3], s[28:29], 0, v[2:3]
	v_cmp_gt_i64_e32 vcc, s[0:1], v[2:3]
	s_and_saveexec_b64 s[2:3], vcc
	s_cbranch_execz .LBB206_30
; %bb.15:
	v_and_b32_e32 v4, 31, v0
	v_subrev_co_u32_e32 v4, vcc, s37, v4
	s_mov_b32 s6, s37
	s_nop 0
	v_subb_co_u32_e64 v5, s[4:5], 0, 0, vcc
	s_mov_b64 s[4:5], 0
	s_movk_i32 s43, 0x89
	s_branch .LBB206_17
.LBB206_16:                             ;   in Loop: Header=BB206_17 Depth=1
	s_or_b64 exec, exec, s[12:13]
	v_lshl_add_u64 v[2:3], v[2:3], 0, 16
	v_cmp_le_i64_e32 vcc, s[0:1], v[2:3]
	s_or_b64 s[4:5], vcc, s[4:5]
	s_andn2_b64 exec, exec, s[4:5]
	s_cbranch_execz .LBB206_30
.LBB206_17:                             ; =>This Loop Header: Depth=1
                                        ;     Child Loop BB206_21 Depth 2
                                        ;       Child Loop BB206_24 Depth 3
	v_lshl_add_u64 v[6:7], v[2:3], 2, s[18:19]
	global_load_dword v6, v[6:7], off
	s_waitcnt vmcnt(0)
	v_subrev_u32_e32 v6, s36, v6
	v_ashrrev_i32_e32 v7, 31, v6
	v_lshl_add_u64 v[6:7], v[6:7], 3, s[22:23]
	global_load_dwordx4 v[8:11], v[6:7], off
	s_waitcnt vmcnt(0)
	v_subrev_co_u32_e32 v6, vcc, s6, v10
	s_nop 1
	v_subbrev_co_u32_e32 v7, vcc, 0, v11, vcc
	v_lshl_add_u64 v[8:9], v[8:9], 0, v[4:5]
	v_cmp_lt_i64_e32 vcc, v[8:9], v[6:7]
	s_and_saveexec_b64 s[12:13], vcc
	s_cbranch_execz .LBB206_16
; %bb.18:                               ;   in Loop: Header=BB206_17 Depth=1
	v_lshl_add_u64 v[10:11], v[2:3], 3, s[20:21]
	global_load_dwordx2 v[10:11], v[10:11], off
	s_mov_b64 s[16:17], 0
	s_waitcnt vmcnt(0)
	v_mul_f32_e64 v15, v11, -s7
	v_mul_f32_e32 v16, s54, v11
	v_fmac_f32_e32 v15, s54, v10
	v_fmac_f32_e32 v16, s7, v10
	s_branch .LBB206_21
.LBB206_19:                             ;   in Loop: Header=BB206_21 Depth=2
	s_or_b64 exec, exec, s[30:31]
.LBB206_20:                             ;   in Loop: Header=BB206_21 Depth=2
	s_or_b64 exec, exec, s[28:29]
	s_waitcnt vmcnt(0)
	v_mul_f32_e64 v18, v11, -v16
	v_mul_f32_e32 v11, v15, v11
	v_fmac_f32_e32 v18, v15, v10
	v_fmac_f32_e32 v11, v16, v10
	v_lshl_add_u32 v10, v17, 3, 0
	ds_add_f32 v10, v18 offset:4096
	ds_add_f32 v10, v11 offset:4100
	v_lshl_add_u64 v[8:9], v[8:9], 0, 32
	v_cmp_ge_i64_e32 vcc, v[8:9], v[6:7]
	s_or_b64 s[16:17], vcc, s[16:17]
	s_andn2_b64 exec, exec, s[16:17]
	s_cbranch_execz .LBB206_16
.LBB206_21:                             ;   Parent Loop BB206_17 Depth=1
                                        ; =>  This Loop Header: Depth=2
                                        ;       Child Loop BB206_24 Depth 3
	v_lshl_add_u64 v[10:11], v[8:9], 2, s[8:9]
	global_load_dword v17, v[10:11], off
	v_lshl_add_u64 v[10:11], v[8:9], 3, s[10:11]
	global_load_dwordx2 v[10:11], v[10:11], off
	s_waitcnt vmcnt(1)
	v_subrev_u32_e32 v18, s37, v17
	v_mul_lo_u32 v17, v18, s43
	v_and_b32_e32 v17, 0x3ff, v17
	v_lshl_add_u32 v19, v17, 2, 0
	ds_read_b32 v20, v19
	s_waitcnt lgkmcnt(0)
	v_cmp_ne_u32_e32 vcc, v20, v18
	s_and_saveexec_b64 s[28:29], vcc
	s_cbranch_execz .LBB206_20
; %bb.22:                               ;   in Loop: Header=BB206_21 Depth=2
	s_mov_b64 s[30:31], 0
	s_branch .LBB206_24
.LBB206_23:                             ;   in Loop: Header=BB206_24 Depth=3
	s_or_b64 exec, exec, s[50:51]
	s_and_b64 s[46:47], exec, s[48:49]
	s_or_b64 s[30:31], s[46:47], s[30:31]
	s_andn2_b64 exec, exec, s[30:31]
	s_cbranch_execz .LBB206_19
.LBB206_24:                             ;   Parent Loop BB206_17 Depth=1
                                        ;     Parent Loop BB206_21 Depth=2
                                        ; =>    This Inner Loop Header: Depth=3
	v_cmp_ne_u32_e32 vcc, s33, v20
	s_mov_b64 s[46:47], 0
	s_and_saveexec_b64 s[48:49], vcc
	s_xor_b64 s[48:49], exec, s[48:49]
	s_cbranch_execz .LBB206_26
; %bb.25:                               ;   in Loop: Header=BB206_24 Depth=3
	v_add_u32_e32 v17, 1, v17
	s_mov_b64 s[46:47], exec
	v_and_b32_e32 v17, 0x3ff, v17
                                        ; implicit-def: $vgpr19
	s_andn2_saveexec_b64 s[48:49], s[48:49]
	s_cbranch_execz .LBB206_28
	s_branch .LBB206_27
.LBB206_26:                             ;   in Loop: Header=BB206_24 Depth=3
	s_andn2_saveexec_b64 s[48:49], s[48:49]
	s_cbranch_execz .LBB206_28
.LBB206_27:                             ;   in Loop: Header=BB206_24 Depth=3
	v_mov_b32_e32 v20, s33
	ds_cmpst_rtn_b32 v19, v19, v20, v18
	s_andn2_b64 s[46:47], s[46:47], exec
	s_waitcnt lgkmcnt(0)
	v_cmp_ne_u32_e32 vcc, s33, v19
	s_and_b64 s[50:51], vcc, exec
	s_or_b64 s[46:47], s[46:47], s[50:51]
.LBB206_28:                             ;   in Loop: Header=BB206_24 Depth=3
	s_or_b64 exec, exec, s[48:49]
	s_mov_b64 s[48:49], -1
                                        ; implicit-def: $vgpr19
                                        ; implicit-def: $vgpr20
	s_and_saveexec_b64 s[50:51], s[46:47]
	s_cbranch_execz .LBB206_23
; %bb.29:                               ;   in Loop: Header=BB206_24 Depth=3
	v_lshl_add_u32 v19, v17, 2, 0
	ds_read_b32 v20, v19
	s_waitcnt lgkmcnt(0)
	v_cmp_eq_u32_e32 vcc, v20, v18
	s_orn2_b64 s[48:49], vcc, exec
	s_branch .LBB206_23
.LBB206_30:
	s_or_b64 exec, exec, s[2:3]
.LBB206_31:
	s_andn2_b64 vcc, exec, s[44:45]
	s_cbranch_vccnz .LBB206_46
; %bb.32:
	s_waitcnt lgkmcnt(0)
	s_ashr_i32 s43, s42, 31
	s_lshl_b64 s[0:1], s[42:43], 3
	s_add_u32 s0, s14, s0
	s_addc_u32 s1, s15, s1
	s_load_dwordx4 s[4:7], s[0:1], 0x0
	v_subrev_co_u32_e32 v2, vcc, s39, v0
	s_nop 1
	v_subb_co_u32_e64 v3, s[0:1], 0, 0, vcc
	s_waitcnt lgkmcnt(0)
	s_sub_u32 s0, s6, s39
	s_subb_u32 s1, s7, 0
	v_lshl_add_u64 v[2:3], s[4:5], 0, v[2:3]
	v_cmp_gt_i64_e32 vcc, s[0:1], v[2:3]
	s_and_saveexec_b64 s[2:3], vcc
	s_cbranch_execz .LBB206_45
; %bb.33:
	s_mov_b64 s[4:5], 0
	s_movk_i32 s18, 0x89
	s_mov_b64 s[6:7], 0x200
	s_branch .LBB206_36
.LBB206_34:                             ;   in Loop: Header=BB206_36 Depth=1
	s_or_b64 exec, exec, s[10:11]
.LBB206_35:                             ;   in Loop: Header=BB206_36 Depth=1
	s_or_b64 exec, exec, s[8:9]
	s_waitcnt vmcnt(0)
	v_mul_f32_e64 v7, v5, -s53
	v_mul_f32_e32 v5, s52, v5
	v_fmac_f32_e32 v7, s52, v4
	v_fmac_f32_e32 v5, s53, v4
	v_lshl_add_u32 v4, v6, 3, 0
	ds_add_f32 v4, v7 offset:4096
	ds_add_f32 v4, v5 offset:4100
	v_lshl_add_u64 v[2:3], v[2:3], 0, s[6:7]
	v_cmp_le_i64_e32 vcc, s[0:1], v[2:3]
	s_or_b64 s[4:5], vcc, s[4:5]
	s_andn2_b64 exec, exec, s[4:5]
	s_cbranch_execz .LBB206_45
.LBB206_36:                             ; =>This Loop Header: Depth=1
                                        ;     Child Loop BB206_39 Depth 2
	v_lshl_add_u64 v[4:5], v[2:3], 2, s[24:25]
	global_load_dword v6, v[4:5], off
	v_lshl_add_u64 v[4:5], v[2:3], 3, s[26:27]
	global_load_dwordx2 v[4:5], v[4:5], off
	s_waitcnt vmcnt(1)
	v_subrev_u32_e32 v7, s39, v6
	v_mul_lo_u32 v6, v7, s18
	v_and_b32_e32 v6, 0x3ff, v6
	v_lshl_add_u32 v8, v6, 2, 0
	ds_read_b32 v9, v8
	s_waitcnt lgkmcnt(0)
	v_cmp_ne_u32_e32 vcc, v9, v7
	s_and_saveexec_b64 s[8:9], vcc
	s_cbranch_execz .LBB206_35
; %bb.37:                               ;   in Loop: Header=BB206_36 Depth=1
	s_mov_b64 s[10:11], 0
	s_branch .LBB206_39
.LBB206_38:                             ;   in Loop: Header=BB206_39 Depth=2
	s_or_b64 exec, exec, s[16:17]
	s_and_b64 s[12:13], exec, s[14:15]
	s_or_b64 s[10:11], s[12:13], s[10:11]
	s_andn2_b64 exec, exec, s[10:11]
	s_cbranch_execz .LBB206_34
.LBB206_39:                             ;   Parent Loop BB206_36 Depth=1
                                        ; =>  This Inner Loop Header: Depth=2
	v_cmp_ne_u32_e32 vcc, s33, v9
	s_mov_b64 s[12:13], 0
	s_and_saveexec_b64 s[14:15], vcc
	s_xor_b64 s[14:15], exec, s[14:15]
	s_cbranch_execz .LBB206_41
; %bb.40:                               ;   in Loop: Header=BB206_39 Depth=2
	v_add_u32_e32 v6, 1, v6
	s_mov_b64 s[12:13], exec
	v_and_b32_e32 v6, 0x3ff, v6
                                        ; implicit-def: $vgpr8
	s_andn2_saveexec_b64 s[14:15], s[14:15]
	s_cbranch_execz .LBB206_43
	s_branch .LBB206_42
.LBB206_41:                             ;   in Loop: Header=BB206_39 Depth=2
	s_andn2_saveexec_b64 s[14:15], s[14:15]
	s_cbranch_execz .LBB206_43
.LBB206_42:                             ;   in Loop: Header=BB206_39 Depth=2
	v_mov_b32_e32 v9, s33
	ds_cmpst_rtn_b32 v8, v8, v9, v7
	s_andn2_b64 s[12:13], s[12:13], exec
	s_waitcnt lgkmcnt(0)
	v_cmp_ne_u32_e32 vcc, s33, v8
	s_and_b64 s[16:17], vcc, exec
	s_or_b64 s[12:13], s[12:13], s[16:17]
.LBB206_43:                             ;   in Loop: Header=BB206_39 Depth=2
	s_or_b64 exec, exec, s[14:15]
	s_mov_b64 s[14:15], -1
                                        ; implicit-def: $vgpr8
                                        ; implicit-def: $vgpr9
	s_and_saveexec_b64 s[16:17], s[12:13]
	s_cbranch_execz .LBB206_38
; %bb.44:                               ;   in Loop: Header=BB206_39 Depth=2
	v_lshl_add_u32 v8, v6, 2, 0
	ds_read_b32 v9, v8
	s_waitcnt lgkmcnt(0)
	v_cmp_eq_u32_e32 vcc, v9, v7
	s_orn2_b64 s[14:15], vcc, exec
	s_branch .LBB206_38
.LBB206_45:
	s_or_b64 exec, exec, s[2:3]
.LBB206_46:
	v_mbcnt_lo_u32_b32 v2, -1, 0
	v_mbcnt_hi_u32_b32 v2, -1, v2
	v_sub_u32_e32 v2, 63, v2
	s_movk_i32 s0, 0x1ff
	s_movk_i32 s6, 0x5f
	s_movk_i32 s8, 0x7f
	s_movk_i32 s10, 0x9f
	s_movk_i32 s12, 0xbf
	s_movk_i32 s14, 0xdf
	s_movk_i32 s16, 0xff
	s_movk_i32 s18, 0x11f
	s_movk_i32 s20, 0x13f
	s_movk_i32 s22, 0x15f
	s_movk_i32 s24, 0x17f
	s_movk_i32 s26, 0x19f
	s_movk_i32 s28, 0x1bf
	s_movk_i32 s30, 0x1df
	v_mov_b32_e32 v6, 0
	v_lshrrev_b64 v[2:3], v2, -1
	v_lshl_add_u32 v7, v14, 2, 0
	v_cmp_eq_u32_e64 s[0:1], s0, v0
	v_cmp_lt_u32_e64 s[2:3], 31, v0
	v_cmp_lt_u32_e64 s[4:5], 63, v0
	;; [unrolled: 1-line block ×15, first 2 shown]
	s_mov_b64 s[36:37], 0
	v_mov_b32_e32 v8, 0
	s_waitcnt lgkmcnt(0)
	s_barrier
	s_branch .LBB206_48
.LBB206_47:                             ;   in Loop: Header=BB206_48 Depth=1
	s_or_b64 exec, exec, s[44:45]
	s_waitcnt lgkmcnt(0)
	s_barrier
	ds_read_b32 v4, v6 offset:12348
	v_add_co_u32_e32 v12, vcc, 0x200, v12
	s_xor_b64 s[44:45], vcc, -1
	s_and_b64 s[44:45], exec, s[44:45]
	v_add_u32_e32 v1, 0x1000, v1
	s_waitcnt lgkmcnt(0)
	v_add_u32_e32 v8, v4, v8
	s_or_b64 s[36:37], s[44:45], s[36:37]
	v_add_u32_e32 v13, 0x800, v13
	s_andn2_b64 exec, exec, s[36:37]
	s_cbranch_execz .LBB206_82
.LBB206_48:                             ; =>This Inner Loop Header: Depth=1
	ds_read_b32 v9, v13
	ds_read2_b32 v[4:5], v1 offset1:1
	s_waitcnt lgkmcnt(0)
	s_barrier
	v_cmp_gt_i32_e32 vcc, s33, v9
	s_bcnt1_i32_b64 s39, vcc
	s_nop 0
	v_and_b32_e32 v11, vcc_lo, v2
	v_and_b32_e32 v10, vcc_hi, v3
	v_bcnt_u32_b32 v11, v11, 0
	v_bcnt_u32_b32 v10, v10, v11
	v_mov_b32_e32 v11, s39
	ds_write_b32 v7, v11 offset:12288
	s_waitcnt lgkmcnt(0)
	s_barrier
	s_and_saveexec_b64 s[44:45], s[2:3]
	s_cbranch_execz .LBB206_65
; %bb.49:                               ;   in Loop: Header=BB206_48 Depth=1
	ds_read_b32 v11, v6 offset:12288
	s_waitcnt lgkmcnt(0)
	v_add_u32_e32 v10, v11, v10
	s_or_b64 exec, exec, s[44:45]
	s_and_saveexec_b64 s[44:45], s[4:5]
	s_cbranch_execnz .LBB206_66
.LBB206_50:                             ;   in Loop: Header=BB206_48 Depth=1
	s_or_b64 exec, exec, s[44:45]
	s_and_saveexec_b64 s[44:45], s[6:7]
	s_cbranch_execz .LBB206_67
.LBB206_51:                             ;   in Loop: Header=BB206_48 Depth=1
	ds_read_b32 v11, v6 offset:12296
	s_waitcnt lgkmcnt(0)
	v_add_u32_e32 v10, v11, v10
	s_or_b64 exec, exec, s[44:45]
	s_and_saveexec_b64 s[44:45], s[8:9]
	s_cbranch_execnz .LBB206_68
.LBB206_52:                             ;   in Loop: Header=BB206_48 Depth=1
	s_or_b64 exec, exec, s[44:45]
	s_and_saveexec_b64 s[44:45], s[10:11]
	s_cbranch_execz .LBB206_69
.LBB206_53:                             ;   in Loop: Header=BB206_48 Depth=1
	ds_read_b32 v11, v6 offset:12304
	s_waitcnt lgkmcnt(0)
	v_add_u32_e32 v10, v11, v10
	s_or_b64 exec, exec, s[44:45]
	s_and_saveexec_b64 s[44:45], s[12:13]
	s_cbranch_execnz .LBB206_70
.LBB206_54:                             ;   in Loop: Header=BB206_48 Depth=1
	s_or_b64 exec, exec, s[44:45]
	s_and_saveexec_b64 s[44:45], s[14:15]
	s_cbranch_execz .LBB206_71
.LBB206_55:                             ;   in Loop: Header=BB206_48 Depth=1
	ds_read_b32 v11, v6 offset:12312
	s_waitcnt lgkmcnt(0)
	v_add_u32_e32 v10, v11, v10
	s_or_b64 exec, exec, s[44:45]
	s_and_saveexec_b64 s[44:45], s[16:17]
	s_cbranch_execnz .LBB206_72
.LBB206_56:                             ;   in Loop: Header=BB206_48 Depth=1
	s_or_b64 exec, exec, s[44:45]
	s_and_saveexec_b64 s[44:45], s[18:19]
	s_cbranch_execz .LBB206_73
.LBB206_57:                             ;   in Loop: Header=BB206_48 Depth=1
	ds_read_b32 v11, v6 offset:12320
	s_waitcnt lgkmcnt(0)
	v_add_u32_e32 v10, v11, v10
	s_or_b64 exec, exec, s[44:45]
	s_and_saveexec_b64 s[44:45], s[20:21]
	s_cbranch_execnz .LBB206_74
.LBB206_58:                             ;   in Loop: Header=BB206_48 Depth=1
	s_or_b64 exec, exec, s[44:45]
	s_and_saveexec_b64 s[44:45], s[22:23]
	s_cbranch_execz .LBB206_75
.LBB206_59:                             ;   in Loop: Header=BB206_48 Depth=1
	ds_read_b32 v11, v6 offset:12328
	s_waitcnt lgkmcnt(0)
	v_add_u32_e32 v10, v11, v10
	s_or_b64 exec, exec, s[44:45]
	s_and_saveexec_b64 s[44:45], s[24:25]
	s_cbranch_execnz .LBB206_76
.LBB206_60:                             ;   in Loop: Header=BB206_48 Depth=1
	s_or_b64 exec, exec, s[44:45]
	s_and_saveexec_b64 s[44:45], s[26:27]
	s_cbranch_execz .LBB206_77
.LBB206_61:                             ;   in Loop: Header=BB206_48 Depth=1
	ds_read_b32 v11, v6 offset:12336
	s_waitcnt lgkmcnt(0)
	v_add_u32_e32 v10, v11, v10
	s_or_b64 exec, exec, s[44:45]
	s_and_saveexec_b64 s[44:45], s[28:29]
	s_cbranch_execnz .LBB206_78
.LBB206_62:                             ;   in Loop: Header=BB206_48 Depth=1
	s_or_b64 exec, exec, s[44:45]
	s_and_saveexec_b64 s[44:45], s[30:31]
	s_cbranch_execz .LBB206_79
.LBB206_63:                             ;   in Loop: Header=BB206_48 Depth=1
	ds_read_b32 v11, v6 offset:12344
	s_waitcnt lgkmcnt(0)
	v_add_u32_e32 v10, v11, v10
	s_or_b64 exec, exec, s[44:45]
	s_and_saveexec_b64 s[44:45], vcc
	s_cbranch_execnz .LBB206_80
.LBB206_64:                             ;   in Loop: Header=BB206_48 Depth=1
	s_or_b64 exec, exec, s[44:45]
	s_and_saveexec_b64 s[44:45], s[0:1]
	s_cbranch_execz .LBB206_47
	s_branch .LBB206_81
.LBB206_65:                             ;   in Loop: Header=BB206_48 Depth=1
	s_or_b64 exec, exec, s[44:45]
	s_and_saveexec_b64 s[44:45], s[4:5]
	s_cbranch_execz .LBB206_50
.LBB206_66:                             ;   in Loop: Header=BB206_48 Depth=1
	ds_read_b32 v11, v6 offset:12292
	s_waitcnt lgkmcnt(0)
	v_add_u32_e32 v10, v11, v10
	s_or_b64 exec, exec, s[44:45]
	s_and_saveexec_b64 s[44:45], s[6:7]
	s_cbranch_execnz .LBB206_51
.LBB206_67:                             ;   in Loop: Header=BB206_48 Depth=1
	s_or_b64 exec, exec, s[44:45]
	s_and_saveexec_b64 s[44:45], s[8:9]
	s_cbranch_execz .LBB206_52
.LBB206_68:                             ;   in Loop: Header=BB206_48 Depth=1
	ds_read_b32 v11, v6 offset:12300
	s_waitcnt lgkmcnt(0)
	v_add_u32_e32 v10, v11, v10
	s_or_b64 exec, exec, s[44:45]
	s_and_saveexec_b64 s[44:45], s[10:11]
	s_cbranch_execnz .LBB206_53
.LBB206_69:                             ;   in Loop: Header=BB206_48 Depth=1
	s_or_b64 exec, exec, s[44:45]
	s_and_saveexec_b64 s[44:45], s[12:13]
	s_cbranch_execz .LBB206_54
.LBB206_70:                             ;   in Loop: Header=BB206_48 Depth=1
	ds_read_b32 v11, v6 offset:12308
	s_waitcnt lgkmcnt(0)
	v_add_u32_e32 v10, v11, v10
	s_or_b64 exec, exec, s[44:45]
	s_and_saveexec_b64 s[44:45], s[14:15]
	s_cbranch_execnz .LBB206_55
.LBB206_71:                             ;   in Loop: Header=BB206_48 Depth=1
	s_or_b64 exec, exec, s[44:45]
	s_and_saveexec_b64 s[44:45], s[16:17]
	s_cbranch_execz .LBB206_56
.LBB206_72:                             ;   in Loop: Header=BB206_48 Depth=1
	ds_read_b32 v11, v6 offset:12316
	s_waitcnt lgkmcnt(0)
	v_add_u32_e32 v10, v11, v10
	s_or_b64 exec, exec, s[44:45]
	s_and_saveexec_b64 s[44:45], s[18:19]
	s_cbranch_execnz .LBB206_57
.LBB206_73:                             ;   in Loop: Header=BB206_48 Depth=1
	s_or_b64 exec, exec, s[44:45]
	s_and_saveexec_b64 s[44:45], s[20:21]
	s_cbranch_execz .LBB206_58
.LBB206_74:                             ;   in Loop: Header=BB206_48 Depth=1
	ds_read_b32 v11, v6 offset:12324
	s_waitcnt lgkmcnt(0)
	v_add_u32_e32 v10, v11, v10
	s_or_b64 exec, exec, s[44:45]
	s_and_saveexec_b64 s[44:45], s[22:23]
	s_cbranch_execnz .LBB206_59
.LBB206_75:                             ;   in Loop: Header=BB206_48 Depth=1
	s_or_b64 exec, exec, s[44:45]
	s_and_saveexec_b64 s[44:45], s[24:25]
	s_cbranch_execz .LBB206_60
.LBB206_76:                             ;   in Loop: Header=BB206_48 Depth=1
	ds_read_b32 v11, v6 offset:12332
	s_waitcnt lgkmcnt(0)
	v_add_u32_e32 v10, v11, v10
	s_or_b64 exec, exec, s[44:45]
	s_and_saveexec_b64 s[44:45], s[26:27]
	s_cbranch_execnz .LBB206_61
.LBB206_77:                             ;   in Loop: Header=BB206_48 Depth=1
	s_or_b64 exec, exec, s[44:45]
	s_and_saveexec_b64 s[44:45], s[28:29]
	s_cbranch_execz .LBB206_62
.LBB206_78:                             ;   in Loop: Header=BB206_48 Depth=1
	ds_read_b32 v11, v6 offset:12340
	s_waitcnt lgkmcnt(0)
	v_add_u32_e32 v10, v11, v10
	s_or_b64 exec, exec, s[44:45]
	s_and_saveexec_b64 s[44:45], s[30:31]
	s_cbranch_execnz .LBB206_63
.LBB206_79:                             ;   in Loop: Header=BB206_48 Depth=1
	s_or_b64 exec, exec, s[44:45]
	s_and_saveexec_b64 s[44:45], vcc
	s_cbranch_execz .LBB206_64
.LBB206_80:                             ;   in Loop: Header=BB206_48 Depth=1
	v_add3_u32 v11, v8, -1, v10
	v_add_u32_e32 v14, v8, v10
	v_lshl_add_u32 v11, v11, 2, 0
	v_lshl_add_u32 v14, v14, 3, 0
	v_add_u32_e32 v14, 0xff8, v14
	ds_write_b32 v11, v9
	ds_write2_b32 v14, v4, v5 offset1:1
	s_or_b64 exec, exec, s[44:45]
	s_and_saveexec_b64 s[44:45], s[0:1]
	s_cbranch_execz .LBB206_47
.LBB206_81:                             ;   in Loop: Header=BB206_48 Depth=1
	ds_write_b32 v6, v10 offset:12348
	s_branch .LBB206_47
.LBB206_82:
	s_or_b64 exec, exec, s[36:37]
	s_ashr_i32 s43, s42, 31
	s_lshl_b64 s[0:1], s[42:43], 3
	s_add_u32 s4, s40, s0
	s_addc_u32 s5, s41, s1
	s_load_dwordx4 s[0:3], s[4:5], 0x0
	s_waitcnt lgkmcnt(0)
	s_sub_i32 s8, s2, s0
	v_cmp_gt_i32_e32 vcc, s8, v0
	s_and_saveexec_b64 s[4:5], vcc
	s_cbranch_execz .LBB206_92
; %bb.83:
	s_sub_u32 s4, s0, s38
	s_subb_u32 s5, s1, 0
	s_and_b32 s10, s8, 7
	s_sub_i32 s0, s0, s2
	s_cmp_lt_u32 s0, -7
	s_cselect_b64 s[0:1], -1, 0
	s_and_b32 s11, s8, -8
	s_cmp_lg_u32 s10, 0
	v_cndmask_b32_e64 v1, 0, 1, s[0:1]
	s_cselect_b64 s[2:3], -1, 0
	v_cmp_ne_u32_e64 s[0:1], 1, v1
	v_cndmask_b32_e64 v1, 0, 1, s[2:3]
	s_mov_b32 s9, 0
	s_mov_b64 s[6:7], 0
	s_movk_i32 s12, 0x1000
	v_cmp_ne_u32_e64 s[2:3], 1, v1
	s_branch .LBB206_85
.LBB206_84:                             ;   in Loop: Header=BB206_85 Depth=1
	v_add_u32_e32 v0, 0x200, v0
	v_cmp_le_i32_e32 vcc, s8, v0
	v_lshl_add_u64 v[4:5], v[4:5], 3, s[34:35]
	s_or_b64 s[6:7], vcc, s[6:7]
	s_waitcnt lgkmcnt(0)
	global_store_dwordx2 v[4:5], v[2:3], off
	s_andn2_b64 exec, exec, s[6:7]
	s_cbranch_execz .LBB206_92
.LBB206_85:                             ; =>This Loop Header: Depth=1
                                        ;     Child Loop BB206_87 Depth 2
                                        ;     Child Loop BB206_91 Depth 2
	v_lshlrev_b32_e32 v1, 2, v0
	v_add_u32_e32 v2, 0, v1
	v_add3_u32 v3, v2, v1, s12
	ds_read_b32 v1, v2
	ds_read2_b32 v[2:3], v3 offset1:1
	s_and_b64 vcc, exec, s[0:1]
	v_mov_b64_e32 v[4:5], s[4:5]
	s_mov_b32 s13, 0
	s_cbranch_vccnz .LBB206_89
; %bb.86:                               ;   in Loop: Header=BB206_85 Depth=1
	s_mov_b32 s14, 0
	v_mov_b64_e32 v[4:5], s[4:5]
.LBB206_87:                             ;   Parent Loop BB206_85 Depth=1
                                        ; =>  This Inner Loop Header: Depth=2
	v_mov_b32_e32 v6, s14
	ds_read2_b32 v[22:23], v6 offset1:1
	ds_read2_b32 v[24:25], v6 offset0:2 offset1:3
	ds_read2_b32 v[26:27], v6 offset0:4 offset1:5
	;; [unrolled: 1-line block ×3, first 2 shown]
	v_mov_b32_e32 v7, s9
	s_waitcnt lgkmcnt(3)
	v_cmp_gt_i32_e32 vcc, v1, v22
	v_mov_b32_e32 v9, s9
	v_mov_b32_e32 v11, s9
	v_cndmask_b32_e64 v6, 0, 1, vcc
	v_cmp_gt_i32_e32 vcc, v1, v23
	v_lshl_add_u64 v[4:5], v[4:5], 0, v[6:7]
	v_mov_b32_e32 v13, s9
	v_cndmask_b32_e64 v8, 0, 1, vcc
	s_waitcnt lgkmcnt(2)
	v_cmp_gt_i32_e32 vcc, v1, v24
	v_lshl_add_u64 v[4:5], v[4:5], 0, v[8:9]
	v_mov_b32_e32 v15, s9
	v_cndmask_b32_e64 v10, 0, 1, vcc
	v_cmp_gt_i32_e32 vcc, v1, v25
	v_lshl_add_u64 v[4:5], v[4:5], 0, v[10:11]
	v_mov_b32_e32 v17, s9
	v_cndmask_b32_e64 v12, 0, 1, vcc
	s_waitcnt lgkmcnt(1)
	v_cmp_gt_i32_e32 vcc, v1, v26
	v_lshl_add_u64 v[4:5], v[4:5], 0, v[12:13]
	;; [unrolled: 9-line block ×3, first 2 shown]
	s_add_i32 s13, s13, 8
	v_cndmask_b32_e64 v18, 0, 1, vcc
	v_cmp_gt_i32_e32 vcc, v1, v29
	s_add_i32 s14, s14, 32
	v_lshl_add_u64 v[4:5], v[4:5], 0, v[18:19]
	v_cndmask_b32_e64 v20, 0, 1, vcc
	s_cmp_eq_u32 s11, s13
	v_lshl_add_u64 v[4:5], v[4:5], 0, v[20:21]
	s_cbranch_scc0 .LBB206_87
; %bb.88:                               ;   in Loop: Header=BB206_85 Depth=1
	s_mov_b32 s13, s11
.LBB206_89:                             ;   in Loop: Header=BB206_85 Depth=1
	s_and_b64 vcc, exec, s[2:3]
	s_cbranch_vccnz .LBB206_84
; %bb.90:                               ;   in Loop: Header=BB206_85 Depth=1
	s_lshl_b32 s13, s13, 2
	s_add_i32 s13, s13, 0
	s_mov_b32 s14, s10
.LBB206_91:                             ;   Parent Loop BB206_85 Depth=1
                                        ; =>  This Inner Loop Header: Depth=2
	v_mov_b32_e32 v6, s13
	ds_read_b32 v6, v6
	v_mov_b32_e32 v7, s9
	s_add_i32 s13, s13, 4
	s_add_i32 s14, s14, -1
	s_cmp_lg_u32 s14, 0
	s_waitcnt lgkmcnt(0)
	v_cmp_gt_i32_e32 vcc, v1, v6
	s_nop 1
	v_cndmask_b32_e64 v6, 0, 1, vcc
	v_lshl_add_u64 v[4:5], v[4:5], 0, v[6:7]
	s_cbranch_scc1 .LBB206_91
	s_branch .LBB206_84
.LBB206_92:
	s_endpgm
	.section	.rodata,"a",@progbits
	.p2align	6, 0x0
	.amdhsa_kernel _ZN9rocsparseL41csrgemm_numeric_fill_block_per_row_kernelILj512ELj32ELj1024ELj137ELj32Eli21rocsparse_complex_numIfEEEvT5_PKS3_S5_NS_24const_host_device_scalarIT6_EEPKT4_S5_PKS7_SB_S5_SD_S8_SB_S5_SD_SB_S5_PS7_21rocsparse_index_base_SF_SF_SF_bbb
		.amdhsa_group_segment_fixed_size 0
		.amdhsa_private_segment_fixed_size 0
		.amdhsa_kernarg_size 156
		.amdhsa_user_sgpr_count 2
		.amdhsa_user_sgpr_dispatch_ptr 0
		.amdhsa_user_sgpr_queue_ptr 0
		.amdhsa_user_sgpr_kernarg_segment_ptr 1
		.amdhsa_user_sgpr_dispatch_id 0
		.amdhsa_user_sgpr_kernarg_preload_length 0
		.amdhsa_user_sgpr_kernarg_preload_offset 0
		.amdhsa_user_sgpr_private_segment_size 0
		.amdhsa_uses_dynamic_stack 0
		.amdhsa_enable_private_segment 0
		.amdhsa_system_sgpr_workgroup_id_x 1
		.amdhsa_system_sgpr_workgroup_id_y 0
		.amdhsa_system_sgpr_workgroup_id_z 0
		.amdhsa_system_sgpr_workgroup_info 0
		.amdhsa_system_vgpr_workitem_id 0
		.amdhsa_next_free_vgpr 30
		.amdhsa_next_free_sgpr 55
		.amdhsa_accum_offset 32
		.amdhsa_reserve_vcc 1
		.amdhsa_float_round_mode_32 0
		.amdhsa_float_round_mode_16_64 0
		.amdhsa_float_denorm_mode_32 3
		.amdhsa_float_denorm_mode_16_64 3
		.amdhsa_dx10_clamp 1
		.amdhsa_ieee_mode 1
		.amdhsa_fp16_overflow 0
		.amdhsa_tg_split 0
		.amdhsa_exception_fp_ieee_invalid_op 0
		.amdhsa_exception_fp_denorm_src 0
		.amdhsa_exception_fp_ieee_div_zero 0
		.amdhsa_exception_fp_ieee_overflow 0
		.amdhsa_exception_fp_ieee_underflow 0
		.amdhsa_exception_fp_ieee_inexact 0
		.amdhsa_exception_int_div_zero 0
	.end_amdhsa_kernel
	.section	.text._ZN9rocsparseL41csrgemm_numeric_fill_block_per_row_kernelILj512ELj32ELj1024ELj137ELj32Eli21rocsparse_complex_numIfEEEvT5_PKS3_S5_NS_24const_host_device_scalarIT6_EEPKT4_S5_PKS7_SB_S5_SD_S8_SB_S5_SD_SB_S5_PS7_21rocsparse_index_base_SF_SF_SF_bbb,"axG",@progbits,_ZN9rocsparseL41csrgemm_numeric_fill_block_per_row_kernelILj512ELj32ELj1024ELj137ELj32Eli21rocsparse_complex_numIfEEEvT5_PKS3_S5_NS_24const_host_device_scalarIT6_EEPKT4_S5_PKS7_SB_S5_SD_S8_SB_S5_SD_SB_S5_PS7_21rocsparse_index_base_SF_SF_SF_bbb,comdat
.Lfunc_end206:
	.size	_ZN9rocsparseL41csrgemm_numeric_fill_block_per_row_kernelILj512ELj32ELj1024ELj137ELj32Eli21rocsparse_complex_numIfEEEvT5_PKS3_S5_NS_24const_host_device_scalarIT6_EEPKT4_S5_PKS7_SB_S5_SD_S8_SB_S5_SD_SB_S5_PS7_21rocsparse_index_base_SF_SF_SF_bbb, .Lfunc_end206-_ZN9rocsparseL41csrgemm_numeric_fill_block_per_row_kernelILj512ELj32ELj1024ELj137ELj32Eli21rocsparse_complex_numIfEEEvT5_PKS3_S5_NS_24const_host_device_scalarIT6_EEPKT4_S5_PKS7_SB_S5_SD_S8_SB_S5_SD_SB_S5_PS7_21rocsparse_index_base_SF_SF_SF_bbb
                                        ; -- End function
	.set _ZN9rocsparseL41csrgemm_numeric_fill_block_per_row_kernelILj512ELj32ELj1024ELj137ELj32Eli21rocsparse_complex_numIfEEEvT5_PKS3_S5_NS_24const_host_device_scalarIT6_EEPKT4_S5_PKS7_SB_S5_SD_S8_SB_S5_SD_SB_S5_PS7_21rocsparse_index_base_SF_SF_SF_bbb.num_vgpr, 30
	.set _ZN9rocsparseL41csrgemm_numeric_fill_block_per_row_kernelILj512ELj32ELj1024ELj137ELj32Eli21rocsparse_complex_numIfEEEvT5_PKS3_S5_NS_24const_host_device_scalarIT6_EEPKT4_S5_PKS7_SB_S5_SD_S8_SB_S5_SD_SB_S5_PS7_21rocsparse_index_base_SF_SF_SF_bbb.num_agpr, 0
	.set _ZN9rocsparseL41csrgemm_numeric_fill_block_per_row_kernelILj512ELj32ELj1024ELj137ELj32Eli21rocsparse_complex_numIfEEEvT5_PKS3_S5_NS_24const_host_device_scalarIT6_EEPKT4_S5_PKS7_SB_S5_SD_S8_SB_S5_SD_SB_S5_PS7_21rocsparse_index_base_SF_SF_SF_bbb.numbered_sgpr, 55
	.set _ZN9rocsparseL41csrgemm_numeric_fill_block_per_row_kernelILj512ELj32ELj1024ELj137ELj32Eli21rocsparse_complex_numIfEEEvT5_PKS3_S5_NS_24const_host_device_scalarIT6_EEPKT4_S5_PKS7_SB_S5_SD_S8_SB_S5_SD_SB_S5_PS7_21rocsparse_index_base_SF_SF_SF_bbb.num_named_barrier, 0
	.set _ZN9rocsparseL41csrgemm_numeric_fill_block_per_row_kernelILj512ELj32ELj1024ELj137ELj32Eli21rocsparse_complex_numIfEEEvT5_PKS3_S5_NS_24const_host_device_scalarIT6_EEPKT4_S5_PKS7_SB_S5_SD_S8_SB_S5_SD_SB_S5_PS7_21rocsparse_index_base_SF_SF_SF_bbb.private_seg_size, 0
	.set _ZN9rocsparseL41csrgemm_numeric_fill_block_per_row_kernelILj512ELj32ELj1024ELj137ELj32Eli21rocsparse_complex_numIfEEEvT5_PKS3_S5_NS_24const_host_device_scalarIT6_EEPKT4_S5_PKS7_SB_S5_SD_S8_SB_S5_SD_SB_S5_PS7_21rocsparse_index_base_SF_SF_SF_bbb.uses_vcc, 1
	.set _ZN9rocsparseL41csrgemm_numeric_fill_block_per_row_kernelILj512ELj32ELj1024ELj137ELj32Eli21rocsparse_complex_numIfEEEvT5_PKS3_S5_NS_24const_host_device_scalarIT6_EEPKT4_S5_PKS7_SB_S5_SD_S8_SB_S5_SD_SB_S5_PS7_21rocsparse_index_base_SF_SF_SF_bbb.uses_flat_scratch, 0
	.set _ZN9rocsparseL41csrgemm_numeric_fill_block_per_row_kernelILj512ELj32ELj1024ELj137ELj32Eli21rocsparse_complex_numIfEEEvT5_PKS3_S5_NS_24const_host_device_scalarIT6_EEPKT4_S5_PKS7_SB_S5_SD_S8_SB_S5_SD_SB_S5_PS7_21rocsparse_index_base_SF_SF_SF_bbb.has_dyn_sized_stack, 0
	.set _ZN9rocsparseL41csrgemm_numeric_fill_block_per_row_kernelILj512ELj32ELj1024ELj137ELj32Eli21rocsparse_complex_numIfEEEvT5_PKS3_S5_NS_24const_host_device_scalarIT6_EEPKT4_S5_PKS7_SB_S5_SD_S8_SB_S5_SD_SB_S5_PS7_21rocsparse_index_base_SF_SF_SF_bbb.has_recursion, 0
	.set _ZN9rocsparseL41csrgemm_numeric_fill_block_per_row_kernelILj512ELj32ELj1024ELj137ELj32Eli21rocsparse_complex_numIfEEEvT5_PKS3_S5_NS_24const_host_device_scalarIT6_EEPKT4_S5_PKS7_SB_S5_SD_S8_SB_S5_SD_SB_S5_PS7_21rocsparse_index_base_SF_SF_SF_bbb.has_indirect_call, 0
	.section	.AMDGPU.csdata,"",@progbits
; Kernel info:
; codeLenInByte = 3160
; TotalNumSgprs: 61
; NumVgprs: 30
; NumAgprs: 0
; TotalNumVgprs: 30
; ScratchSize: 0
; MemoryBound: 0
; FloatMode: 240
; IeeeMode: 1
; LDSByteSize: 0 bytes/workgroup (compile time only)
; SGPRBlocks: 7
; VGPRBlocks: 3
; NumSGPRsForWavesPerEU: 61
; NumVGPRsForWavesPerEU: 30
; AccumOffset: 32
; Occupancy: 8
; WaveLimiterHint : 1
; COMPUTE_PGM_RSRC2:SCRATCH_EN: 0
; COMPUTE_PGM_RSRC2:USER_SGPR: 2
; COMPUTE_PGM_RSRC2:TRAP_HANDLER: 0
; COMPUTE_PGM_RSRC2:TGID_X_EN: 1
; COMPUTE_PGM_RSRC2:TGID_Y_EN: 0
; COMPUTE_PGM_RSRC2:TGID_Z_EN: 0
; COMPUTE_PGM_RSRC2:TIDIG_COMP_CNT: 0
; COMPUTE_PGM_RSRC3_GFX90A:ACCUM_OFFSET: 7
; COMPUTE_PGM_RSRC3_GFX90A:TG_SPLIT: 0
	.section	.text._ZN9rocsparseL41csrgemm_numeric_fill_block_per_row_kernelILj512ELj32ELj1024ELj137ELj64Eli21rocsparse_complex_numIfEEEvT5_PKS3_S5_NS_24const_host_device_scalarIT6_EEPKT4_S5_PKS7_SB_S5_SD_S8_SB_S5_SD_SB_S5_PS7_21rocsparse_index_base_SF_SF_SF_bbb,"axG",@progbits,_ZN9rocsparseL41csrgemm_numeric_fill_block_per_row_kernelILj512ELj32ELj1024ELj137ELj64Eli21rocsparse_complex_numIfEEEvT5_PKS3_S5_NS_24const_host_device_scalarIT6_EEPKT4_S5_PKS7_SB_S5_SD_S8_SB_S5_SD_SB_S5_PS7_21rocsparse_index_base_SF_SF_SF_bbb,comdat
	.globl	_ZN9rocsparseL41csrgemm_numeric_fill_block_per_row_kernelILj512ELj32ELj1024ELj137ELj64Eli21rocsparse_complex_numIfEEEvT5_PKS3_S5_NS_24const_host_device_scalarIT6_EEPKT4_S5_PKS7_SB_S5_SD_S8_SB_S5_SD_SB_S5_PS7_21rocsparse_index_base_SF_SF_SF_bbb ; -- Begin function _ZN9rocsparseL41csrgemm_numeric_fill_block_per_row_kernelILj512ELj32ELj1024ELj137ELj64Eli21rocsparse_complex_numIfEEEvT5_PKS3_S5_NS_24const_host_device_scalarIT6_EEPKT4_S5_PKS7_SB_S5_SD_S8_SB_S5_SD_SB_S5_PS7_21rocsparse_index_base_SF_SF_SF_bbb
	.p2align	8
	.type	_ZN9rocsparseL41csrgemm_numeric_fill_block_per_row_kernelILj512ELj32ELj1024ELj137ELj64Eli21rocsparse_complex_numIfEEEvT5_PKS3_S5_NS_24const_host_device_scalarIT6_EEPKT4_S5_PKS7_SB_S5_SD_S8_SB_S5_SD_SB_S5_PS7_21rocsparse_index_base_SF_SF_SF_bbb,@function
_ZN9rocsparseL41csrgemm_numeric_fill_block_per_row_kernelILj512ELj32ELj1024ELj137ELj64Eli21rocsparse_complex_numIfEEEvT5_PKS3_S5_NS_24const_host_device_scalarIT6_EEPKT4_S5_PKS7_SB_S5_SD_S8_SB_S5_SD_SB_S5_PS7_21rocsparse_index_base_SF_SF_SF_bbb: ; @_ZN9rocsparseL41csrgemm_numeric_fill_block_per_row_kernelILj512ELj32ELj1024ELj137ELj64Eli21rocsparse_complex_numIfEEEvT5_PKS3_S5_NS_24const_host_device_scalarIT6_EEPKT4_S5_PKS7_SB_S5_SD_S8_SB_S5_SD_SB_S5_PS7_21rocsparse_index_base_SF_SF_SF_bbb
; %bb.0:
	s_load_dwordx2 s[40:41], s[0:1], 0x70
	s_load_dwordx4 s[28:31], s[0:1], 0x60
	s_load_dwordx8 s[8:15], s[0:1], 0x40
	s_load_dword s3, s[0:1], 0x98
	s_load_dwordx4 s[36:39], s[0:1], 0x8
	s_load_dwordx8 s[16:23], s[0:1], 0x20
	s_load_dwordx2 s[34:35], s[0:1], 0x80
	s_load_dwordx4 s[24:27], s[0:1], 0x88
	s_waitcnt lgkmcnt(0)
	s_bitcmp1_b32 s3, 0
	s_cselect_b64 s[44:45], -1, 0
	s_bitcmp1_b32 s3, 16
	s_cselect_b64 s[4:5], -1, 0
	s_xor_b64 s[4:5], s[4:5], -1
	v_cndmask_b32_e64 v1, 0, 1, s[4:5]
	s_mov_b32 s7, 0
	s_bitcmp0_b32 s3, 0
	v_cmp_ne_u32_e64 s[4:5], 1, v1
	s_mov_b32 s54, 0
	s_cbranch_scc1 .LBB207_5
; %bb.1:
	s_load_dwordx2 s[6:7], s[0:1], 0x18
	s_and_b64 vcc, exec, s[4:5]
	s_waitcnt lgkmcnt(0)
	s_mov_b32 s54, s6
	s_cbranch_vccnz .LBB207_3
; %bb.2:
	s_load_dword s54, s[6:7], 0x0
.LBB207_3:
	s_and_b64 vcc, exec, s[4:5]
	s_cbranch_vccnz .LBB207_5
; %bb.4:
	s_load_dword s7, s[6:7], 0x4
.LBB207_5:
	s_bitcmp1_b32 s3, 8
	s_cselect_b64 s[42:43], -1, 0
	s_bfe_u32 s3, s3, 0x10008
	s_mov_b32 s52, 0
	s_cmp_eq_u32 s3, 0
	s_mov_b32 s53, 0
	s_cbranch_scc1 .LBB207_11
; %bb.6:
	s_and_b64 vcc, exec, s[4:5]
	s_mov_b32 s52, s12
	s_cbranch_vccnz .LBB207_8
; %bb.7:
	s_load_dword s52, s[12:13], 0x0
.LBB207_8:
	s_and_b64 vcc, exec, s[4:5]
	s_cbranch_vccnz .LBB207_10
; %bb.9:
	s_load_dword s13, s[12:13], 0x4
.LBB207_10:
	s_waitcnt lgkmcnt(0)
	s_mov_b32 s53, s13
.LBB207_11:
	s_load_dword s33, s[0:1], 0x0
	v_lshl_add_u32 v1, v0, 3, 0
	v_add_u32_e32 v1, 0x1000, v1
	v_or_b32_e32 v12, 0xfffffe00, v0
	v_lshl_add_u32 v13, v0, 2, 0
	s_mov_b64 s[0:1], 0
	s_waitcnt lgkmcnt(0)
	v_mov_b32_e32 v6, s33
	v_mov_b32_e32 v2, 0
	;; [unrolled: 1-line block ×5, first 2 shown]
.LBB207_12:                             ; =>This Inner Loop Header: Depth=1
	v_add_co_u32_e32 v4, vcc, 0x200, v4
	s_xor_b64 s[4:5], vcc, -1
	s_and_b64 s[4:5], exec, s[4:5]
	ds_write_b32 v3, v6
	ds_write2_b32 v5, v2, v2 offset1:1
	v_add_u32_e32 v5, 0x1000, v5
	s_or_b64 s[0:1], s[4:5], s[0:1]
	v_add_u32_e32 v3, 0x800, v3
	s_andn2_b64 exec, exec, s[0:1]
	s_cbranch_execnz .LBB207_12
; %bb.13:
	s_or_b64 exec, exec, s[0:1]
	s_waitcnt lgkmcnt(0)
	s_barrier
	s_load_dword s0, s[36:37], 0x0
	s_mov_b32 s1, 0
	s_waitcnt lgkmcnt(0)
	s_add_i32 s0, s0, s2
	s_lshl_b64 s[0:1], s[0:1], 2
	s_add_u32 s0, s38, s0
	s_addc_u32 s1, s39, s1
	s_load_dword s36, s[0:1], 0x0
	s_and_b64 vcc, exec, s[44:45]
	s_cbranch_vccz .LBB207_31
; %bb.14:
	s_waitcnt lgkmcnt(0)
	s_ashr_i32 s37, s36, 31
	s_lshl_b64 s[0:1], s[36:37], 3
	s_add_u32 s0, s16, s0
	s_addc_u32 s1, s17, s1
	s_load_dwordx4 s[44:47], s[0:1], 0x0
	v_lshrrev_b32_e32 v2, 5, v0
	v_subrev_co_u32_e32 v2, vcc, s24, v2
	s_waitcnt lgkmcnt(0)
	s_sub_u32 s0, s46, s24
	v_subb_co_u32_e64 v3, s[2:3], 0, 0, vcc
	s_subb_u32 s1, s47, 0
	v_lshl_add_u64 v[2:3], s[44:45], 0, v[2:3]
	v_cmp_gt_i64_e32 vcc, s[0:1], v[2:3]
	s_and_saveexec_b64 s[2:3], vcc
	s_cbranch_execz .LBB207_30
; %bb.15:
	v_and_b32_e32 v4, 31, v0
	v_subrev_co_u32_e32 v4, vcc, s25, v4
	s_mov_b32 s6, s25
	s_nop 0
	v_subb_co_u32_e64 v5, s[4:5], 0, 0, vcc
	s_mov_b64 s[4:5], 0
	s_movk_i32 s37, 0x89
	s_branch .LBB207_17
.LBB207_16:                             ;   in Loop: Header=BB207_17 Depth=1
	s_or_b64 exec, exec, s[12:13]
	v_lshl_add_u64 v[2:3], v[2:3], 0, 16
	v_cmp_le_i64_e32 vcc, s[0:1], v[2:3]
	s_or_b64 s[4:5], vcc, s[4:5]
	s_andn2_b64 exec, exec, s[4:5]
	s_cbranch_execz .LBB207_30
.LBB207_17:                             ; =>This Loop Header: Depth=1
                                        ;     Child Loop BB207_21 Depth 2
                                        ;       Child Loop BB207_24 Depth 3
	v_lshl_add_u64 v[6:7], v[2:3], 2, s[18:19]
	global_load_dword v6, v[6:7], off
	s_waitcnt vmcnt(0)
	v_subrev_u32_e32 v6, s24, v6
	v_ashrrev_i32_e32 v7, 31, v6
	v_lshl_add_u64 v[6:7], v[6:7], 3, s[22:23]
	global_load_dwordx4 v[8:11], v[6:7], off
	s_waitcnt vmcnt(0)
	v_subrev_co_u32_e32 v6, vcc, s6, v10
	s_nop 1
	v_subbrev_co_u32_e32 v7, vcc, 0, v11, vcc
	v_lshl_add_u64 v[8:9], v[8:9], 0, v[4:5]
	v_cmp_lt_i64_e32 vcc, v[8:9], v[6:7]
	s_and_saveexec_b64 s[12:13], vcc
	s_cbranch_execz .LBB207_16
; %bb.18:                               ;   in Loop: Header=BB207_17 Depth=1
	v_lshl_add_u64 v[10:11], v[2:3], 3, s[20:21]
	global_load_dwordx2 v[10:11], v[10:11], off
	s_mov_b64 s[16:17], 0
	s_waitcnt vmcnt(0)
	v_mul_f32_e64 v14, v11, -s7
	v_mul_f32_e32 v15, s54, v11
	v_fmac_f32_e32 v14, s54, v10
	v_fmac_f32_e32 v15, s7, v10
	s_branch .LBB207_21
.LBB207_19:                             ;   in Loop: Header=BB207_21 Depth=2
	s_or_b64 exec, exec, s[44:45]
.LBB207_20:                             ;   in Loop: Header=BB207_21 Depth=2
	s_or_b64 exec, exec, s[38:39]
	s_waitcnt vmcnt(0)
	v_mul_f32_e64 v17, v11, -v15
	v_mul_f32_e32 v11, v14, v11
	v_fmac_f32_e32 v17, v14, v10
	v_fmac_f32_e32 v11, v15, v10
	v_lshl_add_u32 v10, v16, 3, 0
	ds_add_f32 v10, v17 offset:4096
	ds_add_f32 v10, v11 offset:4100
	v_lshl_add_u64 v[8:9], v[8:9], 0, 32
	v_cmp_ge_i64_e32 vcc, v[8:9], v[6:7]
	s_or_b64 s[16:17], vcc, s[16:17]
	s_andn2_b64 exec, exec, s[16:17]
	s_cbranch_execz .LBB207_16
.LBB207_21:                             ;   Parent Loop BB207_17 Depth=1
                                        ; =>  This Loop Header: Depth=2
                                        ;       Child Loop BB207_24 Depth 3
	v_lshl_add_u64 v[10:11], v[8:9], 2, s[8:9]
	global_load_dword v16, v[10:11], off
	v_lshl_add_u64 v[10:11], v[8:9], 3, s[10:11]
	global_load_dwordx2 v[10:11], v[10:11], off
	s_waitcnt vmcnt(1)
	v_subrev_u32_e32 v17, s25, v16
	v_mul_lo_u32 v16, v17, s37
	v_and_b32_e32 v16, 0x3ff, v16
	v_lshl_add_u32 v18, v16, 2, 0
	ds_read_b32 v19, v18
	s_waitcnt lgkmcnt(0)
	v_cmp_ne_u32_e32 vcc, v19, v17
	s_and_saveexec_b64 s[38:39], vcc
	s_cbranch_execz .LBB207_20
; %bb.22:                               ;   in Loop: Header=BB207_21 Depth=2
	s_mov_b64 s[44:45], 0
	s_branch .LBB207_24
.LBB207_23:                             ;   in Loop: Header=BB207_24 Depth=3
	s_or_b64 exec, exec, s[50:51]
	s_and_b64 s[46:47], exec, s[48:49]
	s_or_b64 s[44:45], s[46:47], s[44:45]
	s_andn2_b64 exec, exec, s[44:45]
	s_cbranch_execz .LBB207_19
.LBB207_24:                             ;   Parent Loop BB207_17 Depth=1
                                        ;     Parent Loop BB207_21 Depth=2
                                        ; =>    This Inner Loop Header: Depth=3
	v_cmp_ne_u32_e32 vcc, s33, v19
	s_mov_b64 s[46:47], 0
	s_and_saveexec_b64 s[48:49], vcc
	s_xor_b64 s[48:49], exec, s[48:49]
	s_cbranch_execz .LBB207_26
; %bb.25:                               ;   in Loop: Header=BB207_24 Depth=3
	v_add_u32_e32 v16, 1, v16
	s_mov_b64 s[46:47], exec
	v_and_b32_e32 v16, 0x3ff, v16
                                        ; implicit-def: $vgpr18
	s_andn2_saveexec_b64 s[48:49], s[48:49]
	s_cbranch_execz .LBB207_28
	s_branch .LBB207_27
.LBB207_26:                             ;   in Loop: Header=BB207_24 Depth=3
	s_andn2_saveexec_b64 s[48:49], s[48:49]
	s_cbranch_execz .LBB207_28
.LBB207_27:                             ;   in Loop: Header=BB207_24 Depth=3
	v_mov_b32_e32 v19, s33
	ds_cmpst_rtn_b32 v18, v18, v19, v17
	s_andn2_b64 s[46:47], s[46:47], exec
	s_waitcnt lgkmcnt(0)
	v_cmp_ne_u32_e32 vcc, s33, v18
	s_and_b64 s[50:51], vcc, exec
	s_or_b64 s[46:47], s[46:47], s[50:51]
.LBB207_28:                             ;   in Loop: Header=BB207_24 Depth=3
	s_or_b64 exec, exec, s[48:49]
	s_mov_b64 s[48:49], -1
                                        ; implicit-def: $vgpr18
                                        ; implicit-def: $vgpr19
	s_and_saveexec_b64 s[50:51], s[46:47]
	s_cbranch_execz .LBB207_23
; %bb.29:                               ;   in Loop: Header=BB207_24 Depth=3
	v_lshl_add_u32 v18, v16, 2, 0
	ds_read_b32 v19, v18
	s_waitcnt lgkmcnt(0)
	v_cmp_eq_u32_e32 vcc, v19, v17
	s_orn2_b64 s[48:49], vcc, exec
	s_branch .LBB207_23
.LBB207_30:
	s_or_b64 exec, exec, s[2:3]
.LBB207_31:
	s_andn2_b64 vcc, exec, s[42:43]
	s_cbranch_vccnz .LBB207_46
; %bb.32:
	s_waitcnt lgkmcnt(0)
	s_ashr_i32 s37, s36, 31
	s_lshl_b64 s[0:1], s[36:37], 3
	s_add_u32 s0, s14, s0
	s_addc_u32 s1, s15, s1
	s_load_dwordx4 s[4:7], s[0:1], 0x0
	v_subrev_co_u32_e32 v2, vcc, s27, v0
	s_nop 1
	v_subb_co_u32_e64 v3, s[0:1], 0, 0, vcc
	s_waitcnt lgkmcnt(0)
	s_sub_u32 s0, s6, s27
	s_subb_u32 s1, s7, 0
	v_lshl_add_u64 v[2:3], s[4:5], 0, v[2:3]
	v_cmp_gt_i64_e32 vcc, s[0:1], v[2:3]
	s_and_saveexec_b64 s[2:3], vcc
	s_cbranch_execz .LBB207_45
; %bb.33:
	s_mov_b64 s[4:5], 0
	s_movk_i32 s18, 0x89
	s_mov_b64 s[6:7], 0x200
	s_branch .LBB207_36
.LBB207_34:                             ;   in Loop: Header=BB207_36 Depth=1
	s_or_b64 exec, exec, s[10:11]
.LBB207_35:                             ;   in Loop: Header=BB207_36 Depth=1
	s_or_b64 exec, exec, s[8:9]
	s_waitcnt vmcnt(0)
	v_mul_f32_e64 v7, v5, -s53
	v_mul_f32_e32 v5, s52, v5
	v_fmac_f32_e32 v7, s52, v4
	v_fmac_f32_e32 v5, s53, v4
	v_lshl_add_u32 v4, v6, 3, 0
	ds_add_f32 v4, v7 offset:4096
	ds_add_f32 v4, v5 offset:4100
	v_lshl_add_u64 v[2:3], v[2:3], 0, s[6:7]
	v_cmp_le_i64_e32 vcc, s[0:1], v[2:3]
	s_or_b64 s[4:5], vcc, s[4:5]
	s_andn2_b64 exec, exec, s[4:5]
	s_cbranch_execz .LBB207_45
.LBB207_36:                             ; =>This Loop Header: Depth=1
                                        ;     Child Loop BB207_39 Depth 2
	v_lshl_add_u64 v[4:5], v[2:3], 2, s[28:29]
	global_load_dword v6, v[4:5], off
	v_lshl_add_u64 v[4:5], v[2:3], 3, s[30:31]
	global_load_dwordx2 v[4:5], v[4:5], off
	s_waitcnt vmcnt(1)
	v_subrev_u32_e32 v7, s27, v6
	v_mul_lo_u32 v6, v7, s18
	v_and_b32_e32 v6, 0x3ff, v6
	v_lshl_add_u32 v8, v6, 2, 0
	ds_read_b32 v9, v8
	s_waitcnt lgkmcnt(0)
	v_cmp_ne_u32_e32 vcc, v9, v7
	s_and_saveexec_b64 s[8:9], vcc
	s_cbranch_execz .LBB207_35
; %bb.37:                               ;   in Loop: Header=BB207_36 Depth=1
	s_mov_b64 s[10:11], 0
	s_branch .LBB207_39
.LBB207_38:                             ;   in Loop: Header=BB207_39 Depth=2
	s_or_b64 exec, exec, s[16:17]
	s_and_b64 s[12:13], exec, s[14:15]
	s_or_b64 s[10:11], s[12:13], s[10:11]
	s_andn2_b64 exec, exec, s[10:11]
	s_cbranch_execz .LBB207_34
.LBB207_39:                             ;   Parent Loop BB207_36 Depth=1
                                        ; =>  This Inner Loop Header: Depth=2
	v_cmp_ne_u32_e32 vcc, s33, v9
	s_mov_b64 s[12:13], 0
	s_and_saveexec_b64 s[14:15], vcc
	s_xor_b64 s[14:15], exec, s[14:15]
	s_cbranch_execz .LBB207_41
; %bb.40:                               ;   in Loop: Header=BB207_39 Depth=2
	v_add_u32_e32 v6, 1, v6
	s_mov_b64 s[12:13], exec
	v_and_b32_e32 v6, 0x3ff, v6
                                        ; implicit-def: $vgpr8
	s_andn2_saveexec_b64 s[14:15], s[14:15]
	s_cbranch_execz .LBB207_43
	s_branch .LBB207_42
.LBB207_41:                             ;   in Loop: Header=BB207_39 Depth=2
	s_andn2_saveexec_b64 s[14:15], s[14:15]
	s_cbranch_execz .LBB207_43
.LBB207_42:                             ;   in Loop: Header=BB207_39 Depth=2
	v_mov_b32_e32 v9, s33
	ds_cmpst_rtn_b32 v8, v8, v9, v7
	s_andn2_b64 s[12:13], s[12:13], exec
	s_waitcnt lgkmcnt(0)
	v_cmp_ne_u32_e32 vcc, s33, v8
	s_and_b64 s[16:17], vcc, exec
	s_or_b64 s[12:13], s[12:13], s[16:17]
.LBB207_43:                             ;   in Loop: Header=BB207_39 Depth=2
	s_or_b64 exec, exec, s[14:15]
	s_mov_b64 s[14:15], -1
                                        ; implicit-def: $vgpr8
                                        ; implicit-def: $vgpr9
	s_and_saveexec_b64 s[16:17], s[12:13]
	s_cbranch_execz .LBB207_38
; %bb.44:                               ;   in Loop: Header=BB207_39 Depth=2
	v_lshl_add_u32 v8, v6, 2, 0
	ds_read_b32 v9, v8
	s_waitcnt lgkmcnt(0)
	v_cmp_eq_u32_e32 vcc, v9, v7
	s_orn2_b64 s[14:15], vcc, exec
	s_branch .LBB207_38
.LBB207_45:
	s_or_b64 exec, exec, s[2:3]
.LBB207_46:
	v_mbcnt_lo_u32_b32 v2, -1, 0
	v_mbcnt_hi_u32_b32 v2, -1, v2
	v_lshrrev_b32_e32 v4, 4, v0
	v_sub_u32_e32 v2, 63, v2
	v_and_b32_e32 v4, 28, v4
	s_movk_i32 s0, 0x1ff
	s_movk_i32 s4, 0x7f
	;; [unrolled: 1-line block ×7, first 2 shown]
	v_mov_b32_e32 v6, 0
	v_lshrrev_b64 v[2:3], v2, -1
	v_add_u32_e32 v7, 0, v4
	v_cmp_eq_u32_e64 s[0:1], s0, v0
	v_cmp_lt_u32_e64 s[2:3], 63, v0
	v_cmp_lt_u32_e64 s[4:5], s4, v0
	;; [unrolled: 1-line block ×7, first 2 shown]
	s_mov_b64 s[16:17], 0
	v_mov_b32_e32 v8, 0
	s_waitcnt lgkmcnt(0)
	s_barrier
	s_branch .LBB207_48
.LBB207_47:                             ;   in Loop: Header=BB207_48 Depth=1
	s_or_b64 exec, exec, s[18:19]
	s_waitcnt lgkmcnt(0)
	s_barrier
	ds_read_b32 v4, v6 offset:12316
	v_add_co_u32_e32 v12, vcc, 0x200, v12
	s_xor_b64 s[18:19], vcc, -1
	s_and_b64 s[18:19], exec, s[18:19]
	v_add_u32_e32 v1, 0x1000, v1
	s_waitcnt lgkmcnt(0)
	v_add_u32_e32 v8, v4, v8
	s_or_b64 s[16:17], s[18:19], s[16:17]
	v_add_u32_e32 v13, 0x800, v13
	s_andn2_b64 exec, exec, s[16:17]
	s_cbranch_execz .LBB207_66
.LBB207_48:                             ; =>This Inner Loop Header: Depth=1
	ds_read_b32 v9, v13
	ds_read2_b32 v[4:5], v1 offset1:1
	s_waitcnt lgkmcnt(0)
	s_barrier
	v_cmp_gt_i32_e32 vcc, s33, v9
	s_bcnt1_i32_b64 s18, vcc
	s_nop 0
	v_and_b32_e32 v11, vcc_lo, v2
	v_and_b32_e32 v10, vcc_hi, v3
	v_bcnt_u32_b32 v11, v11, 0
	v_bcnt_u32_b32 v10, v10, v11
	v_mov_b32_e32 v11, s18
	ds_write_b32 v7, v11 offset:12288
	s_waitcnt lgkmcnt(0)
	s_barrier
	s_and_saveexec_b64 s[18:19], s[2:3]
	s_cbranch_execz .LBB207_57
; %bb.49:                               ;   in Loop: Header=BB207_48 Depth=1
	ds_read_b32 v11, v6 offset:12288
	s_waitcnt lgkmcnt(0)
	v_add_u32_e32 v10, v11, v10
	s_or_b64 exec, exec, s[18:19]
	s_and_saveexec_b64 s[18:19], s[4:5]
	s_cbranch_execnz .LBB207_58
.LBB207_50:                             ;   in Loop: Header=BB207_48 Depth=1
	s_or_b64 exec, exec, s[18:19]
	s_and_saveexec_b64 s[18:19], s[6:7]
	s_cbranch_execz .LBB207_59
.LBB207_51:                             ;   in Loop: Header=BB207_48 Depth=1
	ds_read_b32 v11, v6 offset:12296
	s_waitcnt lgkmcnt(0)
	v_add_u32_e32 v10, v11, v10
	s_or_b64 exec, exec, s[18:19]
	s_and_saveexec_b64 s[18:19], s[8:9]
	s_cbranch_execnz .LBB207_60
.LBB207_52:                             ;   in Loop: Header=BB207_48 Depth=1
	s_or_b64 exec, exec, s[18:19]
	s_and_saveexec_b64 s[18:19], s[10:11]
	s_cbranch_execz .LBB207_61
.LBB207_53:                             ;   in Loop: Header=BB207_48 Depth=1
	ds_read_b32 v11, v6 offset:12304
	s_waitcnt lgkmcnt(0)
	v_add_u32_e32 v10, v11, v10
	s_or_b64 exec, exec, s[18:19]
	s_and_saveexec_b64 s[18:19], s[12:13]
	s_cbranch_execnz .LBB207_62
.LBB207_54:                             ;   in Loop: Header=BB207_48 Depth=1
	s_or_b64 exec, exec, s[18:19]
	s_and_saveexec_b64 s[18:19], s[14:15]
	s_cbranch_execz .LBB207_63
.LBB207_55:                             ;   in Loop: Header=BB207_48 Depth=1
	ds_read_b32 v11, v6 offset:12312
	s_waitcnt lgkmcnt(0)
	v_add_u32_e32 v10, v11, v10
	s_or_b64 exec, exec, s[18:19]
	s_and_saveexec_b64 s[18:19], vcc
	s_cbranch_execnz .LBB207_64
.LBB207_56:                             ;   in Loop: Header=BB207_48 Depth=1
	s_or_b64 exec, exec, s[18:19]
	s_and_saveexec_b64 s[18:19], s[0:1]
	s_cbranch_execz .LBB207_47
	s_branch .LBB207_65
.LBB207_57:                             ;   in Loop: Header=BB207_48 Depth=1
	s_or_b64 exec, exec, s[18:19]
	s_and_saveexec_b64 s[18:19], s[4:5]
	s_cbranch_execz .LBB207_50
.LBB207_58:                             ;   in Loop: Header=BB207_48 Depth=1
	ds_read_b32 v11, v6 offset:12292
	s_waitcnt lgkmcnt(0)
	v_add_u32_e32 v10, v11, v10
	s_or_b64 exec, exec, s[18:19]
	s_and_saveexec_b64 s[18:19], s[6:7]
	s_cbranch_execnz .LBB207_51
.LBB207_59:                             ;   in Loop: Header=BB207_48 Depth=1
	s_or_b64 exec, exec, s[18:19]
	s_and_saveexec_b64 s[18:19], s[8:9]
	s_cbranch_execz .LBB207_52
.LBB207_60:                             ;   in Loop: Header=BB207_48 Depth=1
	ds_read_b32 v11, v6 offset:12300
	s_waitcnt lgkmcnt(0)
	v_add_u32_e32 v10, v11, v10
	s_or_b64 exec, exec, s[18:19]
	s_and_saveexec_b64 s[18:19], s[10:11]
	s_cbranch_execnz .LBB207_53
.LBB207_61:                             ;   in Loop: Header=BB207_48 Depth=1
	s_or_b64 exec, exec, s[18:19]
	s_and_saveexec_b64 s[18:19], s[12:13]
	s_cbranch_execz .LBB207_54
.LBB207_62:                             ;   in Loop: Header=BB207_48 Depth=1
	ds_read_b32 v11, v6 offset:12308
	s_waitcnt lgkmcnt(0)
	v_add_u32_e32 v10, v11, v10
	s_or_b64 exec, exec, s[18:19]
	s_and_saveexec_b64 s[18:19], s[14:15]
	s_cbranch_execnz .LBB207_55
.LBB207_63:                             ;   in Loop: Header=BB207_48 Depth=1
	s_or_b64 exec, exec, s[18:19]
	s_and_saveexec_b64 s[18:19], vcc
	s_cbranch_execz .LBB207_56
.LBB207_64:                             ;   in Loop: Header=BB207_48 Depth=1
	v_add3_u32 v11, v8, -1, v10
	v_add_u32_e32 v14, v8, v10
	v_lshl_add_u32 v11, v11, 2, 0
	v_lshl_add_u32 v14, v14, 3, 0
	v_add_u32_e32 v14, 0xff8, v14
	ds_write_b32 v11, v9
	ds_write2_b32 v14, v4, v5 offset1:1
	s_or_b64 exec, exec, s[18:19]
	s_and_saveexec_b64 s[18:19], s[0:1]
	s_cbranch_execz .LBB207_47
.LBB207_65:                             ;   in Loop: Header=BB207_48 Depth=1
	ds_write_b32 v6, v10 offset:12316
	s_branch .LBB207_47
.LBB207_66:
	s_or_b64 exec, exec, s[16:17]
	s_ashr_i32 s37, s36, 31
	s_lshl_b64 s[0:1], s[36:37], 3
	s_add_u32 s4, s40, s0
	s_addc_u32 s5, s41, s1
	s_load_dwordx4 s[0:3], s[4:5], 0x0
	s_waitcnt lgkmcnt(0)
	s_sub_i32 s8, s2, s0
	v_cmp_gt_i32_e32 vcc, s8, v0
	s_and_saveexec_b64 s[4:5], vcc
	s_cbranch_execz .LBB207_76
; %bb.67:
	s_sub_u32 s4, s0, s26
	s_subb_u32 s5, s1, 0
	s_and_b32 s10, s8, 7
	s_sub_i32 s0, s0, s2
	s_cmp_lt_u32 s0, -7
	s_cselect_b64 s[0:1], -1, 0
	s_and_b32 s11, s8, -8
	s_cmp_lg_u32 s10, 0
	v_cndmask_b32_e64 v1, 0, 1, s[0:1]
	s_cselect_b64 s[2:3], -1, 0
	v_cmp_ne_u32_e64 s[0:1], 1, v1
	v_cndmask_b32_e64 v1, 0, 1, s[2:3]
	s_mov_b32 s9, 0
	s_mov_b64 s[6:7], 0
	s_movk_i32 s12, 0x1000
	v_cmp_ne_u32_e64 s[2:3], 1, v1
	s_branch .LBB207_69
.LBB207_68:                             ;   in Loop: Header=BB207_69 Depth=1
	v_add_u32_e32 v0, 0x200, v0
	v_cmp_le_i32_e32 vcc, s8, v0
	v_lshl_add_u64 v[4:5], v[4:5], 3, s[34:35]
	s_or_b64 s[6:7], vcc, s[6:7]
	s_waitcnt lgkmcnt(0)
	global_store_dwordx2 v[4:5], v[2:3], off
	s_andn2_b64 exec, exec, s[6:7]
	s_cbranch_execz .LBB207_76
.LBB207_69:                             ; =>This Loop Header: Depth=1
                                        ;     Child Loop BB207_71 Depth 2
                                        ;     Child Loop BB207_75 Depth 2
	v_lshlrev_b32_e32 v1, 2, v0
	v_add_u32_e32 v2, 0, v1
	v_add3_u32 v3, v2, v1, s12
	ds_read_b32 v1, v2
	ds_read2_b32 v[2:3], v3 offset1:1
	s_and_b64 vcc, exec, s[0:1]
	v_mov_b64_e32 v[4:5], s[4:5]
	s_mov_b32 s13, 0
	s_cbranch_vccnz .LBB207_73
; %bb.70:                               ;   in Loop: Header=BB207_69 Depth=1
	s_mov_b32 s14, 0
	v_mov_b64_e32 v[4:5], s[4:5]
.LBB207_71:                             ;   Parent Loop BB207_69 Depth=1
                                        ; =>  This Inner Loop Header: Depth=2
	v_mov_b32_e32 v6, s14
	ds_read2_b32 v[22:23], v6 offset1:1
	ds_read2_b32 v[24:25], v6 offset0:2 offset1:3
	ds_read2_b32 v[26:27], v6 offset0:4 offset1:5
	;; [unrolled: 1-line block ×3, first 2 shown]
	v_mov_b32_e32 v7, s9
	s_waitcnt lgkmcnt(3)
	v_cmp_gt_i32_e32 vcc, v1, v22
	v_mov_b32_e32 v9, s9
	v_mov_b32_e32 v11, s9
	v_cndmask_b32_e64 v6, 0, 1, vcc
	v_cmp_gt_i32_e32 vcc, v1, v23
	v_lshl_add_u64 v[4:5], v[4:5], 0, v[6:7]
	v_mov_b32_e32 v13, s9
	v_cndmask_b32_e64 v8, 0, 1, vcc
	s_waitcnt lgkmcnt(2)
	v_cmp_gt_i32_e32 vcc, v1, v24
	v_lshl_add_u64 v[4:5], v[4:5], 0, v[8:9]
	v_mov_b32_e32 v15, s9
	v_cndmask_b32_e64 v10, 0, 1, vcc
	v_cmp_gt_i32_e32 vcc, v1, v25
	v_lshl_add_u64 v[4:5], v[4:5], 0, v[10:11]
	v_mov_b32_e32 v17, s9
	v_cndmask_b32_e64 v12, 0, 1, vcc
	s_waitcnt lgkmcnt(1)
	v_cmp_gt_i32_e32 vcc, v1, v26
	v_lshl_add_u64 v[4:5], v[4:5], 0, v[12:13]
	;; [unrolled: 9-line block ×3, first 2 shown]
	s_add_i32 s13, s13, 8
	v_cndmask_b32_e64 v18, 0, 1, vcc
	v_cmp_gt_i32_e32 vcc, v1, v29
	s_add_i32 s14, s14, 32
	v_lshl_add_u64 v[4:5], v[4:5], 0, v[18:19]
	v_cndmask_b32_e64 v20, 0, 1, vcc
	s_cmp_eq_u32 s11, s13
	v_lshl_add_u64 v[4:5], v[4:5], 0, v[20:21]
	s_cbranch_scc0 .LBB207_71
; %bb.72:                               ;   in Loop: Header=BB207_69 Depth=1
	s_mov_b32 s13, s11
.LBB207_73:                             ;   in Loop: Header=BB207_69 Depth=1
	s_and_b64 vcc, exec, s[2:3]
	s_cbranch_vccnz .LBB207_68
; %bb.74:                               ;   in Loop: Header=BB207_69 Depth=1
	s_lshl_b32 s13, s13, 2
	s_add_i32 s13, s13, 0
	s_mov_b32 s14, s10
.LBB207_75:                             ;   Parent Loop BB207_69 Depth=1
                                        ; =>  This Inner Loop Header: Depth=2
	v_mov_b32_e32 v6, s13
	ds_read_b32 v6, v6
	v_mov_b32_e32 v7, s9
	s_add_i32 s13, s13, 4
	s_add_i32 s14, s14, -1
	s_cmp_lg_u32 s14, 0
	s_waitcnt lgkmcnt(0)
	v_cmp_gt_i32_e32 vcc, v1, v6
	s_nop 1
	v_cndmask_b32_e64 v6, 0, 1, vcc
	v_lshl_add_u64 v[4:5], v[4:5], 0, v[6:7]
	s_cbranch_scc1 .LBB207_75
	s_branch .LBB207_68
.LBB207_76:
	s_endpgm
	.section	.rodata,"a",@progbits
	.p2align	6, 0x0
	.amdhsa_kernel _ZN9rocsparseL41csrgemm_numeric_fill_block_per_row_kernelILj512ELj32ELj1024ELj137ELj64Eli21rocsparse_complex_numIfEEEvT5_PKS3_S5_NS_24const_host_device_scalarIT6_EEPKT4_S5_PKS7_SB_S5_SD_S8_SB_S5_SD_SB_S5_PS7_21rocsparse_index_base_SF_SF_SF_bbb
		.amdhsa_group_segment_fixed_size 0
		.amdhsa_private_segment_fixed_size 0
		.amdhsa_kernarg_size 156
		.amdhsa_user_sgpr_count 2
		.amdhsa_user_sgpr_dispatch_ptr 0
		.amdhsa_user_sgpr_queue_ptr 0
		.amdhsa_user_sgpr_kernarg_segment_ptr 1
		.amdhsa_user_sgpr_dispatch_id 0
		.amdhsa_user_sgpr_kernarg_preload_length 0
		.amdhsa_user_sgpr_kernarg_preload_offset 0
		.amdhsa_user_sgpr_private_segment_size 0
		.amdhsa_uses_dynamic_stack 0
		.amdhsa_enable_private_segment 0
		.amdhsa_system_sgpr_workgroup_id_x 1
		.amdhsa_system_sgpr_workgroup_id_y 0
		.amdhsa_system_sgpr_workgroup_id_z 0
		.amdhsa_system_sgpr_workgroup_info 0
		.amdhsa_system_vgpr_workitem_id 0
		.amdhsa_next_free_vgpr 30
		.amdhsa_next_free_sgpr 55
		.amdhsa_accum_offset 32
		.amdhsa_reserve_vcc 1
		.amdhsa_float_round_mode_32 0
		.amdhsa_float_round_mode_16_64 0
		.amdhsa_float_denorm_mode_32 3
		.amdhsa_float_denorm_mode_16_64 3
		.amdhsa_dx10_clamp 1
		.amdhsa_ieee_mode 1
		.amdhsa_fp16_overflow 0
		.amdhsa_tg_split 0
		.amdhsa_exception_fp_ieee_invalid_op 0
		.amdhsa_exception_fp_denorm_src 0
		.amdhsa_exception_fp_ieee_div_zero 0
		.amdhsa_exception_fp_ieee_overflow 0
		.amdhsa_exception_fp_ieee_underflow 0
		.amdhsa_exception_fp_ieee_inexact 0
		.amdhsa_exception_int_div_zero 0
	.end_amdhsa_kernel
	.section	.text._ZN9rocsparseL41csrgemm_numeric_fill_block_per_row_kernelILj512ELj32ELj1024ELj137ELj64Eli21rocsparse_complex_numIfEEEvT5_PKS3_S5_NS_24const_host_device_scalarIT6_EEPKT4_S5_PKS7_SB_S5_SD_S8_SB_S5_SD_SB_S5_PS7_21rocsparse_index_base_SF_SF_SF_bbb,"axG",@progbits,_ZN9rocsparseL41csrgemm_numeric_fill_block_per_row_kernelILj512ELj32ELj1024ELj137ELj64Eli21rocsparse_complex_numIfEEEvT5_PKS3_S5_NS_24const_host_device_scalarIT6_EEPKT4_S5_PKS7_SB_S5_SD_S8_SB_S5_SD_SB_S5_PS7_21rocsparse_index_base_SF_SF_SF_bbb,comdat
.Lfunc_end207:
	.size	_ZN9rocsparseL41csrgemm_numeric_fill_block_per_row_kernelILj512ELj32ELj1024ELj137ELj64Eli21rocsparse_complex_numIfEEEvT5_PKS3_S5_NS_24const_host_device_scalarIT6_EEPKT4_S5_PKS7_SB_S5_SD_S8_SB_S5_SD_SB_S5_PS7_21rocsparse_index_base_SF_SF_SF_bbb, .Lfunc_end207-_ZN9rocsparseL41csrgemm_numeric_fill_block_per_row_kernelILj512ELj32ELj1024ELj137ELj64Eli21rocsparse_complex_numIfEEEvT5_PKS3_S5_NS_24const_host_device_scalarIT6_EEPKT4_S5_PKS7_SB_S5_SD_S8_SB_S5_SD_SB_S5_PS7_21rocsparse_index_base_SF_SF_SF_bbb
                                        ; -- End function
	.set _ZN9rocsparseL41csrgemm_numeric_fill_block_per_row_kernelILj512ELj32ELj1024ELj137ELj64Eli21rocsparse_complex_numIfEEEvT5_PKS3_S5_NS_24const_host_device_scalarIT6_EEPKT4_S5_PKS7_SB_S5_SD_S8_SB_S5_SD_SB_S5_PS7_21rocsparse_index_base_SF_SF_SF_bbb.num_vgpr, 30
	.set _ZN9rocsparseL41csrgemm_numeric_fill_block_per_row_kernelILj512ELj32ELj1024ELj137ELj64Eli21rocsparse_complex_numIfEEEvT5_PKS3_S5_NS_24const_host_device_scalarIT6_EEPKT4_S5_PKS7_SB_S5_SD_S8_SB_S5_SD_SB_S5_PS7_21rocsparse_index_base_SF_SF_SF_bbb.num_agpr, 0
	.set _ZN9rocsparseL41csrgemm_numeric_fill_block_per_row_kernelILj512ELj32ELj1024ELj137ELj64Eli21rocsparse_complex_numIfEEEvT5_PKS3_S5_NS_24const_host_device_scalarIT6_EEPKT4_S5_PKS7_SB_S5_SD_S8_SB_S5_SD_SB_S5_PS7_21rocsparse_index_base_SF_SF_SF_bbb.numbered_sgpr, 55
	.set _ZN9rocsparseL41csrgemm_numeric_fill_block_per_row_kernelILj512ELj32ELj1024ELj137ELj64Eli21rocsparse_complex_numIfEEEvT5_PKS3_S5_NS_24const_host_device_scalarIT6_EEPKT4_S5_PKS7_SB_S5_SD_S8_SB_S5_SD_SB_S5_PS7_21rocsparse_index_base_SF_SF_SF_bbb.num_named_barrier, 0
	.set _ZN9rocsparseL41csrgemm_numeric_fill_block_per_row_kernelILj512ELj32ELj1024ELj137ELj64Eli21rocsparse_complex_numIfEEEvT5_PKS3_S5_NS_24const_host_device_scalarIT6_EEPKT4_S5_PKS7_SB_S5_SD_S8_SB_S5_SD_SB_S5_PS7_21rocsparse_index_base_SF_SF_SF_bbb.private_seg_size, 0
	.set _ZN9rocsparseL41csrgemm_numeric_fill_block_per_row_kernelILj512ELj32ELj1024ELj137ELj64Eli21rocsparse_complex_numIfEEEvT5_PKS3_S5_NS_24const_host_device_scalarIT6_EEPKT4_S5_PKS7_SB_S5_SD_S8_SB_S5_SD_SB_S5_PS7_21rocsparse_index_base_SF_SF_SF_bbb.uses_vcc, 1
	.set _ZN9rocsparseL41csrgemm_numeric_fill_block_per_row_kernelILj512ELj32ELj1024ELj137ELj64Eli21rocsparse_complex_numIfEEEvT5_PKS3_S5_NS_24const_host_device_scalarIT6_EEPKT4_S5_PKS7_SB_S5_SD_S8_SB_S5_SD_SB_S5_PS7_21rocsparse_index_base_SF_SF_SF_bbb.uses_flat_scratch, 0
	.set _ZN9rocsparseL41csrgemm_numeric_fill_block_per_row_kernelILj512ELj32ELj1024ELj137ELj64Eli21rocsparse_complex_numIfEEEvT5_PKS3_S5_NS_24const_host_device_scalarIT6_EEPKT4_S5_PKS7_SB_S5_SD_S8_SB_S5_SD_SB_S5_PS7_21rocsparse_index_base_SF_SF_SF_bbb.has_dyn_sized_stack, 0
	.set _ZN9rocsparseL41csrgemm_numeric_fill_block_per_row_kernelILj512ELj32ELj1024ELj137ELj64Eli21rocsparse_complex_numIfEEEvT5_PKS3_S5_NS_24const_host_device_scalarIT6_EEPKT4_S5_PKS7_SB_S5_SD_S8_SB_S5_SD_SB_S5_PS7_21rocsparse_index_base_SF_SF_SF_bbb.has_recursion, 0
	.set _ZN9rocsparseL41csrgemm_numeric_fill_block_per_row_kernelILj512ELj32ELj1024ELj137ELj64Eli21rocsparse_complex_numIfEEEvT5_PKS3_S5_NS_24const_host_device_scalarIT6_EEPKT4_S5_PKS7_SB_S5_SD_S8_SB_S5_SD_SB_S5_PS7_21rocsparse_index_base_SF_SF_SF_bbb.has_indirect_call, 0
	.section	.AMDGPU.csdata,"",@progbits
; Kernel info:
; codeLenInByte = 2748
; TotalNumSgprs: 61
; NumVgprs: 30
; NumAgprs: 0
; TotalNumVgprs: 30
; ScratchSize: 0
; MemoryBound: 0
; FloatMode: 240
; IeeeMode: 1
; LDSByteSize: 0 bytes/workgroup (compile time only)
; SGPRBlocks: 7
; VGPRBlocks: 3
; NumSGPRsForWavesPerEU: 61
; NumVGPRsForWavesPerEU: 30
; AccumOffset: 32
; Occupancy: 8
; WaveLimiterHint : 1
; COMPUTE_PGM_RSRC2:SCRATCH_EN: 0
; COMPUTE_PGM_RSRC2:USER_SGPR: 2
; COMPUTE_PGM_RSRC2:TRAP_HANDLER: 0
; COMPUTE_PGM_RSRC2:TGID_X_EN: 1
; COMPUTE_PGM_RSRC2:TGID_Y_EN: 0
; COMPUTE_PGM_RSRC2:TGID_Z_EN: 0
; COMPUTE_PGM_RSRC2:TIDIG_COMP_CNT: 0
; COMPUTE_PGM_RSRC3_GFX90A:ACCUM_OFFSET: 7
; COMPUTE_PGM_RSRC3_GFX90A:TG_SPLIT: 0
	.section	.text._ZN9rocsparseL41csrgemm_numeric_fill_block_per_row_kernelILj1024ELj32ELj2048ELj137ELj32Eli21rocsparse_complex_numIfEEEvT5_PKS3_S5_NS_24const_host_device_scalarIT6_EEPKT4_S5_PKS7_SB_S5_SD_S8_SB_S5_SD_SB_S5_PS7_21rocsparse_index_base_SF_SF_SF_bbb,"axG",@progbits,_ZN9rocsparseL41csrgemm_numeric_fill_block_per_row_kernelILj1024ELj32ELj2048ELj137ELj32Eli21rocsparse_complex_numIfEEEvT5_PKS3_S5_NS_24const_host_device_scalarIT6_EEPKT4_S5_PKS7_SB_S5_SD_S8_SB_S5_SD_SB_S5_PS7_21rocsparse_index_base_SF_SF_SF_bbb,comdat
	.globl	_ZN9rocsparseL41csrgemm_numeric_fill_block_per_row_kernelILj1024ELj32ELj2048ELj137ELj32Eli21rocsparse_complex_numIfEEEvT5_PKS3_S5_NS_24const_host_device_scalarIT6_EEPKT4_S5_PKS7_SB_S5_SD_S8_SB_S5_SD_SB_S5_PS7_21rocsparse_index_base_SF_SF_SF_bbb ; -- Begin function _ZN9rocsparseL41csrgemm_numeric_fill_block_per_row_kernelILj1024ELj32ELj2048ELj137ELj32Eli21rocsparse_complex_numIfEEEvT5_PKS3_S5_NS_24const_host_device_scalarIT6_EEPKT4_S5_PKS7_SB_S5_SD_S8_SB_S5_SD_SB_S5_PS7_21rocsparse_index_base_SF_SF_SF_bbb
	.p2align	8
	.type	_ZN9rocsparseL41csrgemm_numeric_fill_block_per_row_kernelILj1024ELj32ELj2048ELj137ELj32Eli21rocsparse_complex_numIfEEEvT5_PKS3_S5_NS_24const_host_device_scalarIT6_EEPKT4_S5_PKS7_SB_S5_SD_S8_SB_S5_SD_SB_S5_PS7_21rocsparse_index_base_SF_SF_SF_bbb,@function
_ZN9rocsparseL41csrgemm_numeric_fill_block_per_row_kernelILj1024ELj32ELj2048ELj137ELj32Eli21rocsparse_complex_numIfEEEvT5_PKS3_S5_NS_24const_host_device_scalarIT6_EEPKT4_S5_PKS7_SB_S5_SD_S8_SB_S5_SD_SB_S5_PS7_21rocsparse_index_base_SF_SF_SF_bbb: ; @_ZN9rocsparseL41csrgemm_numeric_fill_block_per_row_kernelILj1024ELj32ELj2048ELj137ELj32Eli21rocsparse_complex_numIfEEEvT5_PKS3_S5_NS_24const_host_device_scalarIT6_EEPKT4_S5_PKS7_SB_S5_SD_S8_SB_S5_SD_SB_S5_PS7_21rocsparse_index_base_SF_SF_SF_bbb
; %bb.0:
	s_load_dwordx2 s[70:71], s[0:1], 0x70
	s_load_dwordx4 s[24:27], s[0:1], 0x60
	s_load_dwordx8 s[8:15], s[0:1], 0x40
	s_load_dword s3, s[0:1], 0x98
	s_load_dwordx4 s[28:31], s[0:1], 0x8
	s_load_dwordx8 s[16:23], s[0:1], 0x20
	s_load_dwordx2 s[68:69], s[0:1], 0x80
	s_load_dwordx4 s[64:67], s[0:1], 0x88
	s_waitcnt lgkmcnt(0)
	s_bitcmp1_b32 s3, 0
	s_cselect_b64 s[36:37], -1, 0
	s_bitcmp1_b32 s3, 16
	s_cselect_b64 s[4:5], -1, 0
	s_xor_b64 s[4:5], s[4:5], -1
	v_cndmask_b32_e64 v1, 0, 1, s[4:5]
	s_mov_b32 s7, 0
	s_bitcmp0_b32 s3, 0
	v_cmp_ne_u32_e64 s[4:5], 1, v1
	s_mov_b32 s44, 0
	s_cbranch_scc1 .LBB208_5
; %bb.1:
	s_load_dwordx2 s[6:7], s[0:1], 0x18
	s_and_b64 vcc, exec, s[4:5]
	s_waitcnt lgkmcnt(0)
	s_mov_b32 s44, s6
	s_cbranch_vccnz .LBB208_3
; %bb.2:
	s_load_dword s44, s[6:7], 0x0
.LBB208_3:
	s_and_b64 vcc, exec, s[4:5]
	s_cbranch_vccnz .LBB208_5
; %bb.4:
	s_load_dword s7, s[6:7], 0x4
.LBB208_5:
	s_bitcmp1_b32 s3, 8
	s_cselect_b64 s[34:35], -1, 0
	s_bfe_u32 s3, s3, 0x10008
	s_mov_b32 s42, 0
	s_cmp_eq_u32 s3, 0
	s_mov_b32 s43, 0
	s_cbranch_scc1 .LBB208_11
; %bb.6:
	s_and_b64 vcc, exec, s[4:5]
	s_mov_b32 s42, s12
	s_cbranch_vccnz .LBB208_8
; %bb.7:
	s_load_dword s42, s[12:13], 0x0
.LBB208_8:
	s_and_b64 vcc, exec, s[4:5]
	s_cbranch_vccnz .LBB208_10
; %bb.9:
	s_load_dword s13, s[12:13], 0x4
.LBB208_10:
	s_waitcnt lgkmcnt(0)
	s_mov_b32 s43, s13
.LBB208_11:
	s_load_dword s33, s[0:1], 0x0
	v_lshl_add_u32 v1, v0, 3, 0
	v_add_u32_e32 v1, 0x2000, v1
	v_or_b32_e32 v12, 0xfffffc00, v0
	v_lshl_add_u32 v13, v0, 2, 0
	s_mov_b64 s[0:1], 0
	s_waitcnt lgkmcnt(0)
	v_mov_b32_e32 v6, s33
	v_mov_b32_e32 v2, 0
	;; [unrolled: 1-line block ×5, first 2 shown]
.LBB208_12:                             ; =>This Inner Loop Header: Depth=1
	v_add_co_u32_e32 v4, vcc, 0x400, v4
	s_xor_b64 s[4:5], vcc, -1
	s_and_b64 s[4:5], exec, s[4:5]
	ds_write_b32 v3, v6
	ds_write2_b32 v5, v2, v2 offset1:1
	v_add_u32_e32 v5, 0x2000, v5
	s_or_b64 s[0:1], s[4:5], s[0:1]
	v_add_u32_e32 v3, 0x1000, v3
	s_andn2_b64 exec, exec, s[0:1]
	s_cbranch_execnz .LBB208_12
; %bb.13:
	s_or_b64 exec, exec, s[0:1]
	s_waitcnt lgkmcnt(0)
	s_barrier
	s_load_dword s0, s[28:29], 0x0
	s_mov_b32 s1, 0
	v_lshrrev_b32_e32 v14, 5, v0
	s_waitcnt lgkmcnt(0)
	s_add_i32 s0, s0, s2
	s_lshl_b64 s[0:1], s[0:1], 2
	s_add_u32 s0, s30, s0
	s_addc_u32 s1, s31, s1
	s_load_dword s72, s[0:1], 0x0
	s_and_b64 vcc, exec, s[36:37]
	s_cbranch_vccz .LBB208_31
; %bb.14:
	s_waitcnt lgkmcnt(0)
	s_ashr_i32 s73, s72, 31
	s_lshl_b64 s[0:1], s[72:73], 3
	s_add_u32 s0, s16, s0
	s_addc_u32 s1, s17, s1
	s_load_dwordx4 s[28:31], s[0:1], 0x0
	v_subrev_co_u32_e32 v2, vcc, s64, v14
	s_nop 1
	v_subb_co_u32_e64 v3, s[0:1], 0, 0, vcc
	s_waitcnt lgkmcnt(0)
	s_sub_u32 s0, s30, s64
	s_subb_u32 s1, s31, 0
	v_lshl_add_u64 v[2:3], s[28:29], 0, v[2:3]
	v_cmp_gt_i64_e32 vcc, s[0:1], v[2:3]
	s_and_saveexec_b64 s[2:3], vcc
	s_cbranch_execz .LBB208_30
; %bb.15:
	v_and_b32_e32 v4, 31, v0
	v_subrev_co_u32_e32 v4, vcc, s65, v4
	s_mov_b32 s6, s65
	s_nop 0
	v_subb_co_u32_e64 v5, s[4:5], 0, 0, vcc
	s_mov_b64 s[4:5], 0
	s_movk_i32 s45, 0x89
	s_branch .LBB208_17
.LBB208_16:                             ;   in Loop: Header=BB208_17 Depth=1
	s_or_b64 exec, exec, s[12:13]
	v_lshl_add_u64 v[2:3], v[2:3], 0, 32
	v_cmp_le_i64_e32 vcc, s[0:1], v[2:3]
	s_or_b64 s[4:5], vcc, s[4:5]
	s_andn2_b64 exec, exec, s[4:5]
	s_cbranch_execz .LBB208_30
.LBB208_17:                             ; =>This Loop Header: Depth=1
                                        ;     Child Loop BB208_21 Depth 2
                                        ;       Child Loop BB208_24 Depth 3
	v_lshl_add_u64 v[6:7], v[2:3], 2, s[18:19]
	global_load_dword v6, v[6:7], off
	s_waitcnt vmcnt(0)
	v_subrev_u32_e32 v6, s64, v6
	v_ashrrev_i32_e32 v7, 31, v6
	v_lshl_add_u64 v[6:7], v[6:7], 3, s[22:23]
	global_load_dwordx4 v[8:11], v[6:7], off
	s_waitcnt vmcnt(0)
	v_subrev_co_u32_e32 v6, vcc, s6, v10
	s_nop 1
	v_subbrev_co_u32_e32 v7, vcc, 0, v11, vcc
	v_lshl_add_u64 v[8:9], v[8:9], 0, v[4:5]
	v_cmp_lt_i64_e32 vcc, v[8:9], v[6:7]
	s_and_saveexec_b64 s[12:13], vcc
	s_cbranch_execz .LBB208_16
; %bb.18:                               ;   in Loop: Header=BB208_17 Depth=1
	v_lshl_add_u64 v[10:11], v[2:3], 3, s[20:21]
	global_load_dwordx2 v[10:11], v[10:11], off
	s_mov_b64 s[16:17], 0
	s_waitcnt vmcnt(0)
	v_mul_f32_e64 v15, v11, -s7
	v_mul_f32_e32 v16, s44, v11
	v_fmac_f32_e32 v15, s44, v10
	v_fmac_f32_e32 v16, s7, v10
	s_branch .LBB208_21
.LBB208_19:                             ;   in Loop: Header=BB208_21 Depth=2
	s_or_b64 exec, exec, s[30:31]
.LBB208_20:                             ;   in Loop: Header=BB208_21 Depth=2
	s_or_b64 exec, exec, s[28:29]
	s_waitcnt vmcnt(0)
	v_mul_f32_e64 v18, v11, -v16
	v_mul_f32_e32 v11, v15, v11
	v_fmac_f32_e32 v18, v15, v10
	v_fmac_f32_e32 v11, v16, v10
	v_lshl_add_u32 v10, v17, 3, 0
	ds_add_f32 v10, v18 offset:8192
	ds_add_f32 v10, v11 offset:8196
	v_lshl_add_u64 v[8:9], v[8:9], 0, 32
	v_cmp_ge_i64_e32 vcc, v[8:9], v[6:7]
	s_or_b64 s[16:17], vcc, s[16:17]
	s_andn2_b64 exec, exec, s[16:17]
	s_cbranch_execz .LBB208_16
.LBB208_21:                             ;   Parent Loop BB208_17 Depth=1
                                        ; =>  This Loop Header: Depth=2
                                        ;       Child Loop BB208_24 Depth 3
	v_lshl_add_u64 v[10:11], v[8:9], 2, s[8:9]
	global_load_dword v17, v[10:11], off
	v_lshl_add_u64 v[10:11], v[8:9], 3, s[10:11]
	global_load_dwordx2 v[10:11], v[10:11], off
	s_waitcnt vmcnt(1)
	v_subrev_u32_e32 v18, s65, v17
	v_mul_lo_u32 v17, v18, s45
	v_and_b32_e32 v17, 0x7ff, v17
	v_lshl_add_u32 v19, v17, 2, 0
	ds_read_b32 v20, v19
	s_waitcnt lgkmcnt(0)
	v_cmp_ne_u32_e32 vcc, v20, v18
	s_and_saveexec_b64 s[28:29], vcc
	s_cbranch_execz .LBB208_20
; %bb.22:                               ;   in Loop: Header=BB208_21 Depth=2
	s_mov_b64 s[30:31], 0
	s_branch .LBB208_24
.LBB208_23:                             ;   in Loop: Header=BB208_24 Depth=3
	s_or_b64 exec, exec, s[40:41]
	s_and_b64 s[36:37], exec, s[38:39]
	s_or_b64 s[30:31], s[36:37], s[30:31]
	s_andn2_b64 exec, exec, s[30:31]
	s_cbranch_execz .LBB208_19
.LBB208_24:                             ;   Parent Loop BB208_17 Depth=1
                                        ;     Parent Loop BB208_21 Depth=2
                                        ; =>    This Inner Loop Header: Depth=3
	v_cmp_ne_u32_e32 vcc, s33, v20
	s_mov_b64 s[36:37], 0
	s_and_saveexec_b64 s[38:39], vcc
	s_xor_b64 s[38:39], exec, s[38:39]
	s_cbranch_execz .LBB208_26
; %bb.25:                               ;   in Loop: Header=BB208_24 Depth=3
	v_add_u32_e32 v17, 1, v17
	s_mov_b64 s[36:37], exec
	v_and_b32_e32 v17, 0x7ff, v17
                                        ; implicit-def: $vgpr19
	s_andn2_saveexec_b64 s[38:39], s[38:39]
	s_cbranch_execz .LBB208_28
	s_branch .LBB208_27
.LBB208_26:                             ;   in Loop: Header=BB208_24 Depth=3
	s_andn2_saveexec_b64 s[38:39], s[38:39]
	s_cbranch_execz .LBB208_28
.LBB208_27:                             ;   in Loop: Header=BB208_24 Depth=3
	v_mov_b32_e32 v20, s33
	ds_cmpst_rtn_b32 v19, v19, v20, v18
	s_andn2_b64 s[36:37], s[36:37], exec
	s_waitcnt lgkmcnt(0)
	v_cmp_ne_u32_e32 vcc, s33, v19
	s_and_b64 s[40:41], vcc, exec
	s_or_b64 s[36:37], s[36:37], s[40:41]
.LBB208_28:                             ;   in Loop: Header=BB208_24 Depth=3
	s_or_b64 exec, exec, s[38:39]
	s_mov_b64 s[38:39], -1
                                        ; implicit-def: $vgpr19
                                        ; implicit-def: $vgpr20
	s_and_saveexec_b64 s[40:41], s[36:37]
	s_cbranch_execz .LBB208_23
; %bb.29:                               ;   in Loop: Header=BB208_24 Depth=3
	v_lshl_add_u32 v19, v17, 2, 0
	ds_read_b32 v20, v19
	s_waitcnt lgkmcnt(0)
	v_cmp_eq_u32_e32 vcc, v20, v18
	s_orn2_b64 s[38:39], vcc, exec
	s_branch .LBB208_23
.LBB208_30:
	s_or_b64 exec, exec, s[2:3]
.LBB208_31:
	s_andn2_b64 vcc, exec, s[34:35]
	s_cbranch_vccnz .LBB208_46
; %bb.32:
	s_waitcnt lgkmcnt(0)
	s_ashr_i32 s73, s72, 31
	s_lshl_b64 s[0:1], s[72:73], 3
	s_add_u32 s0, s14, s0
	s_addc_u32 s1, s15, s1
	s_load_dwordx4 s[4:7], s[0:1], 0x0
	v_subrev_co_u32_e32 v2, vcc, s67, v0
	s_nop 1
	v_subb_co_u32_e64 v3, s[0:1], 0, 0, vcc
	s_waitcnt lgkmcnt(0)
	s_sub_u32 s0, s6, s67
	s_subb_u32 s1, s7, 0
	v_lshl_add_u64 v[2:3], s[4:5], 0, v[2:3]
	v_cmp_gt_i64_e32 vcc, s[0:1], v[2:3]
	s_and_saveexec_b64 s[2:3], vcc
	s_cbranch_execz .LBB208_45
; %bb.33:
	s_mov_b64 s[4:5], 0
	s_movk_i32 s18, 0x89
	s_mov_b64 s[6:7], 0x400
	s_branch .LBB208_36
.LBB208_34:                             ;   in Loop: Header=BB208_36 Depth=1
	s_or_b64 exec, exec, s[10:11]
.LBB208_35:                             ;   in Loop: Header=BB208_36 Depth=1
	s_or_b64 exec, exec, s[8:9]
	s_waitcnt vmcnt(0)
	v_mul_f32_e64 v7, v5, -s43
	v_mul_f32_e32 v5, s42, v5
	v_fmac_f32_e32 v7, s42, v4
	v_fmac_f32_e32 v5, s43, v4
	v_lshl_add_u32 v4, v6, 3, 0
	ds_add_f32 v4, v7 offset:8192
	ds_add_f32 v4, v5 offset:8196
	v_lshl_add_u64 v[2:3], v[2:3], 0, s[6:7]
	v_cmp_le_i64_e32 vcc, s[0:1], v[2:3]
	s_or_b64 s[4:5], vcc, s[4:5]
	s_andn2_b64 exec, exec, s[4:5]
	s_cbranch_execz .LBB208_45
.LBB208_36:                             ; =>This Loop Header: Depth=1
                                        ;     Child Loop BB208_39 Depth 2
	v_lshl_add_u64 v[4:5], v[2:3], 2, s[24:25]
	global_load_dword v6, v[4:5], off
	v_lshl_add_u64 v[4:5], v[2:3], 3, s[26:27]
	global_load_dwordx2 v[4:5], v[4:5], off
	s_waitcnt vmcnt(1)
	v_subrev_u32_e32 v7, s67, v6
	v_mul_lo_u32 v6, v7, s18
	v_and_b32_e32 v6, 0x7ff, v6
	v_lshl_add_u32 v8, v6, 2, 0
	ds_read_b32 v9, v8
	s_waitcnt lgkmcnt(0)
	v_cmp_ne_u32_e32 vcc, v9, v7
	s_and_saveexec_b64 s[8:9], vcc
	s_cbranch_execz .LBB208_35
; %bb.37:                               ;   in Loop: Header=BB208_36 Depth=1
	s_mov_b64 s[10:11], 0
	s_branch .LBB208_39
.LBB208_38:                             ;   in Loop: Header=BB208_39 Depth=2
	s_or_b64 exec, exec, s[16:17]
	s_and_b64 s[12:13], exec, s[14:15]
	s_or_b64 s[10:11], s[12:13], s[10:11]
	s_andn2_b64 exec, exec, s[10:11]
	s_cbranch_execz .LBB208_34
.LBB208_39:                             ;   Parent Loop BB208_36 Depth=1
                                        ; =>  This Inner Loop Header: Depth=2
	v_cmp_ne_u32_e32 vcc, s33, v9
	s_mov_b64 s[12:13], 0
	s_and_saveexec_b64 s[14:15], vcc
	s_xor_b64 s[14:15], exec, s[14:15]
	s_cbranch_execz .LBB208_41
; %bb.40:                               ;   in Loop: Header=BB208_39 Depth=2
	v_add_u32_e32 v6, 1, v6
	s_mov_b64 s[12:13], exec
	v_and_b32_e32 v6, 0x7ff, v6
                                        ; implicit-def: $vgpr8
	s_andn2_saveexec_b64 s[14:15], s[14:15]
	s_cbranch_execz .LBB208_43
	s_branch .LBB208_42
.LBB208_41:                             ;   in Loop: Header=BB208_39 Depth=2
	s_andn2_saveexec_b64 s[14:15], s[14:15]
	s_cbranch_execz .LBB208_43
.LBB208_42:                             ;   in Loop: Header=BB208_39 Depth=2
	v_mov_b32_e32 v9, s33
	ds_cmpst_rtn_b32 v8, v8, v9, v7
	s_andn2_b64 s[12:13], s[12:13], exec
	s_waitcnt lgkmcnt(0)
	v_cmp_ne_u32_e32 vcc, s33, v8
	s_and_b64 s[16:17], vcc, exec
	s_or_b64 s[12:13], s[12:13], s[16:17]
.LBB208_43:                             ;   in Loop: Header=BB208_39 Depth=2
	s_or_b64 exec, exec, s[14:15]
	s_mov_b64 s[14:15], -1
                                        ; implicit-def: $vgpr8
                                        ; implicit-def: $vgpr9
	s_and_saveexec_b64 s[16:17], s[12:13]
	s_cbranch_execz .LBB208_38
; %bb.44:                               ;   in Loop: Header=BB208_39 Depth=2
	v_lshl_add_u32 v8, v6, 2, 0
	ds_read_b32 v9, v8
	s_waitcnt lgkmcnt(0)
	v_cmp_eq_u32_e32 vcc, v9, v7
	s_orn2_b64 s[14:15], vcc, exec
	s_branch .LBB208_38
.LBB208_45:
	s_or_b64 exec, exec, s[2:3]
.LBB208_46:
	v_mbcnt_lo_u32_b32 v2, -1, 0
	v_mbcnt_hi_u32_b32 v2, -1, v2
	v_sub_u32_e32 v2, 63, v2
	s_movk_i32 s0, 0x3ff
	s_movk_i32 s6, 0x5f
	;; [unrolled: 1-line block ×30, first 2 shown]
	v_mov_b32_e32 v6, 0
	v_lshrrev_b64 v[2:3], v2, -1
	v_lshl_add_u32 v7, v14, 2, 0
	v_cmp_eq_u32_e64 s[0:1], s0, v0
	v_cmp_lt_u32_e64 s[2:3], 31, v0
	v_cmp_lt_u32_e64 s[4:5], 63, v0
	;; [unrolled: 1-line block ×31, first 2 shown]
	s_mov_b64 s[74:75], 0
	v_mov_b32_e32 v8, 0
	s_waitcnt lgkmcnt(0)
	s_barrier
	s_branch .LBB208_48
.LBB208_47:                             ;   in Loop: Header=BB208_48 Depth=1
	s_or_b64 exec, exec, s[76:77]
	s_waitcnt lgkmcnt(0)
	s_barrier
	ds_read_b32 v4, v6 offset:24700
	v_add_co_u32_e32 v12, vcc, 0x400, v12
	s_xor_b64 s[76:77], vcc, -1
	s_and_b64 s[76:77], exec, s[76:77]
	v_add_u32_e32 v1, 0x2000, v1
	s_waitcnt lgkmcnt(0)
	v_add_u32_e32 v8, v4, v8
	s_or_b64 s[74:75], s[76:77], s[74:75]
	v_add_u32_e32 v13, 0x1000, v13
	s_andn2_b64 exec, exec, s[74:75]
	s_cbranch_execz .LBB208_114
.LBB208_48:                             ; =>This Inner Loop Header: Depth=1
	ds_read_b32 v9, v13
	ds_read2_b32 v[4:5], v1 offset1:1
	s_waitcnt lgkmcnt(0)
	s_barrier
	v_cmp_gt_i32_e32 vcc, s33, v9
	s_bcnt1_i32_b64 s67, vcc
	s_nop 0
	v_and_b32_e32 v11, vcc_lo, v2
	v_and_b32_e32 v10, vcc_hi, v3
	v_bcnt_u32_b32 v11, v11, 0
	v_bcnt_u32_b32 v10, v10, v11
	v_mov_b32_e32 v11, s67
	ds_write_b32 v7, v11 offset:24576
	s_waitcnt lgkmcnt(0)
	s_barrier
	s_and_saveexec_b64 s[76:77], s[2:3]
	s_cbranch_execz .LBB208_81
; %bb.49:                               ;   in Loop: Header=BB208_48 Depth=1
	ds_read_b32 v11, v6 offset:24576
	s_waitcnt lgkmcnt(0)
	v_add_u32_e32 v10, v11, v10
	s_or_b64 exec, exec, s[76:77]
	s_and_saveexec_b64 s[76:77], s[4:5]
	s_cbranch_execnz .LBB208_82
.LBB208_50:                             ;   in Loop: Header=BB208_48 Depth=1
	s_or_b64 exec, exec, s[76:77]
	s_and_saveexec_b64 s[76:77], s[6:7]
	s_cbranch_execz .LBB208_83
.LBB208_51:                             ;   in Loop: Header=BB208_48 Depth=1
	ds_read_b32 v11, v6 offset:24584
	s_waitcnt lgkmcnt(0)
	v_add_u32_e32 v10, v11, v10
	s_or_b64 exec, exec, s[76:77]
	s_and_saveexec_b64 s[76:77], s[8:9]
	s_cbranch_execnz .LBB208_84
.LBB208_52:                             ;   in Loop: Header=BB208_48 Depth=1
	s_or_b64 exec, exec, s[76:77]
	s_and_saveexec_b64 s[76:77], s[10:11]
	s_cbranch_execz .LBB208_85
.LBB208_53:                             ;   in Loop: Header=BB208_48 Depth=1
	ds_read_b32 v11, v6 offset:24592
	s_waitcnt lgkmcnt(0)
	v_add_u32_e32 v10, v11, v10
	s_or_b64 exec, exec, s[76:77]
	s_and_saveexec_b64 s[76:77], s[12:13]
	s_cbranch_execnz .LBB208_86
.LBB208_54:                             ;   in Loop: Header=BB208_48 Depth=1
	s_or_b64 exec, exec, s[76:77]
	s_and_saveexec_b64 s[76:77], s[14:15]
	s_cbranch_execz .LBB208_87
.LBB208_55:                             ;   in Loop: Header=BB208_48 Depth=1
	ds_read_b32 v11, v6 offset:24600
	s_waitcnt lgkmcnt(0)
	v_add_u32_e32 v10, v11, v10
	s_or_b64 exec, exec, s[76:77]
	s_and_saveexec_b64 s[76:77], s[16:17]
	s_cbranch_execnz .LBB208_88
.LBB208_56:                             ;   in Loop: Header=BB208_48 Depth=1
	s_or_b64 exec, exec, s[76:77]
	s_and_saveexec_b64 s[76:77], s[18:19]
	s_cbranch_execz .LBB208_89
.LBB208_57:                             ;   in Loop: Header=BB208_48 Depth=1
	ds_read_b32 v11, v6 offset:24608
	s_waitcnt lgkmcnt(0)
	v_add_u32_e32 v10, v11, v10
	s_or_b64 exec, exec, s[76:77]
	s_and_saveexec_b64 s[76:77], s[20:21]
	s_cbranch_execnz .LBB208_90
.LBB208_58:                             ;   in Loop: Header=BB208_48 Depth=1
	s_or_b64 exec, exec, s[76:77]
	s_and_saveexec_b64 s[76:77], s[22:23]
	s_cbranch_execz .LBB208_91
.LBB208_59:                             ;   in Loop: Header=BB208_48 Depth=1
	ds_read_b32 v11, v6 offset:24616
	s_waitcnt lgkmcnt(0)
	v_add_u32_e32 v10, v11, v10
	s_or_b64 exec, exec, s[76:77]
	s_and_saveexec_b64 s[76:77], s[24:25]
	s_cbranch_execnz .LBB208_92
.LBB208_60:                             ;   in Loop: Header=BB208_48 Depth=1
	s_or_b64 exec, exec, s[76:77]
	s_and_saveexec_b64 s[76:77], s[26:27]
	s_cbranch_execz .LBB208_93
.LBB208_61:                             ;   in Loop: Header=BB208_48 Depth=1
	ds_read_b32 v11, v6 offset:24624
	s_waitcnt lgkmcnt(0)
	v_add_u32_e32 v10, v11, v10
	s_or_b64 exec, exec, s[76:77]
	s_and_saveexec_b64 s[76:77], s[28:29]
	s_cbranch_execnz .LBB208_94
.LBB208_62:                             ;   in Loop: Header=BB208_48 Depth=1
	s_or_b64 exec, exec, s[76:77]
	s_and_saveexec_b64 s[76:77], s[30:31]
	s_cbranch_execz .LBB208_95
.LBB208_63:                             ;   in Loop: Header=BB208_48 Depth=1
	ds_read_b32 v11, v6 offset:24632
	s_waitcnt lgkmcnt(0)
	v_add_u32_e32 v10, v11, v10
	s_or_b64 exec, exec, s[76:77]
	s_and_saveexec_b64 s[76:77], s[34:35]
	s_cbranch_execnz .LBB208_96
.LBB208_64:                             ;   in Loop: Header=BB208_48 Depth=1
	s_or_b64 exec, exec, s[76:77]
	s_and_saveexec_b64 s[76:77], s[36:37]
	s_cbranch_execz .LBB208_97
.LBB208_65:                             ;   in Loop: Header=BB208_48 Depth=1
	ds_read_b32 v11, v6 offset:24640
	s_waitcnt lgkmcnt(0)
	v_add_u32_e32 v10, v11, v10
	s_or_b64 exec, exec, s[76:77]
	s_and_saveexec_b64 s[76:77], s[38:39]
	s_cbranch_execnz .LBB208_98
.LBB208_66:                             ;   in Loop: Header=BB208_48 Depth=1
	s_or_b64 exec, exec, s[76:77]
	s_and_saveexec_b64 s[76:77], s[40:41]
	s_cbranch_execz .LBB208_99
.LBB208_67:                             ;   in Loop: Header=BB208_48 Depth=1
	ds_read_b32 v11, v6 offset:24648
	s_waitcnt lgkmcnt(0)
	v_add_u32_e32 v10, v11, v10
	s_or_b64 exec, exec, s[76:77]
	s_and_saveexec_b64 s[76:77], s[42:43]
	s_cbranch_execnz .LBB208_100
.LBB208_68:                             ;   in Loop: Header=BB208_48 Depth=1
	s_or_b64 exec, exec, s[76:77]
	s_and_saveexec_b64 s[76:77], s[44:45]
	s_cbranch_execz .LBB208_101
.LBB208_69:                             ;   in Loop: Header=BB208_48 Depth=1
	ds_read_b32 v11, v6 offset:24656
	s_waitcnt lgkmcnt(0)
	v_add_u32_e32 v10, v11, v10
	s_or_b64 exec, exec, s[76:77]
	s_and_saveexec_b64 s[76:77], s[46:47]
	s_cbranch_execnz .LBB208_102
.LBB208_70:                             ;   in Loop: Header=BB208_48 Depth=1
	s_or_b64 exec, exec, s[76:77]
	s_and_saveexec_b64 s[76:77], s[48:49]
	s_cbranch_execz .LBB208_103
.LBB208_71:                             ;   in Loop: Header=BB208_48 Depth=1
	ds_read_b32 v11, v6 offset:24664
	s_waitcnt lgkmcnt(0)
	v_add_u32_e32 v10, v11, v10
	s_or_b64 exec, exec, s[76:77]
	s_and_saveexec_b64 s[76:77], s[50:51]
	s_cbranch_execnz .LBB208_104
.LBB208_72:                             ;   in Loop: Header=BB208_48 Depth=1
	s_or_b64 exec, exec, s[76:77]
	s_and_saveexec_b64 s[76:77], s[52:53]
	s_cbranch_execz .LBB208_105
.LBB208_73:                             ;   in Loop: Header=BB208_48 Depth=1
	ds_read_b32 v11, v6 offset:24672
	s_waitcnt lgkmcnt(0)
	v_add_u32_e32 v10, v11, v10
	s_or_b64 exec, exec, s[76:77]
	s_and_saveexec_b64 s[76:77], s[54:55]
	s_cbranch_execnz .LBB208_106
.LBB208_74:                             ;   in Loop: Header=BB208_48 Depth=1
	s_or_b64 exec, exec, s[76:77]
	s_and_saveexec_b64 s[76:77], s[56:57]
	s_cbranch_execz .LBB208_107
.LBB208_75:                             ;   in Loop: Header=BB208_48 Depth=1
	ds_read_b32 v11, v6 offset:24680
	s_waitcnt lgkmcnt(0)
	v_add_u32_e32 v10, v11, v10
	s_or_b64 exec, exec, s[76:77]
	s_and_saveexec_b64 s[76:77], s[58:59]
	s_cbranch_execnz .LBB208_108
.LBB208_76:                             ;   in Loop: Header=BB208_48 Depth=1
	s_or_b64 exec, exec, s[76:77]
	s_and_saveexec_b64 s[76:77], s[60:61]
	s_cbranch_execz .LBB208_109
.LBB208_77:                             ;   in Loop: Header=BB208_48 Depth=1
	ds_read_b32 v11, v6 offset:24688
	s_waitcnt lgkmcnt(0)
	v_add_u32_e32 v10, v11, v10
	s_or_b64 exec, exec, s[76:77]
	s_and_saveexec_b64 s[76:77], s[62:63]
	s_cbranch_execnz .LBB208_110
.LBB208_78:                             ;   in Loop: Header=BB208_48 Depth=1
	s_or_b64 exec, exec, s[76:77]
	s_and_saveexec_b64 s[76:77], s[64:65]
	s_cbranch_execz .LBB208_111
.LBB208_79:                             ;   in Loop: Header=BB208_48 Depth=1
	ds_read_b32 v11, v6 offset:24696
	s_waitcnt lgkmcnt(0)
	v_add_u32_e32 v10, v11, v10
	s_or_b64 exec, exec, s[76:77]
	s_and_saveexec_b64 s[76:77], vcc
	s_cbranch_execnz .LBB208_112
.LBB208_80:                             ;   in Loop: Header=BB208_48 Depth=1
	s_or_b64 exec, exec, s[76:77]
	s_and_saveexec_b64 s[76:77], s[0:1]
	s_cbranch_execz .LBB208_47
	s_branch .LBB208_113
.LBB208_81:                             ;   in Loop: Header=BB208_48 Depth=1
	s_or_b64 exec, exec, s[76:77]
	s_and_saveexec_b64 s[76:77], s[4:5]
	s_cbranch_execz .LBB208_50
.LBB208_82:                             ;   in Loop: Header=BB208_48 Depth=1
	ds_read_b32 v11, v6 offset:24580
	s_waitcnt lgkmcnt(0)
	v_add_u32_e32 v10, v11, v10
	s_or_b64 exec, exec, s[76:77]
	s_and_saveexec_b64 s[76:77], s[6:7]
	s_cbranch_execnz .LBB208_51
.LBB208_83:                             ;   in Loop: Header=BB208_48 Depth=1
	s_or_b64 exec, exec, s[76:77]
	s_and_saveexec_b64 s[76:77], s[8:9]
	s_cbranch_execz .LBB208_52
.LBB208_84:                             ;   in Loop: Header=BB208_48 Depth=1
	ds_read_b32 v11, v6 offset:24588
	s_waitcnt lgkmcnt(0)
	v_add_u32_e32 v10, v11, v10
	s_or_b64 exec, exec, s[76:77]
	s_and_saveexec_b64 s[76:77], s[10:11]
	s_cbranch_execnz .LBB208_53
.LBB208_85:                             ;   in Loop: Header=BB208_48 Depth=1
	s_or_b64 exec, exec, s[76:77]
	s_and_saveexec_b64 s[76:77], s[12:13]
	s_cbranch_execz .LBB208_54
.LBB208_86:                             ;   in Loop: Header=BB208_48 Depth=1
	ds_read_b32 v11, v6 offset:24596
	s_waitcnt lgkmcnt(0)
	v_add_u32_e32 v10, v11, v10
	s_or_b64 exec, exec, s[76:77]
	s_and_saveexec_b64 s[76:77], s[14:15]
	s_cbranch_execnz .LBB208_55
.LBB208_87:                             ;   in Loop: Header=BB208_48 Depth=1
	s_or_b64 exec, exec, s[76:77]
	s_and_saveexec_b64 s[76:77], s[16:17]
	s_cbranch_execz .LBB208_56
.LBB208_88:                             ;   in Loop: Header=BB208_48 Depth=1
	ds_read_b32 v11, v6 offset:24604
	s_waitcnt lgkmcnt(0)
	v_add_u32_e32 v10, v11, v10
	s_or_b64 exec, exec, s[76:77]
	s_and_saveexec_b64 s[76:77], s[18:19]
	s_cbranch_execnz .LBB208_57
.LBB208_89:                             ;   in Loop: Header=BB208_48 Depth=1
	s_or_b64 exec, exec, s[76:77]
	s_and_saveexec_b64 s[76:77], s[20:21]
	s_cbranch_execz .LBB208_58
.LBB208_90:                             ;   in Loop: Header=BB208_48 Depth=1
	ds_read_b32 v11, v6 offset:24612
	s_waitcnt lgkmcnt(0)
	v_add_u32_e32 v10, v11, v10
	s_or_b64 exec, exec, s[76:77]
	s_and_saveexec_b64 s[76:77], s[22:23]
	s_cbranch_execnz .LBB208_59
.LBB208_91:                             ;   in Loop: Header=BB208_48 Depth=1
	s_or_b64 exec, exec, s[76:77]
	s_and_saveexec_b64 s[76:77], s[24:25]
	s_cbranch_execz .LBB208_60
.LBB208_92:                             ;   in Loop: Header=BB208_48 Depth=1
	ds_read_b32 v11, v6 offset:24620
	s_waitcnt lgkmcnt(0)
	v_add_u32_e32 v10, v11, v10
	s_or_b64 exec, exec, s[76:77]
	s_and_saveexec_b64 s[76:77], s[26:27]
	s_cbranch_execnz .LBB208_61
.LBB208_93:                             ;   in Loop: Header=BB208_48 Depth=1
	s_or_b64 exec, exec, s[76:77]
	s_and_saveexec_b64 s[76:77], s[28:29]
	s_cbranch_execz .LBB208_62
.LBB208_94:                             ;   in Loop: Header=BB208_48 Depth=1
	ds_read_b32 v11, v6 offset:24628
	s_waitcnt lgkmcnt(0)
	v_add_u32_e32 v10, v11, v10
	s_or_b64 exec, exec, s[76:77]
	s_and_saveexec_b64 s[76:77], s[30:31]
	s_cbranch_execnz .LBB208_63
.LBB208_95:                             ;   in Loop: Header=BB208_48 Depth=1
	s_or_b64 exec, exec, s[76:77]
	s_and_saveexec_b64 s[76:77], s[34:35]
	s_cbranch_execz .LBB208_64
.LBB208_96:                             ;   in Loop: Header=BB208_48 Depth=1
	ds_read_b32 v11, v6 offset:24636
	s_waitcnt lgkmcnt(0)
	v_add_u32_e32 v10, v11, v10
	s_or_b64 exec, exec, s[76:77]
	s_and_saveexec_b64 s[76:77], s[36:37]
	s_cbranch_execnz .LBB208_65
.LBB208_97:                             ;   in Loop: Header=BB208_48 Depth=1
	s_or_b64 exec, exec, s[76:77]
	s_and_saveexec_b64 s[76:77], s[38:39]
	s_cbranch_execz .LBB208_66
.LBB208_98:                             ;   in Loop: Header=BB208_48 Depth=1
	ds_read_b32 v11, v6 offset:24644
	s_waitcnt lgkmcnt(0)
	v_add_u32_e32 v10, v11, v10
	s_or_b64 exec, exec, s[76:77]
	s_and_saveexec_b64 s[76:77], s[40:41]
	s_cbranch_execnz .LBB208_67
.LBB208_99:                             ;   in Loop: Header=BB208_48 Depth=1
	s_or_b64 exec, exec, s[76:77]
	s_and_saveexec_b64 s[76:77], s[42:43]
	s_cbranch_execz .LBB208_68
.LBB208_100:                            ;   in Loop: Header=BB208_48 Depth=1
	ds_read_b32 v11, v6 offset:24652
	s_waitcnt lgkmcnt(0)
	v_add_u32_e32 v10, v11, v10
	s_or_b64 exec, exec, s[76:77]
	s_and_saveexec_b64 s[76:77], s[44:45]
	s_cbranch_execnz .LBB208_69
.LBB208_101:                            ;   in Loop: Header=BB208_48 Depth=1
	s_or_b64 exec, exec, s[76:77]
	s_and_saveexec_b64 s[76:77], s[46:47]
	s_cbranch_execz .LBB208_70
.LBB208_102:                            ;   in Loop: Header=BB208_48 Depth=1
	ds_read_b32 v11, v6 offset:24660
	s_waitcnt lgkmcnt(0)
	v_add_u32_e32 v10, v11, v10
	s_or_b64 exec, exec, s[76:77]
	s_and_saveexec_b64 s[76:77], s[48:49]
	s_cbranch_execnz .LBB208_71
.LBB208_103:                            ;   in Loop: Header=BB208_48 Depth=1
	s_or_b64 exec, exec, s[76:77]
	s_and_saveexec_b64 s[76:77], s[50:51]
	s_cbranch_execz .LBB208_72
.LBB208_104:                            ;   in Loop: Header=BB208_48 Depth=1
	ds_read_b32 v11, v6 offset:24668
	s_waitcnt lgkmcnt(0)
	v_add_u32_e32 v10, v11, v10
	s_or_b64 exec, exec, s[76:77]
	s_and_saveexec_b64 s[76:77], s[52:53]
	s_cbranch_execnz .LBB208_73
.LBB208_105:                            ;   in Loop: Header=BB208_48 Depth=1
	s_or_b64 exec, exec, s[76:77]
	s_and_saveexec_b64 s[76:77], s[54:55]
	s_cbranch_execz .LBB208_74
.LBB208_106:                            ;   in Loop: Header=BB208_48 Depth=1
	ds_read_b32 v11, v6 offset:24676
	s_waitcnt lgkmcnt(0)
	v_add_u32_e32 v10, v11, v10
	s_or_b64 exec, exec, s[76:77]
	s_and_saveexec_b64 s[76:77], s[56:57]
	s_cbranch_execnz .LBB208_75
.LBB208_107:                            ;   in Loop: Header=BB208_48 Depth=1
	s_or_b64 exec, exec, s[76:77]
	s_and_saveexec_b64 s[76:77], s[58:59]
	s_cbranch_execz .LBB208_76
.LBB208_108:                            ;   in Loop: Header=BB208_48 Depth=1
	ds_read_b32 v11, v6 offset:24684
	s_waitcnt lgkmcnt(0)
	v_add_u32_e32 v10, v11, v10
	s_or_b64 exec, exec, s[76:77]
	s_and_saveexec_b64 s[76:77], s[60:61]
	s_cbranch_execnz .LBB208_77
.LBB208_109:                            ;   in Loop: Header=BB208_48 Depth=1
	s_or_b64 exec, exec, s[76:77]
	s_and_saveexec_b64 s[76:77], s[62:63]
	s_cbranch_execz .LBB208_78
.LBB208_110:                            ;   in Loop: Header=BB208_48 Depth=1
	ds_read_b32 v11, v6 offset:24692
	s_waitcnt lgkmcnt(0)
	v_add_u32_e32 v10, v11, v10
	s_or_b64 exec, exec, s[76:77]
	s_and_saveexec_b64 s[76:77], s[64:65]
	s_cbranch_execnz .LBB208_79
.LBB208_111:                            ;   in Loop: Header=BB208_48 Depth=1
	s_or_b64 exec, exec, s[76:77]
	s_and_saveexec_b64 s[76:77], vcc
	s_cbranch_execz .LBB208_80
.LBB208_112:                            ;   in Loop: Header=BB208_48 Depth=1
	v_add3_u32 v11, v8, -1, v10
	v_add_u32_e32 v14, v8, v10
	v_lshl_add_u32 v11, v11, 2, 0
	v_lshl_add_u32 v14, v14, 3, 0
	v_add_u32_e32 v14, 0x1ff8, v14
	ds_write_b32 v11, v9
	ds_write2_b32 v14, v4, v5 offset1:1
	s_or_b64 exec, exec, s[76:77]
	s_and_saveexec_b64 s[76:77], s[0:1]
	s_cbranch_execz .LBB208_47
.LBB208_113:                            ;   in Loop: Header=BB208_48 Depth=1
	ds_write_b32 v6, v10 offset:24700
	s_branch .LBB208_47
.LBB208_114:
	s_or_b64 exec, exec, s[74:75]
	s_ashr_i32 s73, s72, 31
	s_lshl_b64 s[0:1], s[72:73], 3
	s_add_u32 s4, s70, s0
	s_addc_u32 s5, s71, s1
	s_load_dwordx4 s[0:3], s[4:5], 0x0
	s_waitcnt lgkmcnt(0)
	s_sub_i32 s8, s2, s0
	v_cmp_gt_i32_e32 vcc, s8, v0
	s_and_saveexec_b64 s[4:5], vcc
	s_cbranch_execz .LBB208_124
; %bb.115:
	s_sub_u32 s4, s0, s66
	s_subb_u32 s5, s1, 0
	s_and_b32 s10, s8, 7
	s_sub_i32 s0, s0, s2
	s_cmp_lt_u32 s0, -7
	s_cselect_b64 s[0:1], -1, 0
	s_and_b32 s11, s8, -8
	s_cmp_lg_u32 s10, 0
	v_cndmask_b32_e64 v1, 0, 1, s[0:1]
	s_cselect_b64 s[2:3], -1, 0
	v_cmp_ne_u32_e64 s[0:1], 1, v1
	v_cndmask_b32_e64 v1, 0, 1, s[2:3]
	s_mov_b32 s9, 0
	s_mov_b64 s[6:7], 0
	s_movk_i32 s12, 0x2000
	v_cmp_ne_u32_e64 s[2:3], 1, v1
	s_branch .LBB208_117
.LBB208_116:                            ;   in Loop: Header=BB208_117 Depth=1
	v_add_u32_e32 v0, 0x400, v0
	v_cmp_le_i32_e32 vcc, s8, v0
	v_lshl_add_u64 v[4:5], v[4:5], 3, s[68:69]
	s_or_b64 s[6:7], vcc, s[6:7]
	s_waitcnt lgkmcnt(0)
	global_store_dwordx2 v[4:5], v[2:3], off
	s_andn2_b64 exec, exec, s[6:7]
	s_cbranch_execz .LBB208_124
.LBB208_117:                            ; =>This Loop Header: Depth=1
                                        ;     Child Loop BB208_119 Depth 2
                                        ;     Child Loop BB208_123 Depth 2
	v_lshlrev_b32_e32 v1, 2, v0
	v_add_u32_e32 v2, 0, v1
	v_add3_u32 v3, v2, v1, s12
	ds_read_b32 v1, v2
	ds_read2_b32 v[2:3], v3 offset1:1
	s_and_b64 vcc, exec, s[0:1]
	v_mov_b64_e32 v[4:5], s[4:5]
	s_mov_b32 s13, 0
	s_cbranch_vccnz .LBB208_121
; %bb.118:                              ;   in Loop: Header=BB208_117 Depth=1
	s_mov_b32 s14, 0
	v_mov_b64_e32 v[4:5], s[4:5]
.LBB208_119:                            ;   Parent Loop BB208_117 Depth=1
                                        ; =>  This Inner Loop Header: Depth=2
	v_mov_b32_e32 v6, s14
	ds_read2_b32 v[22:23], v6 offset1:1
	ds_read2_b32 v[24:25], v6 offset0:2 offset1:3
	ds_read2_b32 v[26:27], v6 offset0:4 offset1:5
	;; [unrolled: 1-line block ×3, first 2 shown]
	v_mov_b32_e32 v7, s9
	s_waitcnt lgkmcnt(3)
	v_cmp_gt_i32_e32 vcc, v1, v22
	v_mov_b32_e32 v9, s9
	v_mov_b32_e32 v11, s9
	v_cndmask_b32_e64 v6, 0, 1, vcc
	v_cmp_gt_i32_e32 vcc, v1, v23
	v_lshl_add_u64 v[4:5], v[4:5], 0, v[6:7]
	v_mov_b32_e32 v13, s9
	v_cndmask_b32_e64 v8, 0, 1, vcc
	s_waitcnt lgkmcnt(2)
	v_cmp_gt_i32_e32 vcc, v1, v24
	v_lshl_add_u64 v[4:5], v[4:5], 0, v[8:9]
	v_mov_b32_e32 v15, s9
	v_cndmask_b32_e64 v10, 0, 1, vcc
	v_cmp_gt_i32_e32 vcc, v1, v25
	v_lshl_add_u64 v[4:5], v[4:5], 0, v[10:11]
	v_mov_b32_e32 v17, s9
	v_cndmask_b32_e64 v12, 0, 1, vcc
	s_waitcnt lgkmcnt(1)
	v_cmp_gt_i32_e32 vcc, v1, v26
	v_lshl_add_u64 v[4:5], v[4:5], 0, v[12:13]
	;; [unrolled: 9-line block ×3, first 2 shown]
	s_add_i32 s13, s13, 8
	v_cndmask_b32_e64 v18, 0, 1, vcc
	v_cmp_gt_i32_e32 vcc, v1, v29
	s_add_i32 s14, s14, 32
	v_lshl_add_u64 v[4:5], v[4:5], 0, v[18:19]
	v_cndmask_b32_e64 v20, 0, 1, vcc
	s_cmp_eq_u32 s11, s13
	v_lshl_add_u64 v[4:5], v[4:5], 0, v[20:21]
	s_cbranch_scc0 .LBB208_119
; %bb.120:                              ;   in Loop: Header=BB208_117 Depth=1
	s_mov_b32 s13, s11
.LBB208_121:                            ;   in Loop: Header=BB208_117 Depth=1
	s_and_b64 vcc, exec, s[2:3]
	s_cbranch_vccnz .LBB208_116
; %bb.122:                              ;   in Loop: Header=BB208_117 Depth=1
	s_lshl_b32 s13, s13, 2
	s_add_i32 s13, s13, 0
	s_mov_b32 s14, s10
.LBB208_123:                            ;   Parent Loop BB208_117 Depth=1
                                        ; =>  This Inner Loop Header: Depth=2
	v_mov_b32_e32 v6, s13
	ds_read_b32 v6, v6
	v_mov_b32_e32 v7, s9
	s_add_i32 s13, s13, 4
	s_add_i32 s14, s14, -1
	s_cmp_lg_u32 s14, 0
	s_waitcnt lgkmcnt(0)
	v_cmp_gt_i32_e32 vcc, v1, v6
	s_nop 1
	v_cndmask_b32_e64 v6, 0, 1, vcc
	v_lshl_add_u64 v[4:5], v[4:5], 0, v[6:7]
	s_cbranch_scc1 .LBB208_123
	s_branch .LBB208_116
.LBB208_124:
	s_endpgm
	.section	.rodata,"a",@progbits
	.p2align	6, 0x0
	.amdhsa_kernel _ZN9rocsparseL41csrgemm_numeric_fill_block_per_row_kernelILj1024ELj32ELj2048ELj137ELj32Eli21rocsparse_complex_numIfEEEvT5_PKS3_S5_NS_24const_host_device_scalarIT6_EEPKT4_S5_PKS7_SB_S5_SD_S8_SB_S5_SD_SB_S5_PS7_21rocsparse_index_base_SF_SF_SF_bbb
		.amdhsa_group_segment_fixed_size 0
		.amdhsa_private_segment_fixed_size 0
		.amdhsa_kernarg_size 156
		.amdhsa_user_sgpr_count 2
		.amdhsa_user_sgpr_dispatch_ptr 0
		.amdhsa_user_sgpr_queue_ptr 0
		.amdhsa_user_sgpr_kernarg_segment_ptr 1
		.amdhsa_user_sgpr_dispatch_id 0
		.amdhsa_user_sgpr_kernarg_preload_length 0
		.amdhsa_user_sgpr_kernarg_preload_offset 0
		.amdhsa_user_sgpr_private_segment_size 0
		.amdhsa_uses_dynamic_stack 0
		.amdhsa_enable_private_segment 0
		.amdhsa_system_sgpr_workgroup_id_x 1
		.amdhsa_system_sgpr_workgroup_id_y 0
		.amdhsa_system_sgpr_workgroup_id_z 0
		.amdhsa_system_sgpr_workgroup_info 0
		.amdhsa_system_vgpr_workitem_id 0
		.amdhsa_next_free_vgpr 30
		.amdhsa_next_free_sgpr 78
		.amdhsa_accum_offset 32
		.amdhsa_reserve_vcc 1
		.amdhsa_float_round_mode_32 0
		.amdhsa_float_round_mode_16_64 0
		.amdhsa_float_denorm_mode_32 3
		.amdhsa_float_denorm_mode_16_64 3
		.amdhsa_dx10_clamp 1
		.amdhsa_ieee_mode 1
		.amdhsa_fp16_overflow 0
		.amdhsa_tg_split 0
		.amdhsa_exception_fp_ieee_invalid_op 0
		.amdhsa_exception_fp_denorm_src 0
		.amdhsa_exception_fp_ieee_div_zero 0
		.amdhsa_exception_fp_ieee_overflow 0
		.amdhsa_exception_fp_ieee_underflow 0
		.amdhsa_exception_fp_ieee_inexact 0
		.amdhsa_exception_int_div_zero 0
	.end_amdhsa_kernel
	.section	.text._ZN9rocsparseL41csrgemm_numeric_fill_block_per_row_kernelILj1024ELj32ELj2048ELj137ELj32Eli21rocsparse_complex_numIfEEEvT5_PKS3_S5_NS_24const_host_device_scalarIT6_EEPKT4_S5_PKS7_SB_S5_SD_S8_SB_S5_SD_SB_S5_PS7_21rocsparse_index_base_SF_SF_SF_bbb,"axG",@progbits,_ZN9rocsparseL41csrgemm_numeric_fill_block_per_row_kernelILj1024ELj32ELj2048ELj137ELj32Eli21rocsparse_complex_numIfEEEvT5_PKS3_S5_NS_24const_host_device_scalarIT6_EEPKT4_S5_PKS7_SB_S5_SD_S8_SB_S5_SD_SB_S5_PS7_21rocsparse_index_base_SF_SF_SF_bbb,comdat
.Lfunc_end208:
	.size	_ZN9rocsparseL41csrgemm_numeric_fill_block_per_row_kernelILj1024ELj32ELj2048ELj137ELj32Eli21rocsparse_complex_numIfEEEvT5_PKS3_S5_NS_24const_host_device_scalarIT6_EEPKT4_S5_PKS7_SB_S5_SD_S8_SB_S5_SD_SB_S5_PS7_21rocsparse_index_base_SF_SF_SF_bbb, .Lfunc_end208-_ZN9rocsparseL41csrgemm_numeric_fill_block_per_row_kernelILj1024ELj32ELj2048ELj137ELj32Eli21rocsparse_complex_numIfEEEvT5_PKS3_S5_NS_24const_host_device_scalarIT6_EEPKT4_S5_PKS7_SB_S5_SD_S8_SB_S5_SD_SB_S5_PS7_21rocsparse_index_base_SF_SF_SF_bbb
                                        ; -- End function
	.set _ZN9rocsparseL41csrgemm_numeric_fill_block_per_row_kernelILj1024ELj32ELj2048ELj137ELj32Eli21rocsparse_complex_numIfEEEvT5_PKS3_S5_NS_24const_host_device_scalarIT6_EEPKT4_S5_PKS7_SB_S5_SD_S8_SB_S5_SD_SB_S5_PS7_21rocsparse_index_base_SF_SF_SF_bbb.num_vgpr, 30
	.set _ZN9rocsparseL41csrgemm_numeric_fill_block_per_row_kernelILj1024ELj32ELj2048ELj137ELj32Eli21rocsparse_complex_numIfEEEvT5_PKS3_S5_NS_24const_host_device_scalarIT6_EEPKT4_S5_PKS7_SB_S5_SD_S8_SB_S5_SD_SB_S5_PS7_21rocsparse_index_base_SF_SF_SF_bbb.num_agpr, 0
	.set _ZN9rocsparseL41csrgemm_numeric_fill_block_per_row_kernelILj1024ELj32ELj2048ELj137ELj32Eli21rocsparse_complex_numIfEEEvT5_PKS3_S5_NS_24const_host_device_scalarIT6_EEPKT4_S5_PKS7_SB_S5_SD_S8_SB_S5_SD_SB_S5_PS7_21rocsparse_index_base_SF_SF_SF_bbb.numbered_sgpr, 78
	.set _ZN9rocsparseL41csrgemm_numeric_fill_block_per_row_kernelILj1024ELj32ELj2048ELj137ELj32Eli21rocsparse_complex_numIfEEEvT5_PKS3_S5_NS_24const_host_device_scalarIT6_EEPKT4_S5_PKS7_SB_S5_SD_S8_SB_S5_SD_SB_S5_PS7_21rocsparse_index_base_SF_SF_SF_bbb.num_named_barrier, 0
	.set _ZN9rocsparseL41csrgemm_numeric_fill_block_per_row_kernelILj1024ELj32ELj2048ELj137ELj32Eli21rocsparse_complex_numIfEEEvT5_PKS3_S5_NS_24const_host_device_scalarIT6_EEPKT4_S5_PKS7_SB_S5_SD_S8_SB_S5_SD_SB_S5_PS7_21rocsparse_index_base_SF_SF_SF_bbb.private_seg_size, 0
	.set _ZN9rocsparseL41csrgemm_numeric_fill_block_per_row_kernelILj1024ELj32ELj2048ELj137ELj32Eli21rocsparse_complex_numIfEEEvT5_PKS3_S5_NS_24const_host_device_scalarIT6_EEPKT4_S5_PKS7_SB_S5_SD_S8_SB_S5_SD_SB_S5_PS7_21rocsparse_index_base_SF_SF_SF_bbb.uses_vcc, 1
	.set _ZN9rocsparseL41csrgemm_numeric_fill_block_per_row_kernelILj1024ELj32ELj2048ELj137ELj32Eli21rocsparse_complex_numIfEEEvT5_PKS3_S5_NS_24const_host_device_scalarIT6_EEPKT4_S5_PKS7_SB_S5_SD_S8_SB_S5_SD_SB_S5_PS7_21rocsparse_index_base_SF_SF_SF_bbb.uses_flat_scratch, 0
	.set _ZN9rocsparseL41csrgemm_numeric_fill_block_per_row_kernelILj1024ELj32ELj2048ELj137ELj32Eli21rocsparse_complex_numIfEEEvT5_PKS3_S5_NS_24const_host_device_scalarIT6_EEPKT4_S5_PKS7_SB_S5_SD_S8_SB_S5_SD_SB_S5_PS7_21rocsparse_index_base_SF_SF_SF_bbb.has_dyn_sized_stack, 0
	.set _ZN9rocsparseL41csrgemm_numeric_fill_block_per_row_kernelILj1024ELj32ELj2048ELj137ELj32Eli21rocsparse_complex_numIfEEEvT5_PKS3_S5_NS_24const_host_device_scalarIT6_EEPKT4_S5_PKS7_SB_S5_SD_S8_SB_S5_SD_SB_S5_PS7_21rocsparse_index_base_SF_SF_SF_bbb.has_recursion, 0
	.set _ZN9rocsparseL41csrgemm_numeric_fill_block_per_row_kernelILj1024ELj32ELj2048ELj137ELj32Eli21rocsparse_complex_numIfEEEvT5_PKS3_S5_NS_24const_host_device_scalarIT6_EEPKT4_S5_PKS7_SB_S5_SD_S8_SB_S5_SD_SB_S5_PS7_21rocsparse_index_base_SF_SF_SF_bbb.has_indirect_call, 0
	.section	.AMDGPU.csdata,"",@progbits
; Kernel info:
; codeLenInByte = 3992
; TotalNumSgprs: 84
; NumVgprs: 30
; NumAgprs: 0
; TotalNumVgprs: 30
; ScratchSize: 0
; MemoryBound: 0
; FloatMode: 240
; IeeeMode: 1
; LDSByteSize: 0 bytes/workgroup (compile time only)
; SGPRBlocks: 10
; VGPRBlocks: 3
; NumSGPRsForWavesPerEU: 84
; NumVGPRsForWavesPerEU: 30
; AccumOffset: 32
; Occupancy: 8
; WaveLimiterHint : 1
; COMPUTE_PGM_RSRC2:SCRATCH_EN: 0
; COMPUTE_PGM_RSRC2:USER_SGPR: 2
; COMPUTE_PGM_RSRC2:TRAP_HANDLER: 0
; COMPUTE_PGM_RSRC2:TGID_X_EN: 1
; COMPUTE_PGM_RSRC2:TGID_Y_EN: 0
; COMPUTE_PGM_RSRC2:TGID_Z_EN: 0
; COMPUTE_PGM_RSRC2:TIDIG_COMP_CNT: 0
; COMPUTE_PGM_RSRC3_GFX90A:ACCUM_OFFSET: 7
; COMPUTE_PGM_RSRC3_GFX90A:TG_SPLIT: 0
	.section	.text._ZN9rocsparseL41csrgemm_numeric_fill_block_per_row_kernelILj1024ELj32ELj2048ELj137ELj64Eli21rocsparse_complex_numIfEEEvT5_PKS3_S5_NS_24const_host_device_scalarIT6_EEPKT4_S5_PKS7_SB_S5_SD_S8_SB_S5_SD_SB_S5_PS7_21rocsparse_index_base_SF_SF_SF_bbb,"axG",@progbits,_ZN9rocsparseL41csrgemm_numeric_fill_block_per_row_kernelILj1024ELj32ELj2048ELj137ELj64Eli21rocsparse_complex_numIfEEEvT5_PKS3_S5_NS_24const_host_device_scalarIT6_EEPKT4_S5_PKS7_SB_S5_SD_S8_SB_S5_SD_SB_S5_PS7_21rocsparse_index_base_SF_SF_SF_bbb,comdat
	.globl	_ZN9rocsparseL41csrgemm_numeric_fill_block_per_row_kernelILj1024ELj32ELj2048ELj137ELj64Eli21rocsparse_complex_numIfEEEvT5_PKS3_S5_NS_24const_host_device_scalarIT6_EEPKT4_S5_PKS7_SB_S5_SD_S8_SB_S5_SD_SB_S5_PS7_21rocsparse_index_base_SF_SF_SF_bbb ; -- Begin function _ZN9rocsparseL41csrgemm_numeric_fill_block_per_row_kernelILj1024ELj32ELj2048ELj137ELj64Eli21rocsparse_complex_numIfEEEvT5_PKS3_S5_NS_24const_host_device_scalarIT6_EEPKT4_S5_PKS7_SB_S5_SD_S8_SB_S5_SD_SB_S5_PS7_21rocsparse_index_base_SF_SF_SF_bbb
	.p2align	8
	.type	_ZN9rocsparseL41csrgemm_numeric_fill_block_per_row_kernelILj1024ELj32ELj2048ELj137ELj64Eli21rocsparse_complex_numIfEEEvT5_PKS3_S5_NS_24const_host_device_scalarIT6_EEPKT4_S5_PKS7_SB_S5_SD_S8_SB_S5_SD_SB_S5_PS7_21rocsparse_index_base_SF_SF_SF_bbb,@function
_ZN9rocsparseL41csrgemm_numeric_fill_block_per_row_kernelILj1024ELj32ELj2048ELj137ELj64Eli21rocsparse_complex_numIfEEEvT5_PKS3_S5_NS_24const_host_device_scalarIT6_EEPKT4_S5_PKS7_SB_S5_SD_S8_SB_S5_SD_SB_S5_PS7_21rocsparse_index_base_SF_SF_SF_bbb: ; @_ZN9rocsparseL41csrgemm_numeric_fill_block_per_row_kernelILj1024ELj32ELj2048ELj137ELj64Eli21rocsparse_complex_numIfEEEvT5_PKS3_S5_NS_24const_host_device_scalarIT6_EEPKT4_S5_PKS7_SB_S5_SD_S8_SB_S5_SD_SB_S5_PS7_21rocsparse_index_base_SF_SF_SF_bbb
; %bb.0:
	s_load_dwordx2 s[40:41], s[0:1], 0x70
	s_load_dwordx4 s[24:27], s[0:1], 0x60
	s_load_dwordx8 s[8:15], s[0:1], 0x40
	s_load_dword s3, s[0:1], 0x98
	s_load_dwordx4 s[28:31], s[0:1], 0x8
	s_load_dwordx8 s[16:23], s[0:1], 0x20
	s_load_dwordx2 s[34:35], s[0:1], 0x80
	s_load_dwordx4 s[36:39], s[0:1], 0x88
	s_waitcnt lgkmcnt(0)
	s_bitcmp1_b32 s3, 0
	s_cselect_b64 s[46:47], -1, 0
	s_bitcmp1_b32 s3, 16
	s_cselect_b64 s[4:5], -1, 0
	s_xor_b64 s[4:5], s[4:5], -1
	v_cndmask_b32_e64 v1, 0, 1, s[4:5]
	s_mov_b32 s7, 0
	s_bitcmp0_b32 s3, 0
	v_cmp_ne_u32_e64 s[4:5], 1, v1
	s_mov_b32 s54, 0
	s_cbranch_scc1 .LBB209_5
; %bb.1:
	s_load_dwordx2 s[6:7], s[0:1], 0x18
	s_and_b64 vcc, exec, s[4:5]
	s_waitcnt lgkmcnt(0)
	s_mov_b32 s54, s6
	s_cbranch_vccnz .LBB209_3
; %bb.2:
	s_load_dword s54, s[6:7], 0x0
.LBB209_3:
	s_and_b64 vcc, exec, s[4:5]
	s_cbranch_vccnz .LBB209_5
; %bb.4:
	s_load_dword s7, s[6:7], 0x4
.LBB209_5:
	s_bitcmp1_b32 s3, 8
	s_cselect_b64 s[44:45], -1, 0
	s_bfe_u32 s3, s3, 0x10008
	s_mov_b32 s52, 0
	s_cmp_eq_u32 s3, 0
	s_mov_b32 s53, 0
	s_cbranch_scc1 .LBB209_11
; %bb.6:
	s_and_b64 vcc, exec, s[4:5]
	s_mov_b32 s52, s12
	s_cbranch_vccnz .LBB209_8
; %bb.7:
	s_load_dword s52, s[12:13], 0x0
.LBB209_8:
	s_and_b64 vcc, exec, s[4:5]
	s_cbranch_vccnz .LBB209_10
; %bb.9:
	s_load_dword s13, s[12:13], 0x4
.LBB209_10:
	s_waitcnt lgkmcnt(0)
	s_mov_b32 s53, s13
.LBB209_11:
	s_load_dword s33, s[0:1], 0x0
	v_lshl_add_u32 v1, v0, 3, 0
	v_add_u32_e32 v1, 0x2000, v1
	v_or_b32_e32 v12, 0xfffffc00, v0
	v_lshl_add_u32 v13, v0, 2, 0
	s_mov_b64 s[0:1], 0
	s_waitcnt lgkmcnt(0)
	v_mov_b32_e32 v6, s33
	v_mov_b32_e32 v2, 0
	;; [unrolled: 1-line block ×5, first 2 shown]
.LBB209_12:                             ; =>This Inner Loop Header: Depth=1
	v_add_co_u32_e32 v4, vcc, 0x400, v4
	s_xor_b64 s[4:5], vcc, -1
	s_and_b64 s[4:5], exec, s[4:5]
	ds_write_b32 v3, v6
	ds_write2_b32 v5, v2, v2 offset1:1
	v_add_u32_e32 v5, 0x2000, v5
	s_or_b64 s[0:1], s[4:5], s[0:1]
	v_add_u32_e32 v3, 0x1000, v3
	s_andn2_b64 exec, exec, s[0:1]
	s_cbranch_execnz .LBB209_12
; %bb.13:
	s_or_b64 exec, exec, s[0:1]
	s_waitcnt lgkmcnt(0)
	s_barrier
	s_load_dword s0, s[28:29], 0x0
	s_mov_b32 s1, 0
	s_waitcnt lgkmcnt(0)
	s_add_i32 s0, s0, s2
	s_lshl_b64 s[0:1], s[0:1], 2
	s_add_u32 s0, s30, s0
	s_addc_u32 s1, s31, s1
	s_load_dword s42, s[0:1], 0x0
	s_and_b64 vcc, exec, s[46:47]
	s_cbranch_vccz .LBB209_31
; %bb.14:
	s_waitcnt lgkmcnt(0)
	s_ashr_i32 s43, s42, 31
	s_lshl_b64 s[0:1], s[42:43], 3
	s_add_u32 s0, s16, s0
	s_addc_u32 s1, s17, s1
	s_load_dwordx4 s[28:31], s[0:1], 0x0
	v_lshrrev_b32_e32 v2, 5, v0
	v_subrev_co_u32_e32 v2, vcc, s36, v2
	s_waitcnt lgkmcnt(0)
	s_sub_u32 s0, s30, s36
	v_subb_co_u32_e64 v3, s[2:3], 0, 0, vcc
	s_subb_u32 s1, s31, 0
	v_lshl_add_u64 v[2:3], s[28:29], 0, v[2:3]
	v_cmp_gt_i64_e32 vcc, s[0:1], v[2:3]
	s_and_saveexec_b64 s[2:3], vcc
	s_cbranch_execz .LBB209_30
; %bb.15:
	v_and_b32_e32 v4, 31, v0
	v_subrev_co_u32_e32 v4, vcc, s37, v4
	s_mov_b32 s6, s37
	s_nop 0
	v_subb_co_u32_e64 v5, s[4:5], 0, 0, vcc
	s_mov_b64 s[4:5], 0
	s_movk_i32 s43, 0x89
	s_branch .LBB209_17
.LBB209_16:                             ;   in Loop: Header=BB209_17 Depth=1
	s_or_b64 exec, exec, s[12:13]
	v_lshl_add_u64 v[2:3], v[2:3], 0, 32
	v_cmp_le_i64_e32 vcc, s[0:1], v[2:3]
	s_or_b64 s[4:5], vcc, s[4:5]
	s_andn2_b64 exec, exec, s[4:5]
	s_cbranch_execz .LBB209_30
.LBB209_17:                             ; =>This Loop Header: Depth=1
                                        ;     Child Loop BB209_21 Depth 2
                                        ;       Child Loop BB209_24 Depth 3
	v_lshl_add_u64 v[6:7], v[2:3], 2, s[18:19]
	global_load_dword v6, v[6:7], off
	s_waitcnt vmcnt(0)
	v_subrev_u32_e32 v6, s36, v6
	v_ashrrev_i32_e32 v7, 31, v6
	v_lshl_add_u64 v[6:7], v[6:7], 3, s[22:23]
	global_load_dwordx4 v[8:11], v[6:7], off
	s_waitcnt vmcnt(0)
	v_subrev_co_u32_e32 v6, vcc, s6, v10
	s_nop 1
	v_subbrev_co_u32_e32 v7, vcc, 0, v11, vcc
	v_lshl_add_u64 v[8:9], v[8:9], 0, v[4:5]
	v_cmp_lt_i64_e32 vcc, v[8:9], v[6:7]
	s_and_saveexec_b64 s[12:13], vcc
	s_cbranch_execz .LBB209_16
; %bb.18:                               ;   in Loop: Header=BB209_17 Depth=1
	v_lshl_add_u64 v[10:11], v[2:3], 3, s[20:21]
	global_load_dwordx2 v[10:11], v[10:11], off
	s_mov_b64 s[16:17], 0
	s_waitcnt vmcnt(0)
	v_mul_f32_e64 v14, v11, -s7
	v_mul_f32_e32 v15, s54, v11
	v_fmac_f32_e32 v14, s54, v10
	v_fmac_f32_e32 v15, s7, v10
	s_branch .LBB209_21
.LBB209_19:                             ;   in Loop: Header=BB209_21 Depth=2
	s_or_b64 exec, exec, s[30:31]
.LBB209_20:                             ;   in Loop: Header=BB209_21 Depth=2
	s_or_b64 exec, exec, s[28:29]
	s_waitcnt vmcnt(0)
	v_mul_f32_e64 v17, v11, -v15
	v_mul_f32_e32 v11, v14, v11
	v_fmac_f32_e32 v17, v14, v10
	v_fmac_f32_e32 v11, v15, v10
	v_lshl_add_u32 v10, v16, 3, 0
	ds_add_f32 v10, v17 offset:8192
	ds_add_f32 v10, v11 offset:8196
	v_lshl_add_u64 v[8:9], v[8:9], 0, 32
	v_cmp_ge_i64_e32 vcc, v[8:9], v[6:7]
	s_or_b64 s[16:17], vcc, s[16:17]
	s_andn2_b64 exec, exec, s[16:17]
	s_cbranch_execz .LBB209_16
.LBB209_21:                             ;   Parent Loop BB209_17 Depth=1
                                        ; =>  This Loop Header: Depth=2
                                        ;       Child Loop BB209_24 Depth 3
	v_lshl_add_u64 v[10:11], v[8:9], 2, s[8:9]
	global_load_dword v16, v[10:11], off
	v_lshl_add_u64 v[10:11], v[8:9], 3, s[10:11]
	global_load_dwordx2 v[10:11], v[10:11], off
	s_waitcnt vmcnt(1)
	v_subrev_u32_e32 v17, s37, v16
	v_mul_lo_u32 v16, v17, s43
	v_and_b32_e32 v16, 0x7ff, v16
	v_lshl_add_u32 v18, v16, 2, 0
	ds_read_b32 v19, v18
	s_waitcnt lgkmcnt(0)
	v_cmp_ne_u32_e32 vcc, v19, v17
	s_and_saveexec_b64 s[28:29], vcc
	s_cbranch_execz .LBB209_20
; %bb.22:                               ;   in Loop: Header=BB209_21 Depth=2
	s_mov_b64 s[30:31], 0
	s_branch .LBB209_24
.LBB209_23:                             ;   in Loop: Header=BB209_24 Depth=3
	s_or_b64 exec, exec, s[50:51]
	s_and_b64 s[46:47], exec, s[48:49]
	s_or_b64 s[30:31], s[46:47], s[30:31]
	s_andn2_b64 exec, exec, s[30:31]
	s_cbranch_execz .LBB209_19
.LBB209_24:                             ;   Parent Loop BB209_17 Depth=1
                                        ;     Parent Loop BB209_21 Depth=2
                                        ; =>    This Inner Loop Header: Depth=3
	v_cmp_ne_u32_e32 vcc, s33, v19
	s_mov_b64 s[46:47], 0
	s_and_saveexec_b64 s[48:49], vcc
	s_xor_b64 s[48:49], exec, s[48:49]
	s_cbranch_execz .LBB209_26
; %bb.25:                               ;   in Loop: Header=BB209_24 Depth=3
	v_add_u32_e32 v16, 1, v16
	s_mov_b64 s[46:47], exec
	v_and_b32_e32 v16, 0x7ff, v16
                                        ; implicit-def: $vgpr18
	s_andn2_saveexec_b64 s[48:49], s[48:49]
	s_cbranch_execz .LBB209_28
	s_branch .LBB209_27
.LBB209_26:                             ;   in Loop: Header=BB209_24 Depth=3
	s_andn2_saveexec_b64 s[48:49], s[48:49]
	s_cbranch_execz .LBB209_28
.LBB209_27:                             ;   in Loop: Header=BB209_24 Depth=3
	v_mov_b32_e32 v19, s33
	ds_cmpst_rtn_b32 v18, v18, v19, v17
	s_andn2_b64 s[46:47], s[46:47], exec
	s_waitcnt lgkmcnt(0)
	v_cmp_ne_u32_e32 vcc, s33, v18
	s_and_b64 s[50:51], vcc, exec
	s_or_b64 s[46:47], s[46:47], s[50:51]
.LBB209_28:                             ;   in Loop: Header=BB209_24 Depth=3
	s_or_b64 exec, exec, s[48:49]
	s_mov_b64 s[48:49], -1
                                        ; implicit-def: $vgpr18
                                        ; implicit-def: $vgpr19
	s_and_saveexec_b64 s[50:51], s[46:47]
	s_cbranch_execz .LBB209_23
; %bb.29:                               ;   in Loop: Header=BB209_24 Depth=3
	v_lshl_add_u32 v18, v16, 2, 0
	ds_read_b32 v19, v18
	s_waitcnt lgkmcnt(0)
	v_cmp_eq_u32_e32 vcc, v19, v17
	s_orn2_b64 s[48:49], vcc, exec
	s_branch .LBB209_23
.LBB209_30:
	s_or_b64 exec, exec, s[2:3]
.LBB209_31:
	s_andn2_b64 vcc, exec, s[44:45]
	s_cbranch_vccnz .LBB209_46
; %bb.32:
	s_waitcnt lgkmcnt(0)
	s_ashr_i32 s43, s42, 31
	s_lshl_b64 s[0:1], s[42:43], 3
	s_add_u32 s0, s14, s0
	s_addc_u32 s1, s15, s1
	s_load_dwordx4 s[4:7], s[0:1], 0x0
	v_subrev_co_u32_e32 v2, vcc, s39, v0
	s_nop 1
	v_subb_co_u32_e64 v3, s[0:1], 0, 0, vcc
	s_waitcnt lgkmcnt(0)
	s_sub_u32 s0, s6, s39
	s_subb_u32 s1, s7, 0
	v_lshl_add_u64 v[2:3], s[4:5], 0, v[2:3]
	v_cmp_gt_i64_e32 vcc, s[0:1], v[2:3]
	s_and_saveexec_b64 s[2:3], vcc
	s_cbranch_execz .LBB209_45
; %bb.33:
	s_mov_b64 s[4:5], 0
	s_movk_i32 s18, 0x89
	s_mov_b64 s[6:7], 0x400
	s_branch .LBB209_36
.LBB209_34:                             ;   in Loop: Header=BB209_36 Depth=1
	s_or_b64 exec, exec, s[10:11]
.LBB209_35:                             ;   in Loop: Header=BB209_36 Depth=1
	s_or_b64 exec, exec, s[8:9]
	s_waitcnt vmcnt(0)
	v_mul_f32_e64 v7, v5, -s53
	v_mul_f32_e32 v5, s52, v5
	v_fmac_f32_e32 v7, s52, v4
	v_fmac_f32_e32 v5, s53, v4
	v_lshl_add_u32 v4, v6, 3, 0
	ds_add_f32 v4, v7 offset:8192
	ds_add_f32 v4, v5 offset:8196
	v_lshl_add_u64 v[2:3], v[2:3], 0, s[6:7]
	v_cmp_le_i64_e32 vcc, s[0:1], v[2:3]
	s_or_b64 s[4:5], vcc, s[4:5]
	s_andn2_b64 exec, exec, s[4:5]
	s_cbranch_execz .LBB209_45
.LBB209_36:                             ; =>This Loop Header: Depth=1
                                        ;     Child Loop BB209_39 Depth 2
	v_lshl_add_u64 v[4:5], v[2:3], 2, s[24:25]
	global_load_dword v6, v[4:5], off
	v_lshl_add_u64 v[4:5], v[2:3], 3, s[26:27]
	global_load_dwordx2 v[4:5], v[4:5], off
	s_waitcnt vmcnt(1)
	v_subrev_u32_e32 v7, s39, v6
	v_mul_lo_u32 v6, v7, s18
	v_and_b32_e32 v6, 0x7ff, v6
	v_lshl_add_u32 v8, v6, 2, 0
	ds_read_b32 v9, v8
	s_waitcnt lgkmcnt(0)
	v_cmp_ne_u32_e32 vcc, v9, v7
	s_and_saveexec_b64 s[8:9], vcc
	s_cbranch_execz .LBB209_35
; %bb.37:                               ;   in Loop: Header=BB209_36 Depth=1
	s_mov_b64 s[10:11], 0
	s_branch .LBB209_39
.LBB209_38:                             ;   in Loop: Header=BB209_39 Depth=2
	s_or_b64 exec, exec, s[16:17]
	s_and_b64 s[12:13], exec, s[14:15]
	s_or_b64 s[10:11], s[12:13], s[10:11]
	s_andn2_b64 exec, exec, s[10:11]
	s_cbranch_execz .LBB209_34
.LBB209_39:                             ;   Parent Loop BB209_36 Depth=1
                                        ; =>  This Inner Loop Header: Depth=2
	v_cmp_ne_u32_e32 vcc, s33, v9
	s_mov_b64 s[12:13], 0
	s_and_saveexec_b64 s[14:15], vcc
	s_xor_b64 s[14:15], exec, s[14:15]
	s_cbranch_execz .LBB209_41
; %bb.40:                               ;   in Loop: Header=BB209_39 Depth=2
	v_add_u32_e32 v6, 1, v6
	s_mov_b64 s[12:13], exec
	v_and_b32_e32 v6, 0x7ff, v6
                                        ; implicit-def: $vgpr8
	s_andn2_saveexec_b64 s[14:15], s[14:15]
	s_cbranch_execz .LBB209_43
	s_branch .LBB209_42
.LBB209_41:                             ;   in Loop: Header=BB209_39 Depth=2
	s_andn2_saveexec_b64 s[14:15], s[14:15]
	s_cbranch_execz .LBB209_43
.LBB209_42:                             ;   in Loop: Header=BB209_39 Depth=2
	v_mov_b32_e32 v9, s33
	ds_cmpst_rtn_b32 v8, v8, v9, v7
	s_andn2_b64 s[12:13], s[12:13], exec
	s_waitcnt lgkmcnt(0)
	v_cmp_ne_u32_e32 vcc, s33, v8
	s_and_b64 s[16:17], vcc, exec
	s_or_b64 s[12:13], s[12:13], s[16:17]
.LBB209_43:                             ;   in Loop: Header=BB209_39 Depth=2
	s_or_b64 exec, exec, s[14:15]
	s_mov_b64 s[14:15], -1
                                        ; implicit-def: $vgpr8
                                        ; implicit-def: $vgpr9
	s_and_saveexec_b64 s[16:17], s[12:13]
	s_cbranch_execz .LBB209_38
; %bb.44:                               ;   in Loop: Header=BB209_39 Depth=2
	v_lshl_add_u32 v8, v6, 2, 0
	ds_read_b32 v9, v8
	s_waitcnt lgkmcnt(0)
	v_cmp_eq_u32_e32 vcc, v9, v7
	s_orn2_b64 s[14:15], vcc, exec
	s_branch .LBB209_38
.LBB209_45:
	s_or_b64 exec, exec, s[2:3]
.LBB209_46:
	v_mbcnt_lo_u32_b32 v2, -1, 0
	v_mbcnt_hi_u32_b32 v2, -1, v2
	v_lshrrev_b32_e32 v4, 4, v0
	v_sub_u32_e32 v2, 63, v2
	v_and_b32_e32 v4, 60, v4
	s_movk_i32 s0, 0x3ff
	s_movk_i32 s4, 0x7f
	;; [unrolled: 1-line block ×15, first 2 shown]
	v_mov_b32_e32 v6, 0
	v_lshrrev_b64 v[2:3], v2, -1
	v_add_u32_e32 v7, 0, v4
	v_cmp_eq_u32_e64 s[0:1], s0, v0
	v_cmp_lt_u32_e64 s[2:3], 63, v0
	v_cmp_lt_u32_e64 s[4:5], s4, v0
	;; [unrolled: 1-line block ×15, first 2 shown]
	s_mov_b64 s[36:37], 0
	v_mov_b32_e32 v8, 0
	s_waitcnt lgkmcnt(0)
	s_barrier
	s_branch .LBB209_48
.LBB209_47:                             ;   in Loop: Header=BB209_48 Depth=1
	s_or_b64 exec, exec, s[44:45]
	s_waitcnt lgkmcnt(0)
	s_barrier
	ds_read_b32 v4, v6 offset:24636
	v_add_co_u32_e32 v12, vcc, 0x400, v12
	s_xor_b64 s[44:45], vcc, -1
	s_and_b64 s[44:45], exec, s[44:45]
	v_add_u32_e32 v1, 0x2000, v1
	s_waitcnt lgkmcnt(0)
	v_add_u32_e32 v8, v4, v8
	s_or_b64 s[36:37], s[44:45], s[36:37]
	v_add_u32_e32 v13, 0x1000, v13
	s_andn2_b64 exec, exec, s[36:37]
	s_cbranch_execz .LBB209_82
.LBB209_48:                             ; =>This Inner Loop Header: Depth=1
	ds_read_b32 v9, v13
	ds_read2_b32 v[4:5], v1 offset1:1
	s_waitcnt lgkmcnt(0)
	s_barrier
	v_cmp_gt_i32_e32 vcc, s33, v9
	s_bcnt1_i32_b64 s39, vcc
	s_nop 0
	v_and_b32_e32 v11, vcc_lo, v2
	v_and_b32_e32 v10, vcc_hi, v3
	v_bcnt_u32_b32 v11, v11, 0
	v_bcnt_u32_b32 v10, v10, v11
	v_mov_b32_e32 v11, s39
	ds_write_b32 v7, v11 offset:24576
	s_waitcnt lgkmcnt(0)
	s_barrier
	s_and_saveexec_b64 s[44:45], s[2:3]
	s_cbranch_execz .LBB209_65
; %bb.49:                               ;   in Loop: Header=BB209_48 Depth=1
	ds_read_b32 v11, v6 offset:24576
	s_waitcnt lgkmcnt(0)
	v_add_u32_e32 v10, v11, v10
	s_or_b64 exec, exec, s[44:45]
	s_and_saveexec_b64 s[44:45], s[4:5]
	s_cbranch_execnz .LBB209_66
.LBB209_50:                             ;   in Loop: Header=BB209_48 Depth=1
	s_or_b64 exec, exec, s[44:45]
	s_and_saveexec_b64 s[44:45], s[6:7]
	s_cbranch_execz .LBB209_67
.LBB209_51:                             ;   in Loop: Header=BB209_48 Depth=1
	ds_read_b32 v11, v6 offset:24584
	s_waitcnt lgkmcnt(0)
	v_add_u32_e32 v10, v11, v10
	s_or_b64 exec, exec, s[44:45]
	s_and_saveexec_b64 s[44:45], s[8:9]
	s_cbranch_execnz .LBB209_68
.LBB209_52:                             ;   in Loop: Header=BB209_48 Depth=1
	s_or_b64 exec, exec, s[44:45]
	s_and_saveexec_b64 s[44:45], s[10:11]
	s_cbranch_execz .LBB209_69
.LBB209_53:                             ;   in Loop: Header=BB209_48 Depth=1
	ds_read_b32 v11, v6 offset:24592
	s_waitcnt lgkmcnt(0)
	v_add_u32_e32 v10, v11, v10
	s_or_b64 exec, exec, s[44:45]
	s_and_saveexec_b64 s[44:45], s[12:13]
	s_cbranch_execnz .LBB209_70
.LBB209_54:                             ;   in Loop: Header=BB209_48 Depth=1
	s_or_b64 exec, exec, s[44:45]
	s_and_saveexec_b64 s[44:45], s[14:15]
	s_cbranch_execz .LBB209_71
.LBB209_55:                             ;   in Loop: Header=BB209_48 Depth=1
	ds_read_b32 v11, v6 offset:24600
	s_waitcnt lgkmcnt(0)
	v_add_u32_e32 v10, v11, v10
	s_or_b64 exec, exec, s[44:45]
	s_and_saveexec_b64 s[44:45], s[16:17]
	s_cbranch_execnz .LBB209_72
.LBB209_56:                             ;   in Loop: Header=BB209_48 Depth=1
	s_or_b64 exec, exec, s[44:45]
	s_and_saveexec_b64 s[44:45], s[18:19]
	s_cbranch_execz .LBB209_73
.LBB209_57:                             ;   in Loop: Header=BB209_48 Depth=1
	ds_read_b32 v11, v6 offset:24608
	s_waitcnt lgkmcnt(0)
	v_add_u32_e32 v10, v11, v10
	s_or_b64 exec, exec, s[44:45]
	s_and_saveexec_b64 s[44:45], s[20:21]
	s_cbranch_execnz .LBB209_74
.LBB209_58:                             ;   in Loop: Header=BB209_48 Depth=1
	s_or_b64 exec, exec, s[44:45]
	s_and_saveexec_b64 s[44:45], s[22:23]
	s_cbranch_execz .LBB209_75
.LBB209_59:                             ;   in Loop: Header=BB209_48 Depth=1
	ds_read_b32 v11, v6 offset:24616
	s_waitcnt lgkmcnt(0)
	v_add_u32_e32 v10, v11, v10
	s_or_b64 exec, exec, s[44:45]
	s_and_saveexec_b64 s[44:45], s[24:25]
	s_cbranch_execnz .LBB209_76
.LBB209_60:                             ;   in Loop: Header=BB209_48 Depth=1
	s_or_b64 exec, exec, s[44:45]
	s_and_saveexec_b64 s[44:45], s[26:27]
	s_cbranch_execz .LBB209_77
.LBB209_61:                             ;   in Loop: Header=BB209_48 Depth=1
	ds_read_b32 v11, v6 offset:24624
	s_waitcnt lgkmcnt(0)
	v_add_u32_e32 v10, v11, v10
	s_or_b64 exec, exec, s[44:45]
	s_and_saveexec_b64 s[44:45], s[28:29]
	s_cbranch_execnz .LBB209_78
.LBB209_62:                             ;   in Loop: Header=BB209_48 Depth=1
	s_or_b64 exec, exec, s[44:45]
	s_and_saveexec_b64 s[44:45], s[30:31]
	s_cbranch_execz .LBB209_79
.LBB209_63:                             ;   in Loop: Header=BB209_48 Depth=1
	ds_read_b32 v11, v6 offset:24632
	s_waitcnt lgkmcnt(0)
	v_add_u32_e32 v10, v11, v10
	s_or_b64 exec, exec, s[44:45]
	s_and_saveexec_b64 s[44:45], vcc
	s_cbranch_execnz .LBB209_80
.LBB209_64:                             ;   in Loop: Header=BB209_48 Depth=1
	s_or_b64 exec, exec, s[44:45]
	s_and_saveexec_b64 s[44:45], s[0:1]
	s_cbranch_execz .LBB209_47
	s_branch .LBB209_81
.LBB209_65:                             ;   in Loop: Header=BB209_48 Depth=1
	s_or_b64 exec, exec, s[44:45]
	s_and_saveexec_b64 s[44:45], s[4:5]
	s_cbranch_execz .LBB209_50
.LBB209_66:                             ;   in Loop: Header=BB209_48 Depth=1
	ds_read_b32 v11, v6 offset:24580
	s_waitcnt lgkmcnt(0)
	v_add_u32_e32 v10, v11, v10
	s_or_b64 exec, exec, s[44:45]
	s_and_saveexec_b64 s[44:45], s[6:7]
	s_cbranch_execnz .LBB209_51
.LBB209_67:                             ;   in Loop: Header=BB209_48 Depth=1
	s_or_b64 exec, exec, s[44:45]
	s_and_saveexec_b64 s[44:45], s[8:9]
	s_cbranch_execz .LBB209_52
.LBB209_68:                             ;   in Loop: Header=BB209_48 Depth=1
	ds_read_b32 v11, v6 offset:24588
	s_waitcnt lgkmcnt(0)
	v_add_u32_e32 v10, v11, v10
	s_or_b64 exec, exec, s[44:45]
	s_and_saveexec_b64 s[44:45], s[10:11]
	s_cbranch_execnz .LBB209_53
.LBB209_69:                             ;   in Loop: Header=BB209_48 Depth=1
	s_or_b64 exec, exec, s[44:45]
	s_and_saveexec_b64 s[44:45], s[12:13]
	s_cbranch_execz .LBB209_54
.LBB209_70:                             ;   in Loop: Header=BB209_48 Depth=1
	ds_read_b32 v11, v6 offset:24596
	s_waitcnt lgkmcnt(0)
	v_add_u32_e32 v10, v11, v10
	s_or_b64 exec, exec, s[44:45]
	s_and_saveexec_b64 s[44:45], s[14:15]
	s_cbranch_execnz .LBB209_55
.LBB209_71:                             ;   in Loop: Header=BB209_48 Depth=1
	s_or_b64 exec, exec, s[44:45]
	s_and_saveexec_b64 s[44:45], s[16:17]
	s_cbranch_execz .LBB209_56
.LBB209_72:                             ;   in Loop: Header=BB209_48 Depth=1
	ds_read_b32 v11, v6 offset:24604
	s_waitcnt lgkmcnt(0)
	v_add_u32_e32 v10, v11, v10
	s_or_b64 exec, exec, s[44:45]
	s_and_saveexec_b64 s[44:45], s[18:19]
	s_cbranch_execnz .LBB209_57
.LBB209_73:                             ;   in Loop: Header=BB209_48 Depth=1
	s_or_b64 exec, exec, s[44:45]
	s_and_saveexec_b64 s[44:45], s[20:21]
	s_cbranch_execz .LBB209_58
.LBB209_74:                             ;   in Loop: Header=BB209_48 Depth=1
	ds_read_b32 v11, v6 offset:24612
	s_waitcnt lgkmcnt(0)
	v_add_u32_e32 v10, v11, v10
	s_or_b64 exec, exec, s[44:45]
	s_and_saveexec_b64 s[44:45], s[22:23]
	s_cbranch_execnz .LBB209_59
.LBB209_75:                             ;   in Loop: Header=BB209_48 Depth=1
	s_or_b64 exec, exec, s[44:45]
	s_and_saveexec_b64 s[44:45], s[24:25]
	s_cbranch_execz .LBB209_60
.LBB209_76:                             ;   in Loop: Header=BB209_48 Depth=1
	ds_read_b32 v11, v6 offset:24620
	s_waitcnt lgkmcnt(0)
	v_add_u32_e32 v10, v11, v10
	s_or_b64 exec, exec, s[44:45]
	s_and_saveexec_b64 s[44:45], s[26:27]
	s_cbranch_execnz .LBB209_61
.LBB209_77:                             ;   in Loop: Header=BB209_48 Depth=1
	s_or_b64 exec, exec, s[44:45]
	s_and_saveexec_b64 s[44:45], s[28:29]
	s_cbranch_execz .LBB209_62
.LBB209_78:                             ;   in Loop: Header=BB209_48 Depth=1
	ds_read_b32 v11, v6 offset:24628
	s_waitcnt lgkmcnt(0)
	v_add_u32_e32 v10, v11, v10
	s_or_b64 exec, exec, s[44:45]
	s_and_saveexec_b64 s[44:45], s[30:31]
	s_cbranch_execnz .LBB209_63
.LBB209_79:                             ;   in Loop: Header=BB209_48 Depth=1
	s_or_b64 exec, exec, s[44:45]
	s_and_saveexec_b64 s[44:45], vcc
	s_cbranch_execz .LBB209_64
.LBB209_80:                             ;   in Loop: Header=BB209_48 Depth=1
	v_add3_u32 v11, v8, -1, v10
	v_add_u32_e32 v14, v8, v10
	v_lshl_add_u32 v11, v11, 2, 0
	v_lshl_add_u32 v14, v14, 3, 0
	v_add_u32_e32 v14, 0x1ff8, v14
	ds_write_b32 v11, v9
	ds_write2_b32 v14, v4, v5 offset1:1
	s_or_b64 exec, exec, s[44:45]
	s_and_saveexec_b64 s[44:45], s[0:1]
	s_cbranch_execz .LBB209_47
.LBB209_81:                             ;   in Loop: Header=BB209_48 Depth=1
	ds_write_b32 v6, v10 offset:24636
	s_branch .LBB209_47
.LBB209_82:
	s_or_b64 exec, exec, s[36:37]
	s_ashr_i32 s43, s42, 31
	s_lshl_b64 s[0:1], s[42:43], 3
	s_add_u32 s4, s40, s0
	s_addc_u32 s5, s41, s1
	s_load_dwordx4 s[0:3], s[4:5], 0x0
	s_waitcnt lgkmcnt(0)
	s_sub_i32 s8, s2, s0
	v_cmp_gt_i32_e32 vcc, s8, v0
	s_and_saveexec_b64 s[4:5], vcc
	s_cbranch_execz .LBB209_92
; %bb.83:
	s_sub_u32 s4, s0, s38
	s_subb_u32 s5, s1, 0
	s_and_b32 s10, s8, 7
	s_sub_i32 s0, s0, s2
	s_cmp_lt_u32 s0, -7
	s_cselect_b64 s[0:1], -1, 0
	s_and_b32 s11, s8, -8
	s_cmp_lg_u32 s10, 0
	v_cndmask_b32_e64 v1, 0, 1, s[0:1]
	s_cselect_b64 s[2:3], -1, 0
	v_cmp_ne_u32_e64 s[0:1], 1, v1
	v_cndmask_b32_e64 v1, 0, 1, s[2:3]
	s_mov_b32 s9, 0
	s_mov_b64 s[6:7], 0
	s_movk_i32 s12, 0x2000
	v_cmp_ne_u32_e64 s[2:3], 1, v1
	s_branch .LBB209_85
.LBB209_84:                             ;   in Loop: Header=BB209_85 Depth=1
	v_add_u32_e32 v0, 0x400, v0
	v_cmp_le_i32_e32 vcc, s8, v0
	v_lshl_add_u64 v[4:5], v[4:5], 3, s[34:35]
	s_or_b64 s[6:7], vcc, s[6:7]
	s_waitcnt lgkmcnt(0)
	global_store_dwordx2 v[4:5], v[2:3], off
	s_andn2_b64 exec, exec, s[6:7]
	s_cbranch_execz .LBB209_92
.LBB209_85:                             ; =>This Loop Header: Depth=1
                                        ;     Child Loop BB209_87 Depth 2
                                        ;     Child Loop BB209_91 Depth 2
	v_lshlrev_b32_e32 v1, 2, v0
	v_add_u32_e32 v2, 0, v1
	v_add3_u32 v3, v2, v1, s12
	ds_read_b32 v1, v2
	ds_read2_b32 v[2:3], v3 offset1:1
	s_and_b64 vcc, exec, s[0:1]
	v_mov_b64_e32 v[4:5], s[4:5]
	s_mov_b32 s13, 0
	s_cbranch_vccnz .LBB209_89
; %bb.86:                               ;   in Loop: Header=BB209_85 Depth=1
	s_mov_b32 s14, 0
	v_mov_b64_e32 v[4:5], s[4:5]
.LBB209_87:                             ;   Parent Loop BB209_85 Depth=1
                                        ; =>  This Inner Loop Header: Depth=2
	v_mov_b32_e32 v6, s14
	ds_read2_b32 v[22:23], v6 offset1:1
	ds_read2_b32 v[24:25], v6 offset0:2 offset1:3
	ds_read2_b32 v[26:27], v6 offset0:4 offset1:5
	;; [unrolled: 1-line block ×3, first 2 shown]
	v_mov_b32_e32 v7, s9
	s_waitcnt lgkmcnt(3)
	v_cmp_gt_i32_e32 vcc, v1, v22
	v_mov_b32_e32 v9, s9
	v_mov_b32_e32 v11, s9
	v_cndmask_b32_e64 v6, 0, 1, vcc
	v_cmp_gt_i32_e32 vcc, v1, v23
	v_lshl_add_u64 v[4:5], v[4:5], 0, v[6:7]
	v_mov_b32_e32 v13, s9
	v_cndmask_b32_e64 v8, 0, 1, vcc
	s_waitcnt lgkmcnt(2)
	v_cmp_gt_i32_e32 vcc, v1, v24
	v_lshl_add_u64 v[4:5], v[4:5], 0, v[8:9]
	v_mov_b32_e32 v15, s9
	v_cndmask_b32_e64 v10, 0, 1, vcc
	v_cmp_gt_i32_e32 vcc, v1, v25
	v_lshl_add_u64 v[4:5], v[4:5], 0, v[10:11]
	v_mov_b32_e32 v17, s9
	v_cndmask_b32_e64 v12, 0, 1, vcc
	s_waitcnt lgkmcnt(1)
	v_cmp_gt_i32_e32 vcc, v1, v26
	v_lshl_add_u64 v[4:5], v[4:5], 0, v[12:13]
	;; [unrolled: 9-line block ×3, first 2 shown]
	s_add_i32 s13, s13, 8
	v_cndmask_b32_e64 v18, 0, 1, vcc
	v_cmp_gt_i32_e32 vcc, v1, v29
	s_add_i32 s14, s14, 32
	v_lshl_add_u64 v[4:5], v[4:5], 0, v[18:19]
	v_cndmask_b32_e64 v20, 0, 1, vcc
	s_cmp_eq_u32 s11, s13
	v_lshl_add_u64 v[4:5], v[4:5], 0, v[20:21]
	s_cbranch_scc0 .LBB209_87
; %bb.88:                               ;   in Loop: Header=BB209_85 Depth=1
	s_mov_b32 s13, s11
.LBB209_89:                             ;   in Loop: Header=BB209_85 Depth=1
	s_and_b64 vcc, exec, s[2:3]
	s_cbranch_vccnz .LBB209_84
; %bb.90:                               ;   in Loop: Header=BB209_85 Depth=1
	s_lshl_b32 s13, s13, 2
	s_add_i32 s13, s13, 0
	s_mov_b32 s14, s10
.LBB209_91:                             ;   Parent Loop BB209_85 Depth=1
                                        ; =>  This Inner Loop Header: Depth=2
	v_mov_b32_e32 v6, s13
	ds_read_b32 v6, v6
	v_mov_b32_e32 v7, s9
	s_add_i32 s13, s13, 4
	s_add_i32 s14, s14, -1
	s_cmp_lg_u32 s14, 0
	s_waitcnt lgkmcnt(0)
	v_cmp_gt_i32_e32 vcc, v1, v6
	s_nop 1
	v_cndmask_b32_e64 v6, 0, 1, vcc
	v_lshl_add_u64 v[4:5], v[4:5], 0, v[6:7]
	s_cbranch_scc1 .LBB209_91
	s_branch .LBB209_84
.LBB209_92:
	s_endpgm
	.section	.rodata,"a",@progbits
	.p2align	6, 0x0
	.amdhsa_kernel _ZN9rocsparseL41csrgemm_numeric_fill_block_per_row_kernelILj1024ELj32ELj2048ELj137ELj64Eli21rocsparse_complex_numIfEEEvT5_PKS3_S5_NS_24const_host_device_scalarIT6_EEPKT4_S5_PKS7_SB_S5_SD_S8_SB_S5_SD_SB_S5_PS7_21rocsparse_index_base_SF_SF_SF_bbb
		.amdhsa_group_segment_fixed_size 0
		.amdhsa_private_segment_fixed_size 0
		.amdhsa_kernarg_size 156
		.amdhsa_user_sgpr_count 2
		.amdhsa_user_sgpr_dispatch_ptr 0
		.amdhsa_user_sgpr_queue_ptr 0
		.amdhsa_user_sgpr_kernarg_segment_ptr 1
		.amdhsa_user_sgpr_dispatch_id 0
		.amdhsa_user_sgpr_kernarg_preload_length 0
		.amdhsa_user_sgpr_kernarg_preload_offset 0
		.amdhsa_user_sgpr_private_segment_size 0
		.amdhsa_uses_dynamic_stack 0
		.amdhsa_enable_private_segment 0
		.amdhsa_system_sgpr_workgroup_id_x 1
		.amdhsa_system_sgpr_workgroup_id_y 0
		.amdhsa_system_sgpr_workgroup_id_z 0
		.amdhsa_system_sgpr_workgroup_info 0
		.amdhsa_system_vgpr_workitem_id 0
		.amdhsa_next_free_vgpr 30
		.amdhsa_next_free_sgpr 55
		.amdhsa_accum_offset 32
		.amdhsa_reserve_vcc 1
		.amdhsa_float_round_mode_32 0
		.amdhsa_float_round_mode_16_64 0
		.amdhsa_float_denorm_mode_32 3
		.amdhsa_float_denorm_mode_16_64 3
		.amdhsa_dx10_clamp 1
		.amdhsa_ieee_mode 1
		.amdhsa_fp16_overflow 0
		.amdhsa_tg_split 0
		.amdhsa_exception_fp_ieee_invalid_op 0
		.amdhsa_exception_fp_denorm_src 0
		.amdhsa_exception_fp_ieee_div_zero 0
		.amdhsa_exception_fp_ieee_overflow 0
		.amdhsa_exception_fp_ieee_underflow 0
		.amdhsa_exception_fp_ieee_inexact 0
		.amdhsa_exception_int_div_zero 0
	.end_amdhsa_kernel
	.section	.text._ZN9rocsparseL41csrgemm_numeric_fill_block_per_row_kernelILj1024ELj32ELj2048ELj137ELj64Eli21rocsparse_complex_numIfEEEvT5_PKS3_S5_NS_24const_host_device_scalarIT6_EEPKT4_S5_PKS7_SB_S5_SD_S8_SB_S5_SD_SB_S5_PS7_21rocsparse_index_base_SF_SF_SF_bbb,"axG",@progbits,_ZN9rocsparseL41csrgemm_numeric_fill_block_per_row_kernelILj1024ELj32ELj2048ELj137ELj64Eli21rocsparse_complex_numIfEEEvT5_PKS3_S5_NS_24const_host_device_scalarIT6_EEPKT4_S5_PKS7_SB_S5_SD_S8_SB_S5_SD_SB_S5_PS7_21rocsparse_index_base_SF_SF_SF_bbb,comdat
.Lfunc_end209:
	.size	_ZN9rocsparseL41csrgemm_numeric_fill_block_per_row_kernelILj1024ELj32ELj2048ELj137ELj64Eli21rocsparse_complex_numIfEEEvT5_PKS3_S5_NS_24const_host_device_scalarIT6_EEPKT4_S5_PKS7_SB_S5_SD_S8_SB_S5_SD_SB_S5_PS7_21rocsparse_index_base_SF_SF_SF_bbb, .Lfunc_end209-_ZN9rocsparseL41csrgemm_numeric_fill_block_per_row_kernelILj1024ELj32ELj2048ELj137ELj64Eli21rocsparse_complex_numIfEEEvT5_PKS3_S5_NS_24const_host_device_scalarIT6_EEPKT4_S5_PKS7_SB_S5_SD_S8_SB_S5_SD_SB_S5_PS7_21rocsparse_index_base_SF_SF_SF_bbb
                                        ; -- End function
	.set _ZN9rocsparseL41csrgemm_numeric_fill_block_per_row_kernelILj1024ELj32ELj2048ELj137ELj64Eli21rocsparse_complex_numIfEEEvT5_PKS3_S5_NS_24const_host_device_scalarIT6_EEPKT4_S5_PKS7_SB_S5_SD_S8_SB_S5_SD_SB_S5_PS7_21rocsparse_index_base_SF_SF_SF_bbb.num_vgpr, 30
	.set _ZN9rocsparseL41csrgemm_numeric_fill_block_per_row_kernelILj1024ELj32ELj2048ELj137ELj64Eli21rocsparse_complex_numIfEEEvT5_PKS3_S5_NS_24const_host_device_scalarIT6_EEPKT4_S5_PKS7_SB_S5_SD_S8_SB_S5_SD_SB_S5_PS7_21rocsparse_index_base_SF_SF_SF_bbb.num_agpr, 0
	.set _ZN9rocsparseL41csrgemm_numeric_fill_block_per_row_kernelILj1024ELj32ELj2048ELj137ELj64Eli21rocsparse_complex_numIfEEEvT5_PKS3_S5_NS_24const_host_device_scalarIT6_EEPKT4_S5_PKS7_SB_S5_SD_S8_SB_S5_SD_SB_S5_PS7_21rocsparse_index_base_SF_SF_SF_bbb.numbered_sgpr, 55
	.set _ZN9rocsparseL41csrgemm_numeric_fill_block_per_row_kernelILj1024ELj32ELj2048ELj137ELj64Eli21rocsparse_complex_numIfEEEvT5_PKS3_S5_NS_24const_host_device_scalarIT6_EEPKT4_S5_PKS7_SB_S5_SD_S8_SB_S5_SD_SB_S5_PS7_21rocsparse_index_base_SF_SF_SF_bbb.num_named_barrier, 0
	.set _ZN9rocsparseL41csrgemm_numeric_fill_block_per_row_kernelILj1024ELj32ELj2048ELj137ELj64Eli21rocsparse_complex_numIfEEEvT5_PKS3_S5_NS_24const_host_device_scalarIT6_EEPKT4_S5_PKS7_SB_S5_SD_S8_SB_S5_SD_SB_S5_PS7_21rocsparse_index_base_SF_SF_SF_bbb.private_seg_size, 0
	.set _ZN9rocsparseL41csrgemm_numeric_fill_block_per_row_kernelILj1024ELj32ELj2048ELj137ELj64Eli21rocsparse_complex_numIfEEEvT5_PKS3_S5_NS_24const_host_device_scalarIT6_EEPKT4_S5_PKS7_SB_S5_SD_S8_SB_S5_SD_SB_S5_PS7_21rocsparse_index_base_SF_SF_SF_bbb.uses_vcc, 1
	.set _ZN9rocsparseL41csrgemm_numeric_fill_block_per_row_kernelILj1024ELj32ELj2048ELj137ELj64Eli21rocsparse_complex_numIfEEEvT5_PKS3_S5_NS_24const_host_device_scalarIT6_EEPKT4_S5_PKS7_SB_S5_SD_S8_SB_S5_SD_SB_S5_PS7_21rocsparse_index_base_SF_SF_SF_bbb.uses_flat_scratch, 0
	.set _ZN9rocsparseL41csrgemm_numeric_fill_block_per_row_kernelILj1024ELj32ELj2048ELj137ELj64Eli21rocsparse_complex_numIfEEEvT5_PKS3_S5_NS_24const_host_device_scalarIT6_EEPKT4_S5_PKS7_SB_S5_SD_S8_SB_S5_SD_SB_S5_PS7_21rocsparse_index_base_SF_SF_SF_bbb.has_dyn_sized_stack, 0
	.set _ZN9rocsparseL41csrgemm_numeric_fill_block_per_row_kernelILj1024ELj32ELj2048ELj137ELj64Eli21rocsparse_complex_numIfEEEvT5_PKS3_S5_NS_24const_host_device_scalarIT6_EEPKT4_S5_PKS7_SB_S5_SD_S8_SB_S5_SD_SB_S5_PS7_21rocsparse_index_base_SF_SF_SF_bbb.has_recursion, 0
	.set _ZN9rocsparseL41csrgemm_numeric_fill_block_per_row_kernelILj1024ELj32ELj2048ELj137ELj64Eli21rocsparse_complex_numIfEEEvT5_PKS3_S5_NS_24const_host_device_scalarIT6_EEPKT4_S5_PKS7_SB_S5_SD_S8_SB_S5_SD_SB_S5_PS7_21rocsparse_index_base_SF_SF_SF_bbb.has_indirect_call, 0
	.section	.AMDGPU.csdata,"",@progbits
; Kernel info:
; codeLenInByte = 3164
; TotalNumSgprs: 61
; NumVgprs: 30
; NumAgprs: 0
; TotalNumVgprs: 30
; ScratchSize: 0
; MemoryBound: 0
; FloatMode: 240
; IeeeMode: 1
; LDSByteSize: 0 bytes/workgroup (compile time only)
; SGPRBlocks: 7
; VGPRBlocks: 3
; NumSGPRsForWavesPerEU: 61
; NumVGPRsForWavesPerEU: 30
; AccumOffset: 32
; Occupancy: 8
; WaveLimiterHint : 1
; COMPUTE_PGM_RSRC2:SCRATCH_EN: 0
; COMPUTE_PGM_RSRC2:USER_SGPR: 2
; COMPUTE_PGM_RSRC2:TRAP_HANDLER: 0
; COMPUTE_PGM_RSRC2:TGID_X_EN: 1
; COMPUTE_PGM_RSRC2:TGID_Y_EN: 0
; COMPUTE_PGM_RSRC2:TGID_Z_EN: 0
; COMPUTE_PGM_RSRC2:TIDIG_COMP_CNT: 0
; COMPUTE_PGM_RSRC3_GFX90A:ACCUM_OFFSET: 7
; COMPUTE_PGM_RSRC3_GFX90A:TG_SPLIT: 0
	.section	.text._ZN9rocsparseL41csrgemm_numeric_fill_block_per_row_kernelILj1024ELj64ELj4096ELj137ELj32Eli21rocsparse_complex_numIfEEEvT5_PKS3_S5_NS_24const_host_device_scalarIT6_EEPKT4_S5_PKS7_SB_S5_SD_S8_SB_S5_SD_SB_S5_PS7_21rocsparse_index_base_SF_SF_SF_bbb,"axG",@progbits,_ZN9rocsparseL41csrgemm_numeric_fill_block_per_row_kernelILj1024ELj64ELj4096ELj137ELj32Eli21rocsparse_complex_numIfEEEvT5_PKS3_S5_NS_24const_host_device_scalarIT6_EEPKT4_S5_PKS7_SB_S5_SD_S8_SB_S5_SD_SB_S5_PS7_21rocsparse_index_base_SF_SF_SF_bbb,comdat
	.globl	_ZN9rocsparseL41csrgemm_numeric_fill_block_per_row_kernelILj1024ELj64ELj4096ELj137ELj32Eli21rocsparse_complex_numIfEEEvT5_PKS3_S5_NS_24const_host_device_scalarIT6_EEPKT4_S5_PKS7_SB_S5_SD_S8_SB_S5_SD_SB_S5_PS7_21rocsparse_index_base_SF_SF_SF_bbb ; -- Begin function _ZN9rocsparseL41csrgemm_numeric_fill_block_per_row_kernelILj1024ELj64ELj4096ELj137ELj32Eli21rocsparse_complex_numIfEEEvT5_PKS3_S5_NS_24const_host_device_scalarIT6_EEPKT4_S5_PKS7_SB_S5_SD_S8_SB_S5_SD_SB_S5_PS7_21rocsparse_index_base_SF_SF_SF_bbb
	.p2align	8
	.type	_ZN9rocsparseL41csrgemm_numeric_fill_block_per_row_kernelILj1024ELj64ELj4096ELj137ELj32Eli21rocsparse_complex_numIfEEEvT5_PKS3_S5_NS_24const_host_device_scalarIT6_EEPKT4_S5_PKS7_SB_S5_SD_S8_SB_S5_SD_SB_S5_PS7_21rocsparse_index_base_SF_SF_SF_bbb,@function
_ZN9rocsparseL41csrgemm_numeric_fill_block_per_row_kernelILj1024ELj64ELj4096ELj137ELj32Eli21rocsparse_complex_numIfEEEvT5_PKS3_S5_NS_24const_host_device_scalarIT6_EEPKT4_S5_PKS7_SB_S5_SD_S8_SB_S5_SD_SB_S5_PS7_21rocsparse_index_base_SF_SF_SF_bbb: ; @_ZN9rocsparseL41csrgemm_numeric_fill_block_per_row_kernelILj1024ELj64ELj4096ELj137ELj32Eli21rocsparse_complex_numIfEEEvT5_PKS3_S5_NS_24const_host_device_scalarIT6_EEPKT4_S5_PKS7_SB_S5_SD_S8_SB_S5_SD_SB_S5_PS7_21rocsparse_index_base_SF_SF_SF_bbb
; %bb.0:
	s_load_dwordx2 s[70:71], s[0:1], 0x70
	s_load_dwordx4 s[24:27], s[0:1], 0x60
	s_load_dwordx8 s[8:15], s[0:1], 0x40
	s_load_dword s3, s[0:1], 0x98
	s_load_dwordx4 s[28:31], s[0:1], 0x8
	s_load_dwordx8 s[16:23], s[0:1], 0x20
	s_load_dwordx2 s[68:69], s[0:1], 0x80
	s_load_dwordx4 s[64:67], s[0:1], 0x88
	s_waitcnt lgkmcnt(0)
	s_bitcmp1_b32 s3, 0
	s_cselect_b64 s[36:37], -1, 0
	s_bitcmp1_b32 s3, 16
	s_cselect_b64 s[4:5], -1, 0
	s_xor_b64 s[4:5], s[4:5], -1
	v_cndmask_b32_e64 v1, 0, 1, s[4:5]
	s_mov_b32 s7, 0
	s_bitcmp0_b32 s3, 0
	v_cmp_ne_u32_e64 s[4:5], 1, v1
	s_mov_b32 s44, 0
	s_cbranch_scc1 .LBB210_5
; %bb.1:
	s_load_dwordx2 s[6:7], s[0:1], 0x18
	s_and_b64 vcc, exec, s[4:5]
	s_waitcnt lgkmcnt(0)
	s_mov_b32 s44, s6
	s_cbranch_vccnz .LBB210_3
; %bb.2:
	s_load_dword s44, s[6:7], 0x0
.LBB210_3:
	s_and_b64 vcc, exec, s[4:5]
	s_cbranch_vccnz .LBB210_5
; %bb.4:
	s_load_dword s7, s[6:7], 0x4
.LBB210_5:
	s_bitcmp1_b32 s3, 8
	s_cselect_b64 s[34:35], -1, 0
	s_bfe_u32 s3, s3, 0x10008
	s_mov_b32 s42, 0
	s_cmp_eq_u32 s3, 0
	s_mov_b32 s43, 0
	s_cbranch_scc1 .LBB210_11
; %bb.6:
	s_and_b64 vcc, exec, s[4:5]
	s_mov_b32 s42, s12
	s_cbranch_vccnz .LBB210_8
; %bb.7:
	s_load_dword s42, s[12:13], 0x0
.LBB210_8:
	s_and_b64 vcc, exec, s[4:5]
	s_cbranch_vccnz .LBB210_10
; %bb.9:
	s_load_dword s13, s[12:13], 0x4
.LBB210_10:
	s_waitcnt lgkmcnt(0)
	s_mov_b32 s43, s13
.LBB210_11:
	s_load_dword s33, s[0:1], 0x0
	v_lshl_add_u32 v1, v0, 3, 0
	v_add_u32_e32 v1, 0x4000, v1
	v_or_b32_e32 v12, 0xfffffc00, v0
	v_lshl_add_u32 v13, v0, 2, 0
	s_mov_b64 s[0:1], 0
	s_waitcnt lgkmcnt(0)
	v_mov_b32_e32 v6, s33
	v_mov_b32_e32 v2, 0
	s_movk_i32 s3, 0xbff
	v_mov_b32_e32 v3, v13
	v_mov_b32_e32 v4, v12
	;; [unrolled: 1-line block ×3, first 2 shown]
.LBB210_12:                             ; =>This Inner Loop Header: Depth=1
	v_add_u32_e32 v4, 0x400, v4
	v_cmp_lt_u32_e32 vcc, s3, v4
	ds_write_b32 v3, v6
	ds_write2_b32 v5, v2, v2 offset1:1
	v_add_u32_e32 v5, 0x2000, v5
	s_or_b64 s[0:1], vcc, s[0:1]
	v_add_u32_e32 v3, 0x1000, v3
	s_andn2_b64 exec, exec, s[0:1]
	s_cbranch_execnz .LBB210_12
; %bb.13:
	s_or_b64 exec, exec, s[0:1]
	s_waitcnt lgkmcnt(0)
	s_barrier
	s_load_dword s0, s[28:29], 0x0
	s_mov_b32 s1, 0
	s_waitcnt lgkmcnt(0)
	s_add_i32 s0, s0, s2
	s_lshl_b64 s[0:1], s[0:1], 2
	s_add_u32 s0, s30, s0
	s_addc_u32 s1, s31, s1
	s_load_dword s72, s[0:1], 0x0
	s_and_b64 vcc, exec, s[36:37]
	s_cbranch_vccz .LBB210_31
; %bb.14:
	s_waitcnt lgkmcnt(0)
	s_ashr_i32 s73, s72, 31
	s_lshl_b64 s[0:1], s[72:73], 3
	s_add_u32 s0, s16, s0
	s_addc_u32 s1, s17, s1
	s_load_dwordx4 s[28:31], s[0:1], 0x0
	v_lshrrev_b32_e32 v2, 6, v0
	v_subrev_co_u32_e32 v2, vcc, s64, v2
	s_waitcnt lgkmcnt(0)
	s_sub_u32 s0, s30, s64
	v_subb_co_u32_e64 v3, s[2:3], 0, 0, vcc
	s_subb_u32 s1, s31, 0
	v_lshl_add_u64 v[2:3], s[28:29], 0, v[2:3]
	v_cmp_gt_i64_e32 vcc, s[0:1], v[2:3]
	s_and_saveexec_b64 s[2:3], vcc
	s_cbranch_execz .LBB210_30
; %bb.15:
	v_and_b32_e32 v4, 63, v0
	v_subrev_co_u32_e32 v4, vcc, s65, v4
	s_mov_b32 s6, s65
	s_nop 0
	v_subb_co_u32_e64 v5, s[4:5], 0, 0, vcc
	s_mov_b64 s[4:5], 0
	s_movk_i32 s45, 0x89
	s_branch .LBB210_17
.LBB210_16:                             ;   in Loop: Header=BB210_17 Depth=1
	s_or_b64 exec, exec, s[12:13]
	v_lshl_add_u64 v[2:3], v[2:3], 0, 16
	v_cmp_le_i64_e32 vcc, s[0:1], v[2:3]
	s_or_b64 s[4:5], vcc, s[4:5]
	s_andn2_b64 exec, exec, s[4:5]
	s_cbranch_execz .LBB210_30
.LBB210_17:                             ; =>This Loop Header: Depth=1
                                        ;     Child Loop BB210_21 Depth 2
                                        ;       Child Loop BB210_24 Depth 3
	v_lshl_add_u64 v[6:7], v[2:3], 2, s[18:19]
	global_load_dword v6, v[6:7], off
	s_waitcnt vmcnt(0)
	v_subrev_u32_e32 v6, s64, v6
	v_ashrrev_i32_e32 v7, 31, v6
	v_lshl_add_u64 v[6:7], v[6:7], 3, s[22:23]
	global_load_dwordx4 v[8:11], v[6:7], off
	s_waitcnt vmcnt(0)
	v_subrev_co_u32_e32 v6, vcc, s6, v10
	s_nop 1
	v_subbrev_co_u32_e32 v7, vcc, 0, v11, vcc
	v_lshl_add_u64 v[8:9], v[8:9], 0, v[4:5]
	v_cmp_lt_i64_e32 vcc, v[8:9], v[6:7]
	s_and_saveexec_b64 s[12:13], vcc
	s_cbranch_execz .LBB210_16
; %bb.18:                               ;   in Loop: Header=BB210_17 Depth=1
	v_lshl_add_u64 v[10:11], v[2:3], 3, s[20:21]
	global_load_dwordx2 v[10:11], v[10:11], off
	s_mov_b64 s[16:17], 0
	s_waitcnt vmcnt(0)
	v_mul_f32_e64 v14, v11, -s7
	v_mul_f32_e32 v15, s44, v11
	v_fmac_f32_e32 v14, s44, v10
	v_fmac_f32_e32 v15, s7, v10
	s_branch .LBB210_21
.LBB210_19:                             ;   in Loop: Header=BB210_21 Depth=2
	s_or_b64 exec, exec, s[30:31]
.LBB210_20:                             ;   in Loop: Header=BB210_21 Depth=2
	s_or_b64 exec, exec, s[28:29]
	s_waitcnt vmcnt(0)
	v_mul_f32_e64 v17, v11, -v15
	v_mul_f32_e32 v11, v14, v11
	v_fmac_f32_e32 v17, v14, v10
	v_fmac_f32_e32 v11, v15, v10
	v_lshl_add_u32 v10, v16, 3, 0
	ds_add_f32 v10, v17 offset:16384
	ds_add_f32 v10, v11 offset:16388
	v_lshl_add_u64 v[8:9], v[8:9], 0, 64
	v_cmp_ge_i64_e32 vcc, v[8:9], v[6:7]
	s_or_b64 s[16:17], vcc, s[16:17]
	s_andn2_b64 exec, exec, s[16:17]
	s_cbranch_execz .LBB210_16
.LBB210_21:                             ;   Parent Loop BB210_17 Depth=1
                                        ; =>  This Loop Header: Depth=2
                                        ;       Child Loop BB210_24 Depth 3
	v_lshl_add_u64 v[10:11], v[8:9], 2, s[8:9]
	global_load_dword v16, v[10:11], off
	v_lshl_add_u64 v[10:11], v[8:9], 3, s[10:11]
	global_load_dwordx2 v[10:11], v[10:11], off
	s_waitcnt vmcnt(1)
	v_subrev_u32_e32 v17, s65, v16
	v_mul_lo_u32 v16, v17, s45
	v_and_b32_e32 v16, 0xfff, v16
	v_lshl_add_u32 v18, v16, 2, 0
	ds_read_b32 v19, v18
	s_waitcnt lgkmcnt(0)
	v_cmp_ne_u32_e32 vcc, v19, v17
	s_and_saveexec_b64 s[28:29], vcc
	s_cbranch_execz .LBB210_20
; %bb.22:                               ;   in Loop: Header=BB210_21 Depth=2
	s_mov_b64 s[30:31], 0
	s_branch .LBB210_24
.LBB210_23:                             ;   in Loop: Header=BB210_24 Depth=3
	s_or_b64 exec, exec, s[40:41]
	s_and_b64 s[36:37], exec, s[38:39]
	s_or_b64 s[30:31], s[36:37], s[30:31]
	s_andn2_b64 exec, exec, s[30:31]
	s_cbranch_execz .LBB210_19
.LBB210_24:                             ;   Parent Loop BB210_17 Depth=1
                                        ;     Parent Loop BB210_21 Depth=2
                                        ; =>    This Inner Loop Header: Depth=3
	v_cmp_ne_u32_e32 vcc, s33, v19
	s_mov_b64 s[36:37], 0
	s_and_saveexec_b64 s[38:39], vcc
	s_xor_b64 s[38:39], exec, s[38:39]
	s_cbranch_execz .LBB210_26
; %bb.25:                               ;   in Loop: Header=BB210_24 Depth=3
	v_add_u32_e32 v16, 1, v16
	s_mov_b64 s[36:37], exec
	v_and_b32_e32 v16, 0xfff, v16
                                        ; implicit-def: $vgpr18
	s_andn2_saveexec_b64 s[38:39], s[38:39]
	s_cbranch_execz .LBB210_28
	s_branch .LBB210_27
.LBB210_26:                             ;   in Loop: Header=BB210_24 Depth=3
	s_andn2_saveexec_b64 s[38:39], s[38:39]
	s_cbranch_execz .LBB210_28
.LBB210_27:                             ;   in Loop: Header=BB210_24 Depth=3
	v_mov_b32_e32 v19, s33
	ds_cmpst_rtn_b32 v18, v18, v19, v17
	s_andn2_b64 s[36:37], s[36:37], exec
	s_waitcnt lgkmcnt(0)
	v_cmp_ne_u32_e32 vcc, s33, v18
	s_and_b64 s[40:41], vcc, exec
	s_or_b64 s[36:37], s[36:37], s[40:41]
.LBB210_28:                             ;   in Loop: Header=BB210_24 Depth=3
	s_or_b64 exec, exec, s[38:39]
	s_mov_b64 s[38:39], -1
                                        ; implicit-def: $vgpr18
                                        ; implicit-def: $vgpr19
	s_and_saveexec_b64 s[40:41], s[36:37]
	s_cbranch_execz .LBB210_23
; %bb.29:                               ;   in Loop: Header=BB210_24 Depth=3
	v_lshl_add_u32 v18, v16, 2, 0
	ds_read_b32 v19, v18
	s_waitcnt lgkmcnt(0)
	v_cmp_eq_u32_e32 vcc, v19, v17
	s_orn2_b64 s[38:39], vcc, exec
	s_branch .LBB210_23
.LBB210_30:
	s_or_b64 exec, exec, s[2:3]
.LBB210_31:
	s_andn2_b64 vcc, exec, s[34:35]
	s_cbranch_vccnz .LBB210_46
; %bb.32:
	s_waitcnt lgkmcnt(0)
	s_ashr_i32 s73, s72, 31
	s_lshl_b64 s[0:1], s[72:73], 3
	s_add_u32 s0, s14, s0
	s_addc_u32 s1, s15, s1
	s_load_dwordx4 s[4:7], s[0:1], 0x0
	v_subrev_co_u32_e32 v2, vcc, s67, v0
	s_nop 1
	v_subb_co_u32_e64 v3, s[0:1], 0, 0, vcc
	s_waitcnt lgkmcnt(0)
	s_sub_u32 s0, s6, s67
	s_subb_u32 s1, s7, 0
	v_lshl_add_u64 v[2:3], s[4:5], 0, v[2:3]
	v_cmp_gt_i64_e32 vcc, s[0:1], v[2:3]
	s_and_saveexec_b64 s[2:3], vcc
	s_cbranch_execz .LBB210_45
; %bb.33:
	s_mov_b64 s[4:5], 0
	s_movk_i32 s18, 0x89
	s_mov_b64 s[6:7], 0x400
	s_branch .LBB210_36
.LBB210_34:                             ;   in Loop: Header=BB210_36 Depth=1
	s_or_b64 exec, exec, s[10:11]
.LBB210_35:                             ;   in Loop: Header=BB210_36 Depth=1
	s_or_b64 exec, exec, s[8:9]
	s_waitcnt vmcnt(0)
	v_mul_f32_e64 v7, v5, -s43
	v_mul_f32_e32 v5, s42, v5
	v_fmac_f32_e32 v7, s42, v4
	v_fmac_f32_e32 v5, s43, v4
	v_lshl_add_u32 v4, v6, 3, 0
	ds_add_f32 v4, v7 offset:16384
	ds_add_f32 v4, v5 offset:16388
	v_lshl_add_u64 v[2:3], v[2:3], 0, s[6:7]
	v_cmp_le_i64_e32 vcc, s[0:1], v[2:3]
	s_or_b64 s[4:5], vcc, s[4:5]
	s_andn2_b64 exec, exec, s[4:5]
	s_cbranch_execz .LBB210_45
.LBB210_36:                             ; =>This Loop Header: Depth=1
                                        ;     Child Loop BB210_39 Depth 2
	v_lshl_add_u64 v[4:5], v[2:3], 2, s[24:25]
	global_load_dword v6, v[4:5], off
	v_lshl_add_u64 v[4:5], v[2:3], 3, s[26:27]
	global_load_dwordx2 v[4:5], v[4:5], off
	s_waitcnt vmcnt(1)
	v_subrev_u32_e32 v7, s67, v6
	v_mul_lo_u32 v6, v7, s18
	v_and_b32_e32 v6, 0xfff, v6
	v_lshl_add_u32 v8, v6, 2, 0
	ds_read_b32 v9, v8
	s_waitcnt lgkmcnt(0)
	v_cmp_ne_u32_e32 vcc, v9, v7
	s_and_saveexec_b64 s[8:9], vcc
	s_cbranch_execz .LBB210_35
; %bb.37:                               ;   in Loop: Header=BB210_36 Depth=1
	s_mov_b64 s[10:11], 0
	s_branch .LBB210_39
.LBB210_38:                             ;   in Loop: Header=BB210_39 Depth=2
	s_or_b64 exec, exec, s[16:17]
	s_and_b64 s[12:13], exec, s[14:15]
	s_or_b64 s[10:11], s[12:13], s[10:11]
	s_andn2_b64 exec, exec, s[10:11]
	s_cbranch_execz .LBB210_34
.LBB210_39:                             ;   Parent Loop BB210_36 Depth=1
                                        ; =>  This Inner Loop Header: Depth=2
	v_cmp_ne_u32_e32 vcc, s33, v9
	s_mov_b64 s[12:13], 0
	s_and_saveexec_b64 s[14:15], vcc
	s_xor_b64 s[14:15], exec, s[14:15]
	s_cbranch_execz .LBB210_41
; %bb.40:                               ;   in Loop: Header=BB210_39 Depth=2
	v_add_u32_e32 v6, 1, v6
	s_mov_b64 s[12:13], exec
	v_and_b32_e32 v6, 0xfff, v6
                                        ; implicit-def: $vgpr8
	s_andn2_saveexec_b64 s[14:15], s[14:15]
	s_cbranch_execz .LBB210_43
	s_branch .LBB210_42
.LBB210_41:                             ;   in Loop: Header=BB210_39 Depth=2
	s_andn2_saveexec_b64 s[14:15], s[14:15]
	s_cbranch_execz .LBB210_43
.LBB210_42:                             ;   in Loop: Header=BB210_39 Depth=2
	v_mov_b32_e32 v9, s33
	ds_cmpst_rtn_b32 v8, v8, v9, v7
	s_andn2_b64 s[12:13], s[12:13], exec
	s_waitcnt lgkmcnt(0)
	v_cmp_ne_u32_e32 vcc, s33, v8
	s_and_b64 s[16:17], vcc, exec
	s_or_b64 s[12:13], s[12:13], s[16:17]
.LBB210_43:                             ;   in Loop: Header=BB210_39 Depth=2
	s_or_b64 exec, exec, s[14:15]
	s_mov_b64 s[14:15], -1
                                        ; implicit-def: $vgpr8
                                        ; implicit-def: $vgpr9
	s_and_saveexec_b64 s[16:17], s[12:13]
	s_cbranch_execz .LBB210_38
; %bb.44:                               ;   in Loop: Header=BB210_39 Depth=2
	v_lshl_add_u32 v8, v6, 2, 0
	ds_read_b32 v9, v8
	s_waitcnt lgkmcnt(0)
	v_cmp_eq_u32_e32 vcc, v9, v7
	s_orn2_b64 s[14:15], vcc, exec
	s_branch .LBB210_38
.LBB210_45:
	s_or_b64 exec, exec, s[2:3]
.LBB210_46:
	v_mbcnt_lo_u32_b32 v2, -1, 0
	v_mbcnt_hi_u32_b32 v2, -1, v2
	v_lshrrev_b32_e32 v4, 3, v0
	v_sub_u32_e32 v2, 63, v2
	v_and_b32_e32 v4, 0x7c, v4
	s_movk_i32 s0, 0x3ff
	s_movk_i32 s4, 0x5f
	;; [unrolled: 1-line block ×30, first 2 shown]
	v_mov_b32_e32 v6, 0
	v_lshrrev_b64 v[2:3], v2, -1
	v_add_u32_e32 v7, 0, v4
	v_cmp_eq_u32_e32 vcc, s0, v0
	v_cmp_lt_u32_e64 s[0:1], 31, v0
	v_cmp_lt_u32_e64 s[2:3], 63, v0
	;; [unrolled: 1-line block ×31, first 2 shown]
	s_mov_b64 s[74:75], 0
	s_movk_i32 s67, 0xbff
	v_mov_b32_e32 v8, 0
	s_waitcnt lgkmcnt(0)
	s_barrier
	s_branch .LBB210_48
.LBB210_47:                             ;   in Loop: Header=BB210_48 Depth=1
	s_or_b64 exec, exec, s[64:65]
	s_waitcnt lgkmcnt(0)
	s_barrier
	ds_read_b32 v4, v6 offset:49276
	v_add_u32_e32 v12, 0x400, v12
	v_cmp_lt_u32_e64 s[64:65], s67, v12
	v_add_u32_e32 v1, 0x2000, v1
	s_or_b64 s[74:75], s[64:65], s[74:75]
	s_waitcnt lgkmcnt(0)
	v_add_u32_e32 v8, v4, v8
	v_add_u32_e32 v13, 0x1000, v13
	s_andn2_b64 exec, exec, s[74:75]
	s_cbranch_execz .LBB210_114
.LBB210_48:                             ; =>This Inner Loop Header: Depth=1
	ds_read_b32 v9, v13
	ds_read2_b32 v[4:5], v1 offset1:1
	s_waitcnt lgkmcnt(0)
	s_barrier
	v_cmp_gt_i32_e64 s[64:65], s33, v9
	s_bcnt1_i32_b64 s73, s[64:65]
	s_nop 0
	v_and_b32_e32 v11, s64, v2
	v_and_b32_e32 v10, s65, v3
	v_bcnt_u32_b32 v11, v11, 0
	v_bcnt_u32_b32 v10, v10, v11
	v_mov_b32_e32 v11, s73
	ds_write_b32 v7, v11 offset:49152
	s_waitcnt lgkmcnt(0)
	s_barrier
	s_and_saveexec_b64 s[76:77], s[0:1]
	s_cbranch_execz .LBB210_81
; %bb.49:                               ;   in Loop: Header=BB210_48 Depth=1
	ds_read_b32 v11, v6 offset:49152
	s_waitcnt lgkmcnt(0)
	v_add_u32_e32 v10, v11, v10
	s_or_b64 exec, exec, s[76:77]
	s_and_saveexec_b64 s[76:77], s[2:3]
	s_cbranch_execnz .LBB210_82
.LBB210_50:                             ;   in Loop: Header=BB210_48 Depth=1
	s_or_b64 exec, exec, s[76:77]
	s_and_saveexec_b64 s[76:77], s[4:5]
	s_cbranch_execz .LBB210_83
.LBB210_51:                             ;   in Loop: Header=BB210_48 Depth=1
	ds_read_b32 v11, v6 offset:49160
	s_waitcnt lgkmcnt(0)
	v_add_u32_e32 v10, v11, v10
	s_or_b64 exec, exec, s[76:77]
	s_and_saveexec_b64 s[76:77], s[6:7]
	s_cbranch_execnz .LBB210_84
.LBB210_52:                             ;   in Loop: Header=BB210_48 Depth=1
	s_or_b64 exec, exec, s[76:77]
	s_and_saveexec_b64 s[76:77], s[8:9]
	s_cbranch_execz .LBB210_85
.LBB210_53:                             ;   in Loop: Header=BB210_48 Depth=1
	ds_read_b32 v11, v6 offset:49168
	s_waitcnt lgkmcnt(0)
	v_add_u32_e32 v10, v11, v10
	s_or_b64 exec, exec, s[76:77]
	s_and_saveexec_b64 s[76:77], s[10:11]
	s_cbranch_execnz .LBB210_86
.LBB210_54:                             ;   in Loop: Header=BB210_48 Depth=1
	s_or_b64 exec, exec, s[76:77]
	s_and_saveexec_b64 s[76:77], s[12:13]
	s_cbranch_execz .LBB210_87
.LBB210_55:                             ;   in Loop: Header=BB210_48 Depth=1
	ds_read_b32 v11, v6 offset:49176
	s_waitcnt lgkmcnt(0)
	v_add_u32_e32 v10, v11, v10
	s_or_b64 exec, exec, s[76:77]
	s_and_saveexec_b64 s[76:77], s[14:15]
	s_cbranch_execnz .LBB210_88
.LBB210_56:                             ;   in Loop: Header=BB210_48 Depth=1
	s_or_b64 exec, exec, s[76:77]
	s_and_saveexec_b64 s[76:77], s[16:17]
	s_cbranch_execz .LBB210_89
.LBB210_57:                             ;   in Loop: Header=BB210_48 Depth=1
	ds_read_b32 v11, v6 offset:49184
	s_waitcnt lgkmcnt(0)
	v_add_u32_e32 v10, v11, v10
	s_or_b64 exec, exec, s[76:77]
	s_and_saveexec_b64 s[76:77], s[18:19]
	s_cbranch_execnz .LBB210_90
.LBB210_58:                             ;   in Loop: Header=BB210_48 Depth=1
	s_or_b64 exec, exec, s[76:77]
	s_and_saveexec_b64 s[76:77], s[20:21]
	s_cbranch_execz .LBB210_91
.LBB210_59:                             ;   in Loop: Header=BB210_48 Depth=1
	ds_read_b32 v11, v6 offset:49192
	s_waitcnt lgkmcnt(0)
	v_add_u32_e32 v10, v11, v10
	s_or_b64 exec, exec, s[76:77]
	s_and_saveexec_b64 s[76:77], s[22:23]
	s_cbranch_execnz .LBB210_92
.LBB210_60:                             ;   in Loop: Header=BB210_48 Depth=1
	s_or_b64 exec, exec, s[76:77]
	s_and_saveexec_b64 s[76:77], s[24:25]
	s_cbranch_execz .LBB210_93
.LBB210_61:                             ;   in Loop: Header=BB210_48 Depth=1
	ds_read_b32 v11, v6 offset:49200
	s_waitcnt lgkmcnt(0)
	v_add_u32_e32 v10, v11, v10
	s_or_b64 exec, exec, s[76:77]
	s_and_saveexec_b64 s[76:77], s[26:27]
	s_cbranch_execnz .LBB210_94
.LBB210_62:                             ;   in Loop: Header=BB210_48 Depth=1
	s_or_b64 exec, exec, s[76:77]
	s_and_saveexec_b64 s[76:77], s[28:29]
	s_cbranch_execz .LBB210_95
.LBB210_63:                             ;   in Loop: Header=BB210_48 Depth=1
	ds_read_b32 v11, v6 offset:49208
	s_waitcnt lgkmcnt(0)
	v_add_u32_e32 v10, v11, v10
	s_or_b64 exec, exec, s[76:77]
	s_and_saveexec_b64 s[76:77], s[30:31]
	s_cbranch_execnz .LBB210_96
.LBB210_64:                             ;   in Loop: Header=BB210_48 Depth=1
	s_or_b64 exec, exec, s[76:77]
	s_and_saveexec_b64 s[76:77], s[34:35]
	s_cbranch_execz .LBB210_97
.LBB210_65:                             ;   in Loop: Header=BB210_48 Depth=1
	ds_read_b32 v11, v6 offset:49216
	s_waitcnt lgkmcnt(0)
	v_add_u32_e32 v10, v11, v10
	s_or_b64 exec, exec, s[76:77]
	s_and_saveexec_b64 s[76:77], s[36:37]
	s_cbranch_execnz .LBB210_98
.LBB210_66:                             ;   in Loop: Header=BB210_48 Depth=1
	s_or_b64 exec, exec, s[76:77]
	s_and_saveexec_b64 s[76:77], s[38:39]
	s_cbranch_execz .LBB210_99
.LBB210_67:                             ;   in Loop: Header=BB210_48 Depth=1
	ds_read_b32 v11, v6 offset:49224
	s_waitcnt lgkmcnt(0)
	v_add_u32_e32 v10, v11, v10
	s_or_b64 exec, exec, s[76:77]
	s_and_saveexec_b64 s[76:77], s[40:41]
	s_cbranch_execnz .LBB210_100
.LBB210_68:                             ;   in Loop: Header=BB210_48 Depth=1
	s_or_b64 exec, exec, s[76:77]
	s_and_saveexec_b64 s[76:77], s[42:43]
	s_cbranch_execz .LBB210_101
.LBB210_69:                             ;   in Loop: Header=BB210_48 Depth=1
	ds_read_b32 v11, v6 offset:49232
	s_waitcnt lgkmcnt(0)
	v_add_u32_e32 v10, v11, v10
	s_or_b64 exec, exec, s[76:77]
	s_and_saveexec_b64 s[76:77], s[44:45]
	s_cbranch_execnz .LBB210_102
.LBB210_70:                             ;   in Loop: Header=BB210_48 Depth=1
	s_or_b64 exec, exec, s[76:77]
	s_and_saveexec_b64 s[76:77], s[46:47]
	s_cbranch_execz .LBB210_103
.LBB210_71:                             ;   in Loop: Header=BB210_48 Depth=1
	ds_read_b32 v11, v6 offset:49240
	s_waitcnt lgkmcnt(0)
	v_add_u32_e32 v10, v11, v10
	s_or_b64 exec, exec, s[76:77]
	s_and_saveexec_b64 s[76:77], s[48:49]
	s_cbranch_execnz .LBB210_104
.LBB210_72:                             ;   in Loop: Header=BB210_48 Depth=1
	s_or_b64 exec, exec, s[76:77]
	s_and_saveexec_b64 s[76:77], s[50:51]
	s_cbranch_execz .LBB210_105
.LBB210_73:                             ;   in Loop: Header=BB210_48 Depth=1
	ds_read_b32 v11, v6 offset:49248
	s_waitcnt lgkmcnt(0)
	v_add_u32_e32 v10, v11, v10
	s_or_b64 exec, exec, s[76:77]
	s_and_saveexec_b64 s[76:77], s[52:53]
	s_cbranch_execnz .LBB210_106
.LBB210_74:                             ;   in Loop: Header=BB210_48 Depth=1
	s_or_b64 exec, exec, s[76:77]
	s_and_saveexec_b64 s[76:77], s[54:55]
	s_cbranch_execz .LBB210_107
.LBB210_75:                             ;   in Loop: Header=BB210_48 Depth=1
	ds_read_b32 v11, v6 offset:49256
	s_waitcnt lgkmcnt(0)
	v_add_u32_e32 v10, v11, v10
	s_or_b64 exec, exec, s[76:77]
	s_and_saveexec_b64 s[76:77], s[56:57]
	s_cbranch_execnz .LBB210_108
.LBB210_76:                             ;   in Loop: Header=BB210_48 Depth=1
	s_or_b64 exec, exec, s[76:77]
	s_and_saveexec_b64 s[76:77], s[58:59]
	s_cbranch_execz .LBB210_109
.LBB210_77:                             ;   in Loop: Header=BB210_48 Depth=1
	ds_read_b32 v11, v6 offset:49264
	s_waitcnt lgkmcnt(0)
	v_add_u32_e32 v10, v11, v10
	s_or_b64 exec, exec, s[76:77]
	s_and_saveexec_b64 s[76:77], s[60:61]
	s_cbranch_execnz .LBB210_110
.LBB210_78:                             ;   in Loop: Header=BB210_48 Depth=1
	s_or_b64 exec, exec, s[76:77]
	s_and_saveexec_b64 s[76:77], s[62:63]
	s_cbranch_execz .LBB210_111
.LBB210_79:                             ;   in Loop: Header=BB210_48 Depth=1
	ds_read_b32 v11, v6 offset:49272
	s_waitcnt lgkmcnt(0)
	v_add_u32_e32 v10, v11, v10
	s_or_b64 exec, exec, s[76:77]
	s_and_saveexec_b64 s[76:77], s[64:65]
	s_cbranch_execnz .LBB210_112
.LBB210_80:                             ;   in Loop: Header=BB210_48 Depth=1
	s_or_b64 exec, exec, s[76:77]
	s_and_saveexec_b64 s[64:65], vcc
	s_cbranch_execz .LBB210_47
	s_branch .LBB210_113
.LBB210_81:                             ;   in Loop: Header=BB210_48 Depth=1
	s_or_b64 exec, exec, s[76:77]
	s_and_saveexec_b64 s[76:77], s[2:3]
	s_cbranch_execz .LBB210_50
.LBB210_82:                             ;   in Loop: Header=BB210_48 Depth=1
	ds_read_b32 v11, v6 offset:49156
	s_waitcnt lgkmcnt(0)
	v_add_u32_e32 v10, v11, v10
	s_or_b64 exec, exec, s[76:77]
	s_and_saveexec_b64 s[76:77], s[4:5]
	s_cbranch_execnz .LBB210_51
.LBB210_83:                             ;   in Loop: Header=BB210_48 Depth=1
	s_or_b64 exec, exec, s[76:77]
	s_and_saveexec_b64 s[76:77], s[6:7]
	s_cbranch_execz .LBB210_52
.LBB210_84:                             ;   in Loop: Header=BB210_48 Depth=1
	ds_read_b32 v11, v6 offset:49164
	s_waitcnt lgkmcnt(0)
	v_add_u32_e32 v10, v11, v10
	s_or_b64 exec, exec, s[76:77]
	s_and_saveexec_b64 s[76:77], s[8:9]
	s_cbranch_execnz .LBB210_53
.LBB210_85:                             ;   in Loop: Header=BB210_48 Depth=1
	s_or_b64 exec, exec, s[76:77]
	s_and_saveexec_b64 s[76:77], s[10:11]
	s_cbranch_execz .LBB210_54
.LBB210_86:                             ;   in Loop: Header=BB210_48 Depth=1
	ds_read_b32 v11, v6 offset:49172
	s_waitcnt lgkmcnt(0)
	v_add_u32_e32 v10, v11, v10
	s_or_b64 exec, exec, s[76:77]
	s_and_saveexec_b64 s[76:77], s[12:13]
	s_cbranch_execnz .LBB210_55
.LBB210_87:                             ;   in Loop: Header=BB210_48 Depth=1
	s_or_b64 exec, exec, s[76:77]
	s_and_saveexec_b64 s[76:77], s[14:15]
	s_cbranch_execz .LBB210_56
.LBB210_88:                             ;   in Loop: Header=BB210_48 Depth=1
	ds_read_b32 v11, v6 offset:49180
	s_waitcnt lgkmcnt(0)
	v_add_u32_e32 v10, v11, v10
	s_or_b64 exec, exec, s[76:77]
	s_and_saveexec_b64 s[76:77], s[16:17]
	s_cbranch_execnz .LBB210_57
.LBB210_89:                             ;   in Loop: Header=BB210_48 Depth=1
	s_or_b64 exec, exec, s[76:77]
	s_and_saveexec_b64 s[76:77], s[18:19]
	s_cbranch_execz .LBB210_58
.LBB210_90:                             ;   in Loop: Header=BB210_48 Depth=1
	ds_read_b32 v11, v6 offset:49188
	s_waitcnt lgkmcnt(0)
	v_add_u32_e32 v10, v11, v10
	s_or_b64 exec, exec, s[76:77]
	s_and_saveexec_b64 s[76:77], s[20:21]
	s_cbranch_execnz .LBB210_59
.LBB210_91:                             ;   in Loop: Header=BB210_48 Depth=1
	s_or_b64 exec, exec, s[76:77]
	s_and_saveexec_b64 s[76:77], s[22:23]
	s_cbranch_execz .LBB210_60
.LBB210_92:                             ;   in Loop: Header=BB210_48 Depth=1
	ds_read_b32 v11, v6 offset:49196
	s_waitcnt lgkmcnt(0)
	v_add_u32_e32 v10, v11, v10
	s_or_b64 exec, exec, s[76:77]
	s_and_saveexec_b64 s[76:77], s[24:25]
	s_cbranch_execnz .LBB210_61
.LBB210_93:                             ;   in Loop: Header=BB210_48 Depth=1
	s_or_b64 exec, exec, s[76:77]
	s_and_saveexec_b64 s[76:77], s[26:27]
	s_cbranch_execz .LBB210_62
.LBB210_94:                             ;   in Loop: Header=BB210_48 Depth=1
	ds_read_b32 v11, v6 offset:49204
	s_waitcnt lgkmcnt(0)
	v_add_u32_e32 v10, v11, v10
	s_or_b64 exec, exec, s[76:77]
	s_and_saveexec_b64 s[76:77], s[28:29]
	s_cbranch_execnz .LBB210_63
.LBB210_95:                             ;   in Loop: Header=BB210_48 Depth=1
	s_or_b64 exec, exec, s[76:77]
	s_and_saveexec_b64 s[76:77], s[30:31]
	s_cbranch_execz .LBB210_64
.LBB210_96:                             ;   in Loop: Header=BB210_48 Depth=1
	ds_read_b32 v11, v6 offset:49212
	s_waitcnt lgkmcnt(0)
	v_add_u32_e32 v10, v11, v10
	s_or_b64 exec, exec, s[76:77]
	s_and_saveexec_b64 s[76:77], s[34:35]
	s_cbranch_execnz .LBB210_65
.LBB210_97:                             ;   in Loop: Header=BB210_48 Depth=1
	s_or_b64 exec, exec, s[76:77]
	s_and_saveexec_b64 s[76:77], s[36:37]
	s_cbranch_execz .LBB210_66
.LBB210_98:                             ;   in Loop: Header=BB210_48 Depth=1
	ds_read_b32 v11, v6 offset:49220
	s_waitcnt lgkmcnt(0)
	v_add_u32_e32 v10, v11, v10
	s_or_b64 exec, exec, s[76:77]
	s_and_saveexec_b64 s[76:77], s[38:39]
	s_cbranch_execnz .LBB210_67
.LBB210_99:                             ;   in Loop: Header=BB210_48 Depth=1
	s_or_b64 exec, exec, s[76:77]
	s_and_saveexec_b64 s[76:77], s[40:41]
	s_cbranch_execz .LBB210_68
.LBB210_100:                            ;   in Loop: Header=BB210_48 Depth=1
	ds_read_b32 v11, v6 offset:49228
	s_waitcnt lgkmcnt(0)
	v_add_u32_e32 v10, v11, v10
	s_or_b64 exec, exec, s[76:77]
	s_and_saveexec_b64 s[76:77], s[42:43]
	s_cbranch_execnz .LBB210_69
.LBB210_101:                            ;   in Loop: Header=BB210_48 Depth=1
	s_or_b64 exec, exec, s[76:77]
	s_and_saveexec_b64 s[76:77], s[44:45]
	s_cbranch_execz .LBB210_70
.LBB210_102:                            ;   in Loop: Header=BB210_48 Depth=1
	ds_read_b32 v11, v6 offset:49236
	s_waitcnt lgkmcnt(0)
	v_add_u32_e32 v10, v11, v10
	s_or_b64 exec, exec, s[76:77]
	s_and_saveexec_b64 s[76:77], s[46:47]
	s_cbranch_execnz .LBB210_71
.LBB210_103:                            ;   in Loop: Header=BB210_48 Depth=1
	s_or_b64 exec, exec, s[76:77]
	s_and_saveexec_b64 s[76:77], s[48:49]
	s_cbranch_execz .LBB210_72
.LBB210_104:                            ;   in Loop: Header=BB210_48 Depth=1
	ds_read_b32 v11, v6 offset:49244
	s_waitcnt lgkmcnt(0)
	v_add_u32_e32 v10, v11, v10
	s_or_b64 exec, exec, s[76:77]
	s_and_saveexec_b64 s[76:77], s[50:51]
	s_cbranch_execnz .LBB210_73
.LBB210_105:                            ;   in Loop: Header=BB210_48 Depth=1
	s_or_b64 exec, exec, s[76:77]
	s_and_saveexec_b64 s[76:77], s[52:53]
	s_cbranch_execz .LBB210_74
.LBB210_106:                            ;   in Loop: Header=BB210_48 Depth=1
	ds_read_b32 v11, v6 offset:49252
	s_waitcnt lgkmcnt(0)
	v_add_u32_e32 v10, v11, v10
	s_or_b64 exec, exec, s[76:77]
	s_and_saveexec_b64 s[76:77], s[54:55]
	s_cbranch_execnz .LBB210_75
.LBB210_107:                            ;   in Loop: Header=BB210_48 Depth=1
	s_or_b64 exec, exec, s[76:77]
	s_and_saveexec_b64 s[76:77], s[56:57]
	s_cbranch_execz .LBB210_76
.LBB210_108:                            ;   in Loop: Header=BB210_48 Depth=1
	ds_read_b32 v11, v6 offset:49260
	s_waitcnt lgkmcnt(0)
	v_add_u32_e32 v10, v11, v10
	s_or_b64 exec, exec, s[76:77]
	s_and_saveexec_b64 s[76:77], s[58:59]
	s_cbranch_execnz .LBB210_77
.LBB210_109:                            ;   in Loop: Header=BB210_48 Depth=1
	s_or_b64 exec, exec, s[76:77]
	s_and_saveexec_b64 s[76:77], s[60:61]
	s_cbranch_execz .LBB210_78
.LBB210_110:                            ;   in Loop: Header=BB210_48 Depth=1
	ds_read_b32 v11, v6 offset:49268
	s_waitcnt lgkmcnt(0)
	v_add_u32_e32 v10, v11, v10
	s_or_b64 exec, exec, s[76:77]
	s_and_saveexec_b64 s[76:77], s[62:63]
	s_cbranch_execnz .LBB210_79
.LBB210_111:                            ;   in Loop: Header=BB210_48 Depth=1
	s_or_b64 exec, exec, s[76:77]
	s_and_saveexec_b64 s[76:77], s[64:65]
	s_cbranch_execz .LBB210_80
.LBB210_112:                            ;   in Loop: Header=BB210_48 Depth=1
	v_add3_u32 v11, v8, -1, v10
	v_add_u32_e32 v14, v8, v10
	v_lshl_add_u32 v11, v11, 2, 0
	v_lshl_add_u32 v14, v14, 3, 0
	v_add_u32_e32 v14, 0x3ff8, v14
	ds_write_b32 v11, v9
	ds_write2_b32 v14, v4, v5 offset1:1
	s_or_b64 exec, exec, s[76:77]
	s_and_saveexec_b64 s[64:65], vcc
	s_cbranch_execz .LBB210_47
.LBB210_113:                            ;   in Loop: Header=BB210_48 Depth=1
	ds_write_b32 v6, v10 offset:49276
	s_branch .LBB210_47
.LBB210_114:
	s_or_b64 exec, exec, s[74:75]
	s_ashr_i32 s73, s72, 31
	s_lshl_b64 s[0:1], s[72:73], 3
	s_add_u32 s4, s70, s0
	s_addc_u32 s5, s71, s1
	s_load_dwordx4 s[0:3], s[4:5], 0x0
	s_waitcnt lgkmcnt(0)
	s_sub_i32 s8, s2, s0
	v_cmp_gt_i32_e32 vcc, s8, v0
	s_and_saveexec_b64 s[4:5], vcc
	s_cbranch_execz .LBB210_124
; %bb.115:
	s_sub_u32 s4, s0, s66
	s_subb_u32 s5, s1, 0
	s_and_b32 s10, s8, 7
	s_sub_i32 s0, s0, s2
	s_cmp_lt_u32 s0, -7
	s_cselect_b64 s[0:1], -1, 0
	s_and_b32 s11, s8, -8
	s_cmp_lg_u32 s10, 0
	v_cndmask_b32_e64 v1, 0, 1, s[0:1]
	s_cselect_b64 s[2:3], -1, 0
	v_cmp_ne_u32_e64 s[0:1], 1, v1
	v_cndmask_b32_e64 v1, 0, 1, s[2:3]
	s_mov_b32 s9, 0
	s_mov_b64 s[6:7], 0
	s_movk_i32 s12, 0x4000
	v_cmp_ne_u32_e64 s[2:3], 1, v1
	s_branch .LBB210_117
.LBB210_116:                            ;   in Loop: Header=BB210_117 Depth=1
	v_add_u32_e32 v0, 0x400, v0
	v_cmp_le_i32_e32 vcc, s8, v0
	v_lshl_add_u64 v[4:5], v[4:5], 3, s[68:69]
	s_or_b64 s[6:7], vcc, s[6:7]
	s_waitcnt lgkmcnt(0)
	global_store_dwordx2 v[4:5], v[2:3], off
	s_andn2_b64 exec, exec, s[6:7]
	s_cbranch_execz .LBB210_124
.LBB210_117:                            ; =>This Loop Header: Depth=1
                                        ;     Child Loop BB210_119 Depth 2
                                        ;     Child Loop BB210_123 Depth 2
	v_lshlrev_b32_e32 v1, 2, v0
	v_add_u32_e32 v2, 0, v1
	v_add3_u32 v3, v2, v1, s12
	ds_read_b32 v1, v2
	ds_read2_b32 v[2:3], v3 offset1:1
	s_and_b64 vcc, exec, s[0:1]
	v_mov_b64_e32 v[4:5], s[4:5]
	s_mov_b32 s13, 0
	s_cbranch_vccnz .LBB210_121
; %bb.118:                              ;   in Loop: Header=BB210_117 Depth=1
	s_mov_b32 s14, 0
	v_mov_b64_e32 v[4:5], s[4:5]
.LBB210_119:                            ;   Parent Loop BB210_117 Depth=1
                                        ; =>  This Inner Loop Header: Depth=2
	v_mov_b32_e32 v6, s14
	ds_read2_b32 v[22:23], v6 offset1:1
	ds_read2_b32 v[24:25], v6 offset0:2 offset1:3
	ds_read2_b32 v[26:27], v6 offset0:4 offset1:5
	;; [unrolled: 1-line block ×3, first 2 shown]
	v_mov_b32_e32 v7, s9
	s_waitcnt lgkmcnt(3)
	v_cmp_gt_i32_e32 vcc, v1, v22
	v_mov_b32_e32 v9, s9
	v_mov_b32_e32 v11, s9
	v_cndmask_b32_e64 v6, 0, 1, vcc
	v_cmp_gt_i32_e32 vcc, v1, v23
	v_lshl_add_u64 v[4:5], v[4:5], 0, v[6:7]
	v_mov_b32_e32 v13, s9
	v_cndmask_b32_e64 v8, 0, 1, vcc
	s_waitcnt lgkmcnt(2)
	v_cmp_gt_i32_e32 vcc, v1, v24
	v_lshl_add_u64 v[4:5], v[4:5], 0, v[8:9]
	v_mov_b32_e32 v15, s9
	v_cndmask_b32_e64 v10, 0, 1, vcc
	v_cmp_gt_i32_e32 vcc, v1, v25
	v_lshl_add_u64 v[4:5], v[4:5], 0, v[10:11]
	v_mov_b32_e32 v17, s9
	v_cndmask_b32_e64 v12, 0, 1, vcc
	s_waitcnt lgkmcnt(1)
	v_cmp_gt_i32_e32 vcc, v1, v26
	v_lshl_add_u64 v[4:5], v[4:5], 0, v[12:13]
	;; [unrolled: 9-line block ×3, first 2 shown]
	s_add_i32 s13, s13, 8
	v_cndmask_b32_e64 v18, 0, 1, vcc
	v_cmp_gt_i32_e32 vcc, v1, v29
	s_add_i32 s14, s14, 32
	v_lshl_add_u64 v[4:5], v[4:5], 0, v[18:19]
	v_cndmask_b32_e64 v20, 0, 1, vcc
	s_cmp_eq_u32 s11, s13
	v_lshl_add_u64 v[4:5], v[4:5], 0, v[20:21]
	s_cbranch_scc0 .LBB210_119
; %bb.120:                              ;   in Loop: Header=BB210_117 Depth=1
	s_mov_b32 s13, s11
.LBB210_121:                            ;   in Loop: Header=BB210_117 Depth=1
	s_and_b64 vcc, exec, s[2:3]
	s_cbranch_vccnz .LBB210_116
; %bb.122:                              ;   in Loop: Header=BB210_117 Depth=1
	s_lshl_b32 s13, s13, 2
	s_add_i32 s13, s13, 0
	s_mov_b32 s14, s10
.LBB210_123:                            ;   Parent Loop BB210_117 Depth=1
                                        ; =>  This Inner Loop Header: Depth=2
	v_mov_b32_e32 v6, s13
	ds_read_b32 v6, v6
	v_mov_b32_e32 v7, s9
	s_add_i32 s13, s13, 4
	s_add_i32 s14, s14, -1
	s_cmp_lg_u32 s14, 0
	s_waitcnt lgkmcnt(0)
	v_cmp_gt_i32_e32 vcc, v1, v6
	s_nop 1
	v_cndmask_b32_e64 v6, 0, 1, vcc
	v_lshl_add_u64 v[4:5], v[4:5], 0, v[6:7]
	s_cbranch_scc1 .LBB210_123
	s_branch .LBB210_116
.LBB210_124:
	s_endpgm
	.section	.rodata,"a",@progbits
	.p2align	6, 0x0
	.amdhsa_kernel _ZN9rocsparseL41csrgemm_numeric_fill_block_per_row_kernelILj1024ELj64ELj4096ELj137ELj32Eli21rocsparse_complex_numIfEEEvT5_PKS3_S5_NS_24const_host_device_scalarIT6_EEPKT4_S5_PKS7_SB_S5_SD_S8_SB_S5_SD_SB_S5_PS7_21rocsparse_index_base_SF_SF_SF_bbb
		.amdhsa_group_segment_fixed_size 0
		.amdhsa_private_segment_fixed_size 0
		.amdhsa_kernarg_size 156
		.amdhsa_user_sgpr_count 2
		.amdhsa_user_sgpr_dispatch_ptr 0
		.amdhsa_user_sgpr_queue_ptr 0
		.amdhsa_user_sgpr_kernarg_segment_ptr 1
		.amdhsa_user_sgpr_dispatch_id 0
		.amdhsa_user_sgpr_kernarg_preload_length 0
		.amdhsa_user_sgpr_kernarg_preload_offset 0
		.amdhsa_user_sgpr_private_segment_size 0
		.amdhsa_uses_dynamic_stack 0
		.amdhsa_enable_private_segment 0
		.amdhsa_system_sgpr_workgroup_id_x 1
		.amdhsa_system_sgpr_workgroup_id_y 0
		.amdhsa_system_sgpr_workgroup_id_z 0
		.amdhsa_system_sgpr_workgroup_info 0
		.amdhsa_system_vgpr_workitem_id 0
		.amdhsa_next_free_vgpr 30
		.amdhsa_next_free_sgpr 78
		.amdhsa_accum_offset 32
		.amdhsa_reserve_vcc 1
		.amdhsa_float_round_mode_32 0
		.amdhsa_float_round_mode_16_64 0
		.amdhsa_float_denorm_mode_32 3
		.amdhsa_float_denorm_mode_16_64 3
		.amdhsa_dx10_clamp 1
		.amdhsa_ieee_mode 1
		.amdhsa_fp16_overflow 0
		.amdhsa_tg_split 0
		.amdhsa_exception_fp_ieee_invalid_op 0
		.amdhsa_exception_fp_denorm_src 0
		.amdhsa_exception_fp_ieee_div_zero 0
		.amdhsa_exception_fp_ieee_overflow 0
		.amdhsa_exception_fp_ieee_underflow 0
		.amdhsa_exception_fp_ieee_inexact 0
		.amdhsa_exception_int_div_zero 0
	.end_amdhsa_kernel
	.section	.text._ZN9rocsparseL41csrgemm_numeric_fill_block_per_row_kernelILj1024ELj64ELj4096ELj137ELj32Eli21rocsparse_complex_numIfEEEvT5_PKS3_S5_NS_24const_host_device_scalarIT6_EEPKT4_S5_PKS7_SB_S5_SD_S8_SB_S5_SD_SB_S5_PS7_21rocsparse_index_base_SF_SF_SF_bbb,"axG",@progbits,_ZN9rocsparseL41csrgemm_numeric_fill_block_per_row_kernelILj1024ELj64ELj4096ELj137ELj32Eli21rocsparse_complex_numIfEEEvT5_PKS3_S5_NS_24const_host_device_scalarIT6_EEPKT4_S5_PKS7_SB_S5_SD_S8_SB_S5_SD_SB_S5_PS7_21rocsparse_index_base_SF_SF_SF_bbb,comdat
.Lfunc_end210:
	.size	_ZN9rocsparseL41csrgemm_numeric_fill_block_per_row_kernelILj1024ELj64ELj4096ELj137ELj32Eli21rocsparse_complex_numIfEEEvT5_PKS3_S5_NS_24const_host_device_scalarIT6_EEPKT4_S5_PKS7_SB_S5_SD_S8_SB_S5_SD_SB_S5_PS7_21rocsparse_index_base_SF_SF_SF_bbb, .Lfunc_end210-_ZN9rocsparseL41csrgemm_numeric_fill_block_per_row_kernelILj1024ELj64ELj4096ELj137ELj32Eli21rocsparse_complex_numIfEEEvT5_PKS3_S5_NS_24const_host_device_scalarIT6_EEPKT4_S5_PKS7_SB_S5_SD_S8_SB_S5_SD_SB_S5_PS7_21rocsparse_index_base_SF_SF_SF_bbb
                                        ; -- End function
	.set _ZN9rocsparseL41csrgemm_numeric_fill_block_per_row_kernelILj1024ELj64ELj4096ELj137ELj32Eli21rocsparse_complex_numIfEEEvT5_PKS3_S5_NS_24const_host_device_scalarIT6_EEPKT4_S5_PKS7_SB_S5_SD_S8_SB_S5_SD_SB_S5_PS7_21rocsparse_index_base_SF_SF_SF_bbb.num_vgpr, 30
	.set _ZN9rocsparseL41csrgemm_numeric_fill_block_per_row_kernelILj1024ELj64ELj4096ELj137ELj32Eli21rocsparse_complex_numIfEEEvT5_PKS3_S5_NS_24const_host_device_scalarIT6_EEPKT4_S5_PKS7_SB_S5_SD_S8_SB_S5_SD_SB_S5_PS7_21rocsparse_index_base_SF_SF_SF_bbb.num_agpr, 0
	.set _ZN9rocsparseL41csrgemm_numeric_fill_block_per_row_kernelILj1024ELj64ELj4096ELj137ELj32Eli21rocsparse_complex_numIfEEEvT5_PKS3_S5_NS_24const_host_device_scalarIT6_EEPKT4_S5_PKS7_SB_S5_SD_S8_SB_S5_SD_SB_S5_PS7_21rocsparse_index_base_SF_SF_SF_bbb.numbered_sgpr, 78
	.set _ZN9rocsparseL41csrgemm_numeric_fill_block_per_row_kernelILj1024ELj64ELj4096ELj137ELj32Eli21rocsparse_complex_numIfEEEvT5_PKS3_S5_NS_24const_host_device_scalarIT6_EEPKT4_S5_PKS7_SB_S5_SD_S8_SB_S5_SD_SB_S5_PS7_21rocsparse_index_base_SF_SF_SF_bbb.num_named_barrier, 0
	.set _ZN9rocsparseL41csrgemm_numeric_fill_block_per_row_kernelILj1024ELj64ELj4096ELj137ELj32Eli21rocsparse_complex_numIfEEEvT5_PKS3_S5_NS_24const_host_device_scalarIT6_EEPKT4_S5_PKS7_SB_S5_SD_S8_SB_S5_SD_SB_S5_PS7_21rocsparse_index_base_SF_SF_SF_bbb.private_seg_size, 0
	.set _ZN9rocsparseL41csrgemm_numeric_fill_block_per_row_kernelILj1024ELj64ELj4096ELj137ELj32Eli21rocsparse_complex_numIfEEEvT5_PKS3_S5_NS_24const_host_device_scalarIT6_EEPKT4_S5_PKS7_SB_S5_SD_S8_SB_S5_SD_SB_S5_PS7_21rocsparse_index_base_SF_SF_SF_bbb.uses_vcc, 1
	.set _ZN9rocsparseL41csrgemm_numeric_fill_block_per_row_kernelILj1024ELj64ELj4096ELj137ELj32Eli21rocsparse_complex_numIfEEEvT5_PKS3_S5_NS_24const_host_device_scalarIT6_EEPKT4_S5_PKS7_SB_S5_SD_S8_SB_S5_SD_SB_S5_PS7_21rocsparse_index_base_SF_SF_SF_bbb.uses_flat_scratch, 0
	.set _ZN9rocsparseL41csrgemm_numeric_fill_block_per_row_kernelILj1024ELj64ELj4096ELj137ELj32Eli21rocsparse_complex_numIfEEEvT5_PKS3_S5_NS_24const_host_device_scalarIT6_EEPKT4_S5_PKS7_SB_S5_SD_S8_SB_S5_SD_SB_S5_PS7_21rocsparse_index_base_SF_SF_SF_bbb.has_dyn_sized_stack, 0
	.set _ZN9rocsparseL41csrgemm_numeric_fill_block_per_row_kernelILj1024ELj64ELj4096ELj137ELj32Eli21rocsparse_complex_numIfEEEvT5_PKS3_S5_NS_24const_host_device_scalarIT6_EEPKT4_S5_PKS7_SB_S5_SD_S8_SB_S5_SD_SB_S5_PS7_21rocsparse_index_base_SF_SF_SF_bbb.has_recursion, 0
	.set _ZN9rocsparseL41csrgemm_numeric_fill_block_per_row_kernelILj1024ELj64ELj4096ELj137ELj32Eli21rocsparse_complex_numIfEEEvT5_PKS3_S5_NS_24const_host_device_scalarIT6_EEPKT4_S5_PKS7_SB_S5_SD_S8_SB_S5_SD_SB_S5_PS7_21rocsparse_index_base_SF_SF_SF_bbb.has_indirect_call, 0
	.section	.AMDGPU.csdata,"",@progbits
; Kernel info:
; codeLenInByte = 4000
; TotalNumSgprs: 84
; NumVgprs: 30
; NumAgprs: 0
; TotalNumVgprs: 30
; ScratchSize: 0
; MemoryBound: 0
; FloatMode: 240
; IeeeMode: 1
; LDSByteSize: 0 bytes/workgroup (compile time only)
; SGPRBlocks: 10
; VGPRBlocks: 3
; NumSGPRsForWavesPerEU: 84
; NumVGPRsForWavesPerEU: 30
; AccumOffset: 32
; Occupancy: 8
; WaveLimiterHint : 1
; COMPUTE_PGM_RSRC2:SCRATCH_EN: 0
; COMPUTE_PGM_RSRC2:USER_SGPR: 2
; COMPUTE_PGM_RSRC2:TRAP_HANDLER: 0
; COMPUTE_PGM_RSRC2:TGID_X_EN: 1
; COMPUTE_PGM_RSRC2:TGID_Y_EN: 0
; COMPUTE_PGM_RSRC2:TGID_Z_EN: 0
; COMPUTE_PGM_RSRC2:TIDIG_COMP_CNT: 0
; COMPUTE_PGM_RSRC3_GFX90A:ACCUM_OFFSET: 7
; COMPUTE_PGM_RSRC3_GFX90A:TG_SPLIT: 0
	.section	.text._ZN9rocsparseL41csrgemm_numeric_fill_block_per_row_kernelILj1024ELj64ELj4096ELj137ELj64Eli21rocsparse_complex_numIfEEEvT5_PKS3_S5_NS_24const_host_device_scalarIT6_EEPKT4_S5_PKS7_SB_S5_SD_S8_SB_S5_SD_SB_S5_PS7_21rocsparse_index_base_SF_SF_SF_bbb,"axG",@progbits,_ZN9rocsparseL41csrgemm_numeric_fill_block_per_row_kernelILj1024ELj64ELj4096ELj137ELj64Eli21rocsparse_complex_numIfEEEvT5_PKS3_S5_NS_24const_host_device_scalarIT6_EEPKT4_S5_PKS7_SB_S5_SD_S8_SB_S5_SD_SB_S5_PS7_21rocsparse_index_base_SF_SF_SF_bbb,comdat
	.globl	_ZN9rocsparseL41csrgemm_numeric_fill_block_per_row_kernelILj1024ELj64ELj4096ELj137ELj64Eli21rocsparse_complex_numIfEEEvT5_PKS3_S5_NS_24const_host_device_scalarIT6_EEPKT4_S5_PKS7_SB_S5_SD_S8_SB_S5_SD_SB_S5_PS7_21rocsparse_index_base_SF_SF_SF_bbb ; -- Begin function _ZN9rocsparseL41csrgemm_numeric_fill_block_per_row_kernelILj1024ELj64ELj4096ELj137ELj64Eli21rocsparse_complex_numIfEEEvT5_PKS3_S5_NS_24const_host_device_scalarIT6_EEPKT4_S5_PKS7_SB_S5_SD_S8_SB_S5_SD_SB_S5_PS7_21rocsparse_index_base_SF_SF_SF_bbb
	.p2align	8
	.type	_ZN9rocsparseL41csrgemm_numeric_fill_block_per_row_kernelILj1024ELj64ELj4096ELj137ELj64Eli21rocsparse_complex_numIfEEEvT5_PKS3_S5_NS_24const_host_device_scalarIT6_EEPKT4_S5_PKS7_SB_S5_SD_S8_SB_S5_SD_SB_S5_PS7_21rocsparse_index_base_SF_SF_SF_bbb,@function
_ZN9rocsparseL41csrgemm_numeric_fill_block_per_row_kernelILj1024ELj64ELj4096ELj137ELj64Eli21rocsparse_complex_numIfEEEvT5_PKS3_S5_NS_24const_host_device_scalarIT6_EEPKT4_S5_PKS7_SB_S5_SD_S8_SB_S5_SD_SB_S5_PS7_21rocsparse_index_base_SF_SF_SF_bbb: ; @_ZN9rocsparseL41csrgemm_numeric_fill_block_per_row_kernelILj1024ELj64ELj4096ELj137ELj64Eli21rocsparse_complex_numIfEEEvT5_PKS3_S5_NS_24const_host_device_scalarIT6_EEPKT4_S5_PKS7_SB_S5_SD_S8_SB_S5_SD_SB_S5_PS7_21rocsparse_index_base_SF_SF_SF_bbb
; %bb.0:
	s_load_dwordx2 s[40:41], s[0:1], 0x70
	s_load_dwordx4 s[24:27], s[0:1], 0x60
	s_load_dwordx8 s[8:15], s[0:1], 0x40
	s_load_dword s3, s[0:1], 0x98
	s_load_dwordx4 s[28:31], s[0:1], 0x8
	s_load_dwordx8 s[16:23], s[0:1], 0x20
	s_load_dwordx2 s[34:35], s[0:1], 0x80
	s_load_dwordx4 s[36:39], s[0:1], 0x88
	s_waitcnt lgkmcnt(0)
	s_bitcmp1_b32 s3, 0
	s_cselect_b64 s[46:47], -1, 0
	s_bitcmp1_b32 s3, 16
	s_cselect_b64 s[4:5], -1, 0
	s_xor_b64 s[4:5], s[4:5], -1
	v_cndmask_b32_e64 v1, 0, 1, s[4:5]
	s_mov_b32 s7, 0
	s_bitcmp0_b32 s3, 0
	v_cmp_ne_u32_e64 s[4:5], 1, v1
	s_mov_b32 s54, 0
	s_cbranch_scc1 .LBB211_5
; %bb.1:
	s_load_dwordx2 s[6:7], s[0:1], 0x18
	s_and_b64 vcc, exec, s[4:5]
	s_waitcnt lgkmcnt(0)
	s_mov_b32 s54, s6
	s_cbranch_vccnz .LBB211_3
; %bb.2:
	s_load_dword s54, s[6:7], 0x0
.LBB211_3:
	s_and_b64 vcc, exec, s[4:5]
	s_cbranch_vccnz .LBB211_5
; %bb.4:
	s_load_dword s7, s[6:7], 0x4
.LBB211_5:
	s_bitcmp1_b32 s3, 8
	s_cselect_b64 s[44:45], -1, 0
	s_bfe_u32 s3, s3, 0x10008
	s_mov_b32 s52, 0
	s_cmp_eq_u32 s3, 0
	s_mov_b32 s53, 0
	s_cbranch_scc1 .LBB211_11
; %bb.6:
	s_and_b64 vcc, exec, s[4:5]
	s_mov_b32 s52, s12
	s_cbranch_vccnz .LBB211_8
; %bb.7:
	s_load_dword s52, s[12:13], 0x0
.LBB211_8:
	s_and_b64 vcc, exec, s[4:5]
	s_cbranch_vccnz .LBB211_10
; %bb.9:
	s_load_dword s13, s[12:13], 0x4
.LBB211_10:
	s_waitcnt lgkmcnt(0)
	s_mov_b32 s53, s13
.LBB211_11:
	s_load_dword s33, s[0:1], 0x0
	v_lshl_add_u32 v1, v0, 3, 0
	v_add_u32_e32 v1, 0x4000, v1
	v_or_b32_e32 v12, 0xfffffc00, v0
	v_lshl_add_u32 v13, v0, 2, 0
	s_mov_b64 s[0:1], 0
	s_waitcnt lgkmcnt(0)
	v_mov_b32_e32 v6, s33
	v_mov_b32_e32 v2, 0
	s_movk_i32 s3, 0xbff
	v_mov_b32_e32 v3, v13
	v_mov_b32_e32 v4, v12
	;; [unrolled: 1-line block ×3, first 2 shown]
.LBB211_12:                             ; =>This Inner Loop Header: Depth=1
	v_add_u32_e32 v4, 0x400, v4
	v_cmp_lt_u32_e32 vcc, s3, v4
	ds_write_b32 v3, v6
	ds_write2_b32 v5, v2, v2 offset1:1
	v_add_u32_e32 v5, 0x2000, v5
	s_or_b64 s[0:1], vcc, s[0:1]
	v_add_u32_e32 v3, 0x1000, v3
	s_andn2_b64 exec, exec, s[0:1]
	s_cbranch_execnz .LBB211_12
; %bb.13:
	s_or_b64 exec, exec, s[0:1]
	s_waitcnt lgkmcnt(0)
	s_barrier
	s_load_dword s0, s[28:29], 0x0
	s_mov_b32 s1, 0
	v_lshrrev_b32_e32 v14, 6, v0
	s_waitcnt lgkmcnt(0)
	s_add_i32 s0, s0, s2
	s_lshl_b64 s[0:1], s[0:1], 2
	s_add_u32 s0, s30, s0
	s_addc_u32 s1, s31, s1
	s_load_dword s42, s[0:1], 0x0
	s_and_b64 vcc, exec, s[46:47]
	s_cbranch_vccz .LBB211_31
; %bb.14:
	s_waitcnt lgkmcnt(0)
	s_ashr_i32 s43, s42, 31
	s_lshl_b64 s[0:1], s[42:43], 3
	s_add_u32 s0, s16, s0
	s_addc_u32 s1, s17, s1
	s_load_dwordx4 s[28:31], s[0:1], 0x0
	v_subrev_co_u32_e32 v2, vcc, s36, v14
	s_nop 1
	v_subb_co_u32_e64 v3, s[0:1], 0, 0, vcc
	s_waitcnt lgkmcnt(0)
	s_sub_u32 s0, s30, s36
	s_subb_u32 s1, s31, 0
	v_lshl_add_u64 v[2:3], s[28:29], 0, v[2:3]
	v_cmp_gt_i64_e32 vcc, s[0:1], v[2:3]
	s_and_saveexec_b64 s[2:3], vcc
	s_cbranch_execz .LBB211_30
; %bb.15:
	v_and_b32_e32 v4, 63, v0
	v_subrev_co_u32_e32 v4, vcc, s37, v4
	s_mov_b32 s6, s37
	s_nop 0
	v_subb_co_u32_e64 v5, s[4:5], 0, 0, vcc
	s_mov_b64 s[4:5], 0
	s_movk_i32 s43, 0x89
	s_branch .LBB211_17
.LBB211_16:                             ;   in Loop: Header=BB211_17 Depth=1
	s_or_b64 exec, exec, s[12:13]
	v_lshl_add_u64 v[2:3], v[2:3], 0, 16
	v_cmp_le_i64_e32 vcc, s[0:1], v[2:3]
	s_or_b64 s[4:5], vcc, s[4:5]
	s_andn2_b64 exec, exec, s[4:5]
	s_cbranch_execz .LBB211_30
.LBB211_17:                             ; =>This Loop Header: Depth=1
                                        ;     Child Loop BB211_21 Depth 2
                                        ;       Child Loop BB211_24 Depth 3
	v_lshl_add_u64 v[6:7], v[2:3], 2, s[18:19]
	global_load_dword v6, v[6:7], off
	s_waitcnt vmcnt(0)
	v_subrev_u32_e32 v6, s36, v6
	v_ashrrev_i32_e32 v7, 31, v6
	v_lshl_add_u64 v[6:7], v[6:7], 3, s[22:23]
	global_load_dwordx4 v[8:11], v[6:7], off
	s_waitcnt vmcnt(0)
	v_subrev_co_u32_e32 v6, vcc, s6, v10
	s_nop 1
	v_subbrev_co_u32_e32 v7, vcc, 0, v11, vcc
	v_lshl_add_u64 v[8:9], v[8:9], 0, v[4:5]
	v_cmp_lt_i64_e32 vcc, v[8:9], v[6:7]
	s_and_saveexec_b64 s[12:13], vcc
	s_cbranch_execz .LBB211_16
; %bb.18:                               ;   in Loop: Header=BB211_17 Depth=1
	v_lshl_add_u64 v[10:11], v[2:3], 3, s[20:21]
	global_load_dwordx2 v[10:11], v[10:11], off
	s_mov_b64 s[16:17], 0
	s_waitcnt vmcnt(0)
	v_mul_f32_e64 v15, v11, -s7
	v_mul_f32_e32 v16, s54, v11
	v_fmac_f32_e32 v15, s54, v10
	v_fmac_f32_e32 v16, s7, v10
	s_branch .LBB211_21
.LBB211_19:                             ;   in Loop: Header=BB211_21 Depth=2
	s_or_b64 exec, exec, s[30:31]
.LBB211_20:                             ;   in Loop: Header=BB211_21 Depth=2
	s_or_b64 exec, exec, s[28:29]
	s_waitcnt vmcnt(0)
	v_mul_f32_e64 v18, v11, -v16
	v_mul_f32_e32 v11, v15, v11
	v_fmac_f32_e32 v18, v15, v10
	v_fmac_f32_e32 v11, v16, v10
	v_lshl_add_u32 v10, v17, 3, 0
	ds_add_f32 v10, v18 offset:16384
	ds_add_f32 v10, v11 offset:16388
	v_lshl_add_u64 v[8:9], v[8:9], 0, 64
	v_cmp_ge_i64_e32 vcc, v[8:9], v[6:7]
	s_or_b64 s[16:17], vcc, s[16:17]
	s_andn2_b64 exec, exec, s[16:17]
	s_cbranch_execz .LBB211_16
.LBB211_21:                             ;   Parent Loop BB211_17 Depth=1
                                        ; =>  This Loop Header: Depth=2
                                        ;       Child Loop BB211_24 Depth 3
	v_lshl_add_u64 v[10:11], v[8:9], 2, s[8:9]
	global_load_dword v17, v[10:11], off
	v_lshl_add_u64 v[10:11], v[8:9], 3, s[10:11]
	global_load_dwordx2 v[10:11], v[10:11], off
	s_waitcnt vmcnt(1)
	v_subrev_u32_e32 v18, s37, v17
	v_mul_lo_u32 v17, v18, s43
	v_and_b32_e32 v17, 0xfff, v17
	v_lshl_add_u32 v19, v17, 2, 0
	ds_read_b32 v20, v19
	s_waitcnt lgkmcnt(0)
	v_cmp_ne_u32_e32 vcc, v20, v18
	s_and_saveexec_b64 s[28:29], vcc
	s_cbranch_execz .LBB211_20
; %bb.22:                               ;   in Loop: Header=BB211_21 Depth=2
	s_mov_b64 s[30:31], 0
	s_branch .LBB211_24
.LBB211_23:                             ;   in Loop: Header=BB211_24 Depth=3
	s_or_b64 exec, exec, s[50:51]
	s_and_b64 s[46:47], exec, s[48:49]
	s_or_b64 s[30:31], s[46:47], s[30:31]
	s_andn2_b64 exec, exec, s[30:31]
	s_cbranch_execz .LBB211_19
.LBB211_24:                             ;   Parent Loop BB211_17 Depth=1
                                        ;     Parent Loop BB211_21 Depth=2
                                        ; =>    This Inner Loop Header: Depth=3
	v_cmp_ne_u32_e32 vcc, s33, v20
	s_mov_b64 s[46:47], 0
	s_and_saveexec_b64 s[48:49], vcc
	s_xor_b64 s[48:49], exec, s[48:49]
	s_cbranch_execz .LBB211_26
; %bb.25:                               ;   in Loop: Header=BB211_24 Depth=3
	v_add_u32_e32 v17, 1, v17
	s_mov_b64 s[46:47], exec
	v_and_b32_e32 v17, 0xfff, v17
                                        ; implicit-def: $vgpr19
	s_andn2_saveexec_b64 s[48:49], s[48:49]
	s_cbranch_execz .LBB211_28
	s_branch .LBB211_27
.LBB211_26:                             ;   in Loop: Header=BB211_24 Depth=3
	s_andn2_saveexec_b64 s[48:49], s[48:49]
	s_cbranch_execz .LBB211_28
.LBB211_27:                             ;   in Loop: Header=BB211_24 Depth=3
	v_mov_b32_e32 v20, s33
	ds_cmpst_rtn_b32 v19, v19, v20, v18
	s_andn2_b64 s[46:47], s[46:47], exec
	s_waitcnt lgkmcnt(0)
	v_cmp_ne_u32_e32 vcc, s33, v19
	s_and_b64 s[50:51], vcc, exec
	s_or_b64 s[46:47], s[46:47], s[50:51]
.LBB211_28:                             ;   in Loop: Header=BB211_24 Depth=3
	s_or_b64 exec, exec, s[48:49]
	s_mov_b64 s[48:49], -1
                                        ; implicit-def: $vgpr19
                                        ; implicit-def: $vgpr20
	s_and_saveexec_b64 s[50:51], s[46:47]
	s_cbranch_execz .LBB211_23
; %bb.29:                               ;   in Loop: Header=BB211_24 Depth=3
	v_lshl_add_u32 v19, v17, 2, 0
	ds_read_b32 v20, v19
	s_waitcnt lgkmcnt(0)
	v_cmp_eq_u32_e32 vcc, v20, v18
	s_orn2_b64 s[48:49], vcc, exec
	s_branch .LBB211_23
.LBB211_30:
	s_or_b64 exec, exec, s[2:3]
.LBB211_31:
	s_andn2_b64 vcc, exec, s[44:45]
	s_cbranch_vccnz .LBB211_46
; %bb.32:
	s_waitcnt lgkmcnt(0)
	s_ashr_i32 s43, s42, 31
	s_lshl_b64 s[0:1], s[42:43], 3
	s_add_u32 s0, s14, s0
	s_addc_u32 s1, s15, s1
	s_load_dwordx4 s[4:7], s[0:1], 0x0
	v_subrev_co_u32_e32 v2, vcc, s39, v0
	s_nop 1
	v_subb_co_u32_e64 v3, s[0:1], 0, 0, vcc
	s_waitcnt lgkmcnt(0)
	s_sub_u32 s0, s6, s39
	s_subb_u32 s1, s7, 0
	v_lshl_add_u64 v[2:3], s[4:5], 0, v[2:3]
	v_cmp_gt_i64_e32 vcc, s[0:1], v[2:3]
	s_and_saveexec_b64 s[2:3], vcc
	s_cbranch_execz .LBB211_45
; %bb.33:
	s_mov_b64 s[4:5], 0
	s_movk_i32 s18, 0x89
	s_mov_b64 s[6:7], 0x400
	s_branch .LBB211_36
.LBB211_34:                             ;   in Loop: Header=BB211_36 Depth=1
	s_or_b64 exec, exec, s[10:11]
.LBB211_35:                             ;   in Loop: Header=BB211_36 Depth=1
	s_or_b64 exec, exec, s[8:9]
	s_waitcnt vmcnt(0)
	v_mul_f32_e64 v7, v5, -s53
	v_mul_f32_e32 v5, s52, v5
	v_fmac_f32_e32 v7, s52, v4
	v_fmac_f32_e32 v5, s53, v4
	v_lshl_add_u32 v4, v6, 3, 0
	ds_add_f32 v4, v7 offset:16384
	ds_add_f32 v4, v5 offset:16388
	v_lshl_add_u64 v[2:3], v[2:3], 0, s[6:7]
	v_cmp_le_i64_e32 vcc, s[0:1], v[2:3]
	s_or_b64 s[4:5], vcc, s[4:5]
	s_andn2_b64 exec, exec, s[4:5]
	s_cbranch_execz .LBB211_45
.LBB211_36:                             ; =>This Loop Header: Depth=1
                                        ;     Child Loop BB211_39 Depth 2
	v_lshl_add_u64 v[4:5], v[2:3], 2, s[24:25]
	global_load_dword v6, v[4:5], off
	v_lshl_add_u64 v[4:5], v[2:3], 3, s[26:27]
	global_load_dwordx2 v[4:5], v[4:5], off
	s_waitcnt vmcnt(1)
	v_subrev_u32_e32 v7, s39, v6
	v_mul_lo_u32 v6, v7, s18
	v_and_b32_e32 v6, 0xfff, v6
	v_lshl_add_u32 v8, v6, 2, 0
	ds_read_b32 v9, v8
	s_waitcnt lgkmcnt(0)
	v_cmp_ne_u32_e32 vcc, v9, v7
	s_and_saveexec_b64 s[8:9], vcc
	s_cbranch_execz .LBB211_35
; %bb.37:                               ;   in Loop: Header=BB211_36 Depth=1
	s_mov_b64 s[10:11], 0
	s_branch .LBB211_39
.LBB211_38:                             ;   in Loop: Header=BB211_39 Depth=2
	s_or_b64 exec, exec, s[16:17]
	s_and_b64 s[12:13], exec, s[14:15]
	s_or_b64 s[10:11], s[12:13], s[10:11]
	s_andn2_b64 exec, exec, s[10:11]
	s_cbranch_execz .LBB211_34
.LBB211_39:                             ;   Parent Loop BB211_36 Depth=1
                                        ; =>  This Inner Loop Header: Depth=2
	v_cmp_ne_u32_e32 vcc, s33, v9
	s_mov_b64 s[12:13], 0
	s_and_saveexec_b64 s[14:15], vcc
	s_xor_b64 s[14:15], exec, s[14:15]
	s_cbranch_execz .LBB211_41
; %bb.40:                               ;   in Loop: Header=BB211_39 Depth=2
	v_add_u32_e32 v6, 1, v6
	s_mov_b64 s[12:13], exec
	v_and_b32_e32 v6, 0xfff, v6
                                        ; implicit-def: $vgpr8
	s_andn2_saveexec_b64 s[14:15], s[14:15]
	s_cbranch_execz .LBB211_43
	s_branch .LBB211_42
.LBB211_41:                             ;   in Loop: Header=BB211_39 Depth=2
	s_andn2_saveexec_b64 s[14:15], s[14:15]
	s_cbranch_execz .LBB211_43
.LBB211_42:                             ;   in Loop: Header=BB211_39 Depth=2
	v_mov_b32_e32 v9, s33
	ds_cmpst_rtn_b32 v8, v8, v9, v7
	s_andn2_b64 s[12:13], s[12:13], exec
	s_waitcnt lgkmcnt(0)
	v_cmp_ne_u32_e32 vcc, s33, v8
	s_and_b64 s[16:17], vcc, exec
	s_or_b64 s[12:13], s[12:13], s[16:17]
.LBB211_43:                             ;   in Loop: Header=BB211_39 Depth=2
	s_or_b64 exec, exec, s[14:15]
	s_mov_b64 s[14:15], -1
                                        ; implicit-def: $vgpr8
                                        ; implicit-def: $vgpr9
	s_and_saveexec_b64 s[16:17], s[12:13]
	s_cbranch_execz .LBB211_38
; %bb.44:                               ;   in Loop: Header=BB211_39 Depth=2
	v_lshl_add_u32 v8, v6, 2, 0
	ds_read_b32 v9, v8
	s_waitcnt lgkmcnt(0)
	v_cmp_eq_u32_e32 vcc, v9, v7
	s_orn2_b64 s[14:15], vcc, exec
	s_branch .LBB211_38
.LBB211_45:
	s_or_b64 exec, exec, s[2:3]
.LBB211_46:
	v_mbcnt_lo_u32_b32 v2, -1, 0
	v_mbcnt_hi_u32_b32 v2, -1, v2
	v_sub_u32_e32 v2, 63, v2
	s_movk_i32 s0, 0x3ff
	s_movk_i32 s2, 0x7f
	;; [unrolled: 1-line block ×15, first 2 shown]
	v_mov_b32_e32 v6, 0
	v_lshrrev_b64 v[2:3], v2, -1
	v_lshl_add_u32 v7, v14, 2, 0
	v_cmp_eq_u32_e32 vcc, s0, v0
	v_cmp_lt_u32_e64 s[0:1], 63, v0
	v_cmp_lt_u32_e64 s[2:3], s2, v0
	;; [unrolled: 1-line block ×15, first 2 shown]
	s_mov_b64 s[36:37], 0
	s_movk_i32 s39, 0xbff
	v_mov_b32_e32 v8, 0
	s_waitcnt lgkmcnt(0)
	s_barrier
	s_branch .LBB211_48
.LBB211_47:                             ;   in Loop: Header=BB211_48 Depth=1
	s_or_b64 exec, exec, s[30:31]
	s_waitcnt lgkmcnt(0)
	s_barrier
	ds_read_b32 v4, v6 offset:49212
	v_add_u32_e32 v12, 0x400, v12
	v_cmp_lt_u32_e64 s[30:31], s39, v12
	v_add_u32_e32 v1, 0x2000, v1
	s_or_b64 s[36:37], s[30:31], s[36:37]
	s_waitcnt lgkmcnt(0)
	v_add_u32_e32 v8, v4, v8
	v_add_u32_e32 v13, 0x1000, v13
	s_andn2_b64 exec, exec, s[36:37]
	s_cbranch_execz .LBB211_82
.LBB211_48:                             ; =>This Inner Loop Header: Depth=1
	ds_read_b32 v9, v13
	ds_read2_b32 v[4:5], v1 offset1:1
	s_waitcnt lgkmcnt(0)
	s_barrier
	v_cmp_gt_i32_e64 s[30:31], s33, v9
	s_bcnt1_i32_b64 s43, s[30:31]
	s_nop 0
	v_and_b32_e32 v11, s30, v2
	v_and_b32_e32 v10, s31, v3
	v_bcnt_u32_b32 v11, v11, 0
	v_bcnt_u32_b32 v10, v10, v11
	v_mov_b32_e32 v11, s43
	ds_write_b32 v7, v11 offset:49152
	s_waitcnt lgkmcnt(0)
	s_barrier
	s_and_saveexec_b64 s[44:45], s[0:1]
	s_cbranch_execz .LBB211_65
; %bb.49:                               ;   in Loop: Header=BB211_48 Depth=1
	ds_read_b32 v11, v6 offset:49152
	s_waitcnt lgkmcnt(0)
	v_add_u32_e32 v10, v11, v10
	s_or_b64 exec, exec, s[44:45]
	s_and_saveexec_b64 s[44:45], s[2:3]
	s_cbranch_execnz .LBB211_66
.LBB211_50:                             ;   in Loop: Header=BB211_48 Depth=1
	s_or_b64 exec, exec, s[44:45]
	s_and_saveexec_b64 s[44:45], s[4:5]
	s_cbranch_execz .LBB211_67
.LBB211_51:                             ;   in Loop: Header=BB211_48 Depth=1
	ds_read_b32 v11, v6 offset:49160
	s_waitcnt lgkmcnt(0)
	v_add_u32_e32 v10, v11, v10
	s_or_b64 exec, exec, s[44:45]
	s_and_saveexec_b64 s[44:45], s[6:7]
	s_cbranch_execnz .LBB211_68
.LBB211_52:                             ;   in Loop: Header=BB211_48 Depth=1
	s_or_b64 exec, exec, s[44:45]
	s_and_saveexec_b64 s[44:45], s[8:9]
	s_cbranch_execz .LBB211_69
.LBB211_53:                             ;   in Loop: Header=BB211_48 Depth=1
	ds_read_b32 v11, v6 offset:49168
	s_waitcnt lgkmcnt(0)
	v_add_u32_e32 v10, v11, v10
	s_or_b64 exec, exec, s[44:45]
	s_and_saveexec_b64 s[44:45], s[10:11]
	s_cbranch_execnz .LBB211_70
.LBB211_54:                             ;   in Loop: Header=BB211_48 Depth=1
	s_or_b64 exec, exec, s[44:45]
	s_and_saveexec_b64 s[44:45], s[12:13]
	s_cbranch_execz .LBB211_71
.LBB211_55:                             ;   in Loop: Header=BB211_48 Depth=1
	ds_read_b32 v11, v6 offset:49176
	s_waitcnt lgkmcnt(0)
	v_add_u32_e32 v10, v11, v10
	s_or_b64 exec, exec, s[44:45]
	s_and_saveexec_b64 s[44:45], s[14:15]
	s_cbranch_execnz .LBB211_72
.LBB211_56:                             ;   in Loop: Header=BB211_48 Depth=1
	s_or_b64 exec, exec, s[44:45]
	s_and_saveexec_b64 s[44:45], s[16:17]
	s_cbranch_execz .LBB211_73
.LBB211_57:                             ;   in Loop: Header=BB211_48 Depth=1
	ds_read_b32 v11, v6 offset:49184
	s_waitcnt lgkmcnt(0)
	v_add_u32_e32 v10, v11, v10
	s_or_b64 exec, exec, s[44:45]
	s_and_saveexec_b64 s[44:45], s[18:19]
	s_cbranch_execnz .LBB211_74
.LBB211_58:                             ;   in Loop: Header=BB211_48 Depth=1
	s_or_b64 exec, exec, s[44:45]
	s_and_saveexec_b64 s[44:45], s[20:21]
	s_cbranch_execz .LBB211_75
.LBB211_59:                             ;   in Loop: Header=BB211_48 Depth=1
	ds_read_b32 v11, v6 offset:49192
	s_waitcnt lgkmcnt(0)
	v_add_u32_e32 v10, v11, v10
	s_or_b64 exec, exec, s[44:45]
	s_and_saveexec_b64 s[44:45], s[22:23]
	s_cbranch_execnz .LBB211_76
.LBB211_60:                             ;   in Loop: Header=BB211_48 Depth=1
	s_or_b64 exec, exec, s[44:45]
	s_and_saveexec_b64 s[44:45], s[24:25]
	s_cbranch_execz .LBB211_77
.LBB211_61:                             ;   in Loop: Header=BB211_48 Depth=1
	ds_read_b32 v11, v6 offset:49200
	s_waitcnt lgkmcnt(0)
	v_add_u32_e32 v10, v11, v10
	s_or_b64 exec, exec, s[44:45]
	s_and_saveexec_b64 s[44:45], s[26:27]
	s_cbranch_execnz .LBB211_78
.LBB211_62:                             ;   in Loop: Header=BB211_48 Depth=1
	s_or_b64 exec, exec, s[44:45]
	s_and_saveexec_b64 s[44:45], s[28:29]
	s_cbranch_execz .LBB211_79
.LBB211_63:                             ;   in Loop: Header=BB211_48 Depth=1
	ds_read_b32 v11, v6 offset:49208
	s_waitcnt lgkmcnt(0)
	v_add_u32_e32 v10, v11, v10
	s_or_b64 exec, exec, s[44:45]
	s_and_saveexec_b64 s[44:45], s[30:31]
	s_cbranch_execnz .LBB211_80
.LBB211_64:                             ;   in Loop: Header=BB211_48 Depth=1
	s_or_b64 exec, exec, s[44:45]
	s_and_saveexec_b64 s[30:31], vcc
	s_cbranch_execz .LBB211_47
	s_branch .LBB211_81
.LBB211_65:                             ;   in Loop: Header=BB211_48 Depth=1
	s_or_b64 exec, exec, s[44:45]
	s_and_saveexec_b64 s[44:45], s[2:3]
	s_cbranch_execz .LBB211_50
.LBB211_66:                             ;   in Loop: Header=BB211_48 Depth=1
	ds_read_b32 v11, v6 offset:49156
	s_waitcnt lgkmcnt(0)
	v_add_u32_e32 v10, v11, v10
	s_or_b64 exec, exec, s[44:45]
	s_and_saveexec_b64 s[44:45], s[4:5]
	s_cbranch_execnz .LBB211_51
.LBB211_67:                             ;   in Loop: Header=BB211_48 Depth=1
	s_or_b64 exec, exec, s[44:45]
	s_and_saveexec_b64 s[44:45], s[6:7]
	s_cbranch_execz .LBB211_52
.LBB211_68:                             ;   in Loop: Header=BB211_48 Depth=1
	ds_read_b32 v11, v6 offset:49164
	s_waitcnt lgkmcnt(0)
	v_add_u32_e32 v10, v11, v10
	s_or_b64 exec, exec, s[44:45]
	s_and_saveexec_b64 s[44:45], s[8:9]
	s_cbranch_execnz .LBB211_53
.LBB211_69:                             ;   in Loop: Header=BB211_48 Depth=1
	s_or_b64 exec, exec, s[44:45]
	s_and_saveexec_b64 s[44:45], s[10:11]
	s_cbranch_execz .LBB211_54
.LBB211_70:                             ;   in Loop: Header=BB211_48 Depth=1
	ds_read_b32 v11, v6 offset:49172
	s_waitcnt lgkmcnt(0)
	v_add_u32_e32 v10, v11, v10
	s_or_b64 exec, exec, s[44:45]
	s_and_saveexec_b64 s[44:45], s[12:13]
	s_cbranch_execnz .LBB211_55
.LBB211_71:                             ;   in Loop: Header=BB211_48 Depth=1
	s_or_b64 exec, exec, s[44:45]
	s_and_saveexec_b64 s[44:45], s[14:15]
	s_cbranch_execz .LBB211_56
.LBB211_72:                             ;   in Loop: Header=BB211_48 Depth=1
	ds_read_b32 v11, v6 offset:49180
	s_waitcnt lgkmcnt(0)
	v_add_u32_e32 v10, v11, v10
	s_or_b64 exec, exec, s[44:45]
	s_and_saveexec_b64 s[44:45], s[16:17]
	s_cbranch_execnz .LBB211_57
.LBB211_73:                             ;   in Loop: Header=BB211_48 Depth=1
	s_or_b64 exec, exec, s[44:45]
	s_and_saveexec_b64 s[44:45], s[18:19]
	s_cbranch_execz .LBB211_58
.LBB211_74:                             ;   in Loop: Header=BB211_48 Depth=1
	ds_read_b32 v11, v6 offset:49188
	s_waitcnt lgkmcnt(0)
	v_add_u32_e32 v10, v11, v10
	s_or_b64 exec, exec, s[44:45]
	s_and_saveexec_b64 s[44:45], s[20:21]
	s_cbranch_execnz .LBB211_59
.LBB211_75:                             ;   in Loop: Header=BB211_48 Depth=1
	s_or_b64 exec, exec, s[44:45]
	s_and_saveexec_b64 s[44:45], s[22:23]
	s_cbranch_execz .LBB211_60
.LBB211_76:                             ;   in Loop: Header=BB211_48 Depth=1
	ds_read_b32 v11, v6 offset:49196
	s_waitcnt lgkmcnt(0)
	v_add_u32_e32 v10, v11, v10
	s_or_b64 exec, exec, s[44:45]
	s_and_saveexec_b64 s[44:45], s[24:25]
	s_cbranch_execnz .LBB211_61
.LBB211_77:                             ;   in Loop: Header=BB211_48 Depth=1
	s_or_b64 exec, exec, s[44:45]
	s_and_saveexec_b64 s[44:45], s[26:27]
	s_cbranch_execz .LBB211_62
.LBB211_78:                             ;   in Loop: Header=BB211_48 Depth=1
	ds_read_b32 v11, v6 offset:49204
	s_waitcnt lgkmcnt(0)
	v_add_u32_e32 v10, v11, v10
	s_or_b64 exec, exec, s[44:45]
	s_and_saveexec_b64 s[44:45], s[28:29]
	s_cbranch_execnz .LBB211_63
.LBB211_79:                             ;   in Loop: Header=BB211_48 Depth=1
	s_or_b64 exec, exec, s[44:45]
	s_and_saveexec_b64 s[44:45], s[30:31]
	s_cbranch_execz .LBB211_64
.LBB211_80:                             ;   in Loop: Header=BB211_48 Depth=1
	v_add3_u32 v11, v8, -1, v10
	v_add_u32_e32 v14, v8, v10
	v_lshl_add_u32 v11, v11, 2, 0
	v_lshl_add_u32 v14, v14, 3, 0
	v_add_u32_e32 v14, 0x3ff8, v14
	ds_write_b32 v11, v9
	ds_write2_b32 v14, v4, v5 offset1:1
	s_or_b64 exec, exec, s[44:45]
	s_and_saveexec_b64 s[30:31], vcc
	s_cbranch_execz .LBB211_47
.LBB211_81:                             ;   in Loop: Header=BB211_48 Depth=1
	ds_write_b32 v6, v10 offset:49212
	s_branch .LBB211_47
.LBB211_82:
	s_or_b64 exec, exec, s[36:37]
	s_ashr_i32 s43, s42, 31
	s_lshl_b64 s[0:1], s[42:43], 3
	s_add_u32 s4, s40, s0
	s_addc_u32 s5, s41, s1
	s_load_dwordx4 s[0:3], s[4:5], 0x0
	s_waitcnt lgkmcnt(0)
	s_sub_i32 s8, s2, s0
	v_cmp_gt_i32_e32 vcc, s8, v0
	s_and_saveexec_b64 s[4:5], vcc
	s_cbranch_execz .LBB211_92
; %bb.83:
	s_sub_u32 s4, s0, s38
	s_subb_u32 s5, s1, 0
	s_and_b32 s10, s8, 7
	s_sub_i32 s0, s0, s2
	s_cmp_lt_u32 s0, -7
	s_cselect_b64 s[0:1], -1, 0
	s_and_b32 s11, s8, -8
	s_cmp_lg_u32 s10, 0
	v_cndmask_b32_e64 v1, 0, 1, s[0:1]
	s_cselect_b64 s[2:3], -1, 0
	v_cmp_ne_u32_e64 s[0:1], 1, v1
	v_cndmask_b32_e64 v1, 0, 1, s[2:3]
	s_mov_b32 s9, 0
	s_mov_b64 s[6:7], 0
	s_movk_i32 s12, 0x4000
	v_cmp_ne_u32_e64 s[2:3], 1, v1
	s_branch .LBB211_85
.LBB211_84:                             ;   in Loop: Header=BB211_85 Depth=1
	v_add_u32_e32 v0, 0x400, v0
	v_cmp_le_i32_e32 vcc, s8, v0
	v_lshl_add_u64 v[4:5], v[4:5], 3, s[34:35]
	s_or_b64 s[6:7], vcc, s[6:7]
	s_waitcnt lgkmcnt(0)
	global_store_dwordx2 v[4:5], v[2:3], off
	s_andn2_b64 exec, exec, s[6:7]
	s_cbranch_execz .LBB211_92
.LBB211_85:                             ; =>This Loop Header: Depth=1
                                        ;     Child Loop BB211_87 Depth 2
                                        ;     Child Loop BB211_91 Depth 2
	v_lshlrev_b32_e32 v1, 2, v0
	v_add_u32_e32 v2, 0, v1
	v_add3_u32 v3, v2, v1, s12
	ds_read_b32 v1, v2
	ds_read2_b32 v[2:3], v3 offset1:1
	s_and_b64 vcc, exec, s[0:1]
	v_mov_b64_e32 v[4:5], s[4:5]
	s_mov_b32 s13, 0
	s_cbranch_vccnz .LBB211_89
; %bb.86:                               ;   in Loop: Header=BB211_85 Depth=1
	s_mov_b32 s14, 0
	v_mov_b64_e32 v[4:5], s[4:5]
.LBB211_87:                             ;   Parent Loop BB211_85 Depth=1
                                        ; =>  This Inner Loop Header: Depth=2
	v_mov_b32_e32 v6, s14
	ds_read2_b32 v[22:23], v6 offset1:1
	ds_read2_b32 v[24:25], v6 offset0:2 offset1:3
	ds_read2_b32 v[26:27], v6 offset0:4 offset1:5
	;; [unrolled: 1-line block ×3, first 2 shown]
	v_mov_b32_e32 v7, s9
	s_waitcnt lgkmcnt(3)
	v_cmp_gt_i32_e32 vcc, v1, v22
	v_mov_b32_e32 v9, s9
	v_mov_b32_e32 v11, s9
	v_cndmask_b32_e64 v6, 0, 1, vcc
	v_cmp_gt_i32_e32 vcc, v1, v23
	v_lshl_add_u64 v[4:5], v[4:5], 0, v[6:7]
	v_mov_b32_e32 v13, s9
	v_cndmask_b32_e64 v8, 0, 1, vcc
	s_waitcnt lgkmcnt(2)
	v_cmp_gt_i32_e32 vcc, v1, v24
	v_lshl_add_u64 v[4:5], v[4:5], 0, v[8:9]
	v_mov_b32_e32 v15, s9
	v_cndmask_b32_e64 v10, 0, 1, vcc
	v_cmp_gt_i32_e32 vcc, v1, v25
	v_lshl_add_u64 v[4:5], v[4:5], 0, v[10:11]
	v_mov_b32_e32 v17, s9
	v_cndmask_b32_e64 v12, 0, 1, vcc
	s_waitcnt lgkmcnt(1)
	v_cmp_gt_i32_e32 vcc, v1, v26
	v_lshl_add_u64 v[4:5], v[4:5], 0, v[12:13]
	;; [unrolled: 9-line block ×3, first 2 shown]
	s_add_i32 s13, s13, 8
	v_cndmask_b32_e64 v18, 0, 1, vcc
	v_cmp_gt_i32_e32 vcc, v1, v29
	s_add_i32 s14, s14, 32
	v_lshl_add_u64 v[4:5], v[4:5], 0, v[18:19]
	v_cndmask_b32_e64 v20, 0, 1, vcc
	s_cmp_eq_u32 s11, s13
	v_lshl_add_u64 v[4:5], v[4:5], 0, v[20:21]
	s_cbranch_scc0 .LBB211_87
; %bb.88:                               ;   in Loop: Header=BB211_85 Depth=1
	s_mov_b32 s13, s11
.LBB211_89:                             ;   in Loop: Header=BB211_85 Depth=1
	s_and_b64 vcc, exec, s[2:3]
	s_cbranch_vccnz .LBB211_84
; %bb.90:                               ;   in Loop: Header=BB211_85 Depth=1
	s_lshl_b32 s13, s13, 2
	s_add_i32 s13, s13, 0
	s_mov_b32 s14, s10
.LBB211_91:                             ;   Parent Loop BB211_85 Depth=1
                                        ; =>  This Inner Loop Header: Depth=2
	v_mov_b32_e32 v6, s13
	ds_read_b32 v6, v6
	v_mov_b32_e32 v7, s9
	s_add_i32 s13, s13, 4
	s_add_i32 s14, s14, -1
	s_cmp_lg_u32 s14, 0
	s_waitcnt lgkmcnt(0)
	v_cmp_gt_i32_e32 vcc, v1, v6
	s_nop 1
	v_cndmask_b32_e64 v6, 0, 1, vcc
	v_lshl_add_u64 v[4:5], v[4:5], 0, v[6:7]
	s_cbranch_scc1 .LBB211_91
	s_branch .LBB211_84
.LBB211_92:
	s_endpgm
	.section	.rodata,"a",@progbits
	.p2align	6, 0x0
	.amdhsa_kernel _ZN9rocsparseL41csrgemm_numeric_fill_block_per_row_kernelILj1024ELj64ELj4096ELj137ELj64Eli21rocsparse_complex_numIfEEEvT5_PKS3_S5_NS_24const_host_device_scalarIT6_EEPKT4_S5_PKS7_SB_S5_SD_S8_SB_S5_SD_SB_S5_PS7_21rocsparse_index_base_SF_SF_SF_bbb
		.amdhsa_group_segment_fixed_size 0
		.amdhsa_private_segment_fixed_size 0
		.amdhsa_kernarg_size 156
		.amdhsa_user_sgpr_count 2
		.amdhsa_user_sgpr_dispatch_ptr 0
		.amdhsa_user_sgpr_queue_ptr 0
		.amdhsa_user_sgpr_kernarg_segment_ptr 1
		.amdhsa_user_sgpr_dispatch_id 0
		.amdhsa_user_sgpr_kernarg_preload_length 0
		.amdhsa_user_sgpr_kernarg_preload_offset 0
		.amdhsa_user_sgpr_private_segment_size 0
		.amdhsa_uses_dynamic_stack 0
		.amdhsa_enable_private_segment 0
		.amdhsa_system_sgpr_workgroup_id_x 1
		.amdhsa_system_sgpr_workgroup_id_y 0
		.amdhsa_system_sgpr_workgroup_id_z 0
		.amdhsa_system_sgpr_workgroup_info 0
		.amdhsa_system_vgpr_workitem_id 0
		.amdhsa_next_free_vgpr 30
		.amdhsa_next_free_sgpr 55
		.amdhsa_accum_offset 32
		.amdhsa_reserve_vcc 1
		.amdhsa_float_round_mode_32 0
		.amdhsa_float_round_mode_16_64 0
		.amdhsa_float_denorm_mode_32 3
		.amdhsa_float_denorm_mode_16_64 3
		.amdhsa_dx10_clamp 1
		.amdhsa_ieee_mode 1
		.amdhsa_fp16_overflow 0
		.amdhsa_tg_split 0
		.amdhsa_exception_fp_ieee_invalid_op 0
		.amdhsa_exception_fp_denorm_src 0
		.amdhsa_exception_fp_ieee_div_zero 0
		.amdhsa_exception_fp_ieee_overflow 0
		.amdhsa_exception_fp_ieee_underflow 0
		.amdhsa_exception_fp_ieee_inexact 0
		.amdhsa_exception_int_div_zero 0
	.end_amdhsa_kernel
	.section	.text._ZN9rocsparseL41csrgemm_numeric_fill_block_per_row_kernelILj1024ELj64ELj4096ELj137ELj64Eli21rocsparse_complex_numIfEEEvT5_PKS3_S5_NS_24const_host_device_scalarIT6_EEPKT4_S5_PKS7_SB_S5_SD_S8_SB_S5_SD_SB_S5_PS7_21rocsparse_index_base_SF_SF_SF_bbb,"axG",@progbits,_ZN9rocsparseL41csrgemm_numeric_fill_block_per_row_kernelILj1024ELj64ELj4096ELj137ELj64Eli21rocsparse_complex_numIfEEEvT5_PKS3_S5_NS_24const_host_device_scalarIT6_EEPKT4_S5_PKS7_SB_S5_SD_S8_SB_S5_SD_SB_S5_PS7_21rocsparse_index_base_SF_SF_SF_bbb,comdat
.Lfunc_end211:
	.size	_ZN9rocsparseL41csrgemm_numeric_fill_block_per_row_kernelILj1024ELj64ELj4096ELj137ELj64Eli21rocsparse_complex_numIfEEEvT5_PKS3_S5_NS_24const_host_device_scalarIT6_EEPKT4_S5_PKS7_SB_S5_SD_S8_SB_S5_SD_SB_S5_PS7_21rocsparse_index_base_SF_SF_SF_bbb, .Lfunc_end211-_ZN9rocsparseL41csrgemm_numeric_fill_block_per_row_kernelILj1024ELj64ELj4096ELj137ELj64Eli21rocsparse_complex_numIfEEEvT5_PKS3_S5_NS_24const_host_device_scalarIT6_EEPKT4_S5_PKS7_SB_S5_SD_S8_SB_S5_SD_SB_S5_PS7_21rocsparse_index_base_SF_SF_SF_bbb
                                        ; -- End function
	.set _ZN9rocsparseL41csrgemm_numeric_fill_block_per_row_kernelILj1024ELj64ELj4096ELj137ELj64Eli21rocsparse_complex_numIfEEEvT5_PKS3_S5_NS_24const_host_device_scalarIT6_EEPKT4_S5_PKS7_SB_S5_SD_S8_SB_S5_SD_SB_S5_PS7_21rocsparse_index_base_SF_SF_SF_bbb.num_vgpr, 30
	.set _ZN9rocsparseL41csrgemm_numeric_fill_block_per_row_kernelILj1024ELj64ELj4096ELj137ELj64Eli21rocsparse_complex_numIfEEEvT5_PKS3_S5_NS_24const_host_device_scalarIT6_EEPKT4_S5_PKS7_SB_S5_SD_S8_SB_S5_SD_SB_S5_PS7_21rocsparse_index_base_SF_SF_SF_bbb.num_agpr, 0
	.set _ZN9rocsparseL41csrgemm_numeric_fill_block_per_row_kernelILj1024ELj64ELj4096ELj137ELj64Eli21rocsparse_complex_numIfEEEvT5_PKS3_S5_NS_24const_host_device_scalarIT6_EEPKT4_S5_PKS7_SB_S5_SD_S8_SB_S5_SD_SB_S5_PS7_21rocsparse_index_base_SF_SF_SF_bbb.numbered_sgpr, 55
	.set _ZN9rocsparseL41csrgemm_numeric_fill_block_per_row_kernelILj1024ELj64ELj4096ELj137ELj64Eli21rocsparse_complex_numIfEEEvT5_PKS3_S5_NS_24const_host_device_scalarIT6_EEPKT4_S5_PKS7_SB_S5_SD_S8_SB_S5_SD_SB_S5_PS7_21rocsparse_index_base_SF_SF_SF_bbb.num_named_barrier, 0
	.set _ZN9rocsparseL41csrgemm_numeric_fill_block_per_row_kernelILj1024ELj64ELj4096ELj137ELj64Eli21rocsparse_complex_numIfEEEvT5_PKS3_S5_NS_24const_host_device_scalarIT6_EEPKT4_S5_PKS7_SB_S5_SD_S8_SB_S5_SD_SB_S5_PS7_21rocsparse_index_base_SF_SF_SF_bbb.private_seg_size, 0
	.set _ZN9rocsparseL41csrgemm_numeric_fill_block_per_row_kernelILj1024ELj64ELj4096ELj137ELj64Eli21rocsparse_complex_numIfEEEvT5_PKS3_S5_NS_24const_host_device_scalarIT6_EEPKT4_S5_PKS7_SB_S5_SD_S8_SB_S5_SD_SB_S5_PS7_21rocsparse_index_base_SF_SF_SF_bbb.uses_vcc, 1
	.set _ZN9rocsparseL41csrgemm_numeric_fill_block_per_row_kernelILj1024ELj64ELj4096ELj137ELj64Eli21rocsparse_complex_numIfEEEvT5_PKS3_S5_NS_24const_host_device_scalarIT6_EEPKT4_S5_PKS7_SB_S5_SD_S8_SB_S5_SD_SB_S5_PS7_21rocsparse_index_base_SF_SF_SF_bbb.uses_flat_scratch, 0
	.set _ZN9rocsparseL41csrgemm_numeric_fill_block_per_row_kernelILj1024ELj64ELj4096ELj137ELj64Eli21rocsparse_complex_numIfEEEvT5_PKS3_S5_NS_24const_host_device_scalarIT6_EEPKT4_S5_PKS7_SB_S5_SD_S8_SB_S5_SD_SB_S5_PS7_21rocsparse_index_base_SF_SF_SF_bbb.has_dyn_sized_stack, 0
	.set _ZN9rocsparseL41csrgemm_numeric_fill_block_per_row_kernelILj1024ELj64ELj4096ELj137ELj64Eli21rocsparse_complex_numIfEEEvT5_PKS3_S5_NS_24const_host_device_scalarIT6_EEPKT4_S5_PKS7_SB_S5_SD_S8_SB_S5_SD_SB_S5_PS7_21rocsparse_index_base_SF_SF_SF_bbb.has_recursion, 0
	.set _ZN9rocsparseL41csrgemm_numeric_fill_block_per_row_kernelILj1024ELj64ELj4096ELj137ELj64Eli21rocsparse_complex_numIfEEEvT5_PKS3_S5_NS_24const_host_device_scalarIT6_EEPKT4_S5_PKS7_SB_S5_SD_S8_SB_S5_SD_SB_S5_PS7_21rocsparse_index_base_SF_SF_SF_bbb.has_indirect_call, 0
	.section	.AMDGPU.csdata,"",@progbits
; Kernel info:
; codeLenInByte = 3168
; TotalNumSgprs: 61
; NumVgprs: 30
; NumAgprs: 0
; TotalNumVgprs: 30
; ScratchSize: 0
; MemoryBound: 0
; FloatMode: 240
; IeeeMode: 1
; LDSByteSize: 0 bytes/workgroup (compile time only)
; SGPRBlocks: 7
; VGPRBlocks: 3
; NumSGPRsForWavesPerEU: 61
; NumVGPRsForWavesPerEU: 30
; AccumOffset: 32
; Occupancy: 8
; WaveLimiterHint : 1
; COMPUTE_PGM_RSRC2:SCRATCH_EN: 0
; COMPUTE_PGM_RSRC2:USER_SGPR: 2
; COMPUTE_PGM_RSRC2:TRAP_HANDLER: 0
; COMPUTE_PGM_RSRC2:TGID_X_EN: 1
; COMPUTE_PGM_RSRC2:TGID_Y_EN: 0
; COMPUTE_PGM_RSRC2:TGID_Z_EN: 0
; COMPUTE_PGM_RSRC2:TIDIG_COMP_CNT: 0
; COMPUTE_PGM_RSRC3_GFX90A:ACCUM_OFFSET: 7
; COMPUTE_PGM_RSRC3_GFX90A:TG_SPLIT: 0
	.section	.text._ZN9rocsparseL41csrgemm_numeric_fill_block_per_row_kernelILj1024ELj64ELj8192ELj137ELj32Eli21rocsparse_complex_numIfEEEvT5_PKS3_S5_NS_24const_host_device_scalarIT6_EEPKT4_S5_PKS7_SB_S5_SD_S8_SB_S5_SD_SB_S5_PS7_21rocsparse_index_base_SF_SF_SF_bbb,"axG",@progbits,_ZN9rocsparseL41csrgemm_numeric_fill_block_per_row_kernelILj1024ELj64ELj8192ELj137ELj32Eli21rocsparse_complex_numIfEEEvT5_PKS3_S5_NS_24const_host_device_scalarIT6_EEPKT4_S5_PKS7_SB_S5_SD_S8_SB_S5_SD_SB_S5_PS7_21rocsparse_index_base_SF_SF_SF_bbb,comdat
	.globl	_ZN9rocsparseL41csrgemm_numeric_fill_block_per_row_kernelILj1024ELj64ELj8192ELj137ELj32Eli21rocsparse_complex_numIfEEEvT5_PKS3_S5_NS_24const_host_device_scalarIT6_EEPKT4_S5_PKS7_SB_S5_SD_S8_SB_S5_SD_SB_S5_PS7_21rocsparse_index_base_SF_SF_SF_bbb ; -- Begin function _ZN9rocsparseL41csrgemm_numeric_fill_block_per_row_kernelILj1024ELj64ELj8192ELj137ELj32Eli21rocsparse_complex_numIfEEEvT5_PKS3_S5_NS_24const_host_device_scalarIT6_EEPKT4_S5_PKS7_SB_S5_SD_S8_SB_S5_SD_SB_S5_PS7_21rocsparse_index_base_SF_SF_SF_bbb
	.p2align	8
	.type	_ZN9rocsparseL41csrgemm_numeric_fill_block_per_row_kernelILj1024ELj64ELj8192ELj137ELj32Eli21rocsparse_complex_numIfEEEvT5_PKS3_S5_NS_24const_host_device_scalarIT6_EEPKT4_S5_PKS7_SB_S5_SD_S8_SB_S5_SD_SB_S5_PS7_21rocsparse_index_base_SF_SF_SF_bbb,@function
_ZN9rocsparseL41csrgemm_numeric_fill_block_per_row_kernelILj1024ELj64ELj8192ELj137ELj32Eli21rocsparse_complex_numIfEEEvT5_PKS3_S5_NS_24const_host_device_scalarIT6_EEPKT4_S5_PKS7_SB_S5_SD_S8_SB_S5_SD_SB_S5_PS7_21rocsparse_index_base_SF_SF_SF_bbb: ; @_ZN9rocsparseL41csrgemm_numeric_fill_block_per_row_kernelILj1024ELj64ELj8192ELj137ELj32Eli21rocsparse_complex_numIfEEEvT5_PKS3_S5_NS_24const_host_device_scalarIT6_EEPKT4_S5_PKS7_SB_S5_SD_S8_SB_S5_SD_SB_S5_PS7_21rocsparse_index_base_SF_SF_SF_bbb
; %bb.0:
	s_load_dwordx2 s[4:5], s[0:1], 0x70
	s_load_dwordx4 s[64:67], s[0:1], 0x88
                                        ; implicit-def: $vgpr30 : SGPR spill to VGPR lane
	s_mov_b32 s7, 0
	s_mov_b32 s44, 0
	s_waitcnt lgkmcnt(0)
	v_writelane_b32 v30, s4, 0
	s_nop 1
	v_writelane_b32 v30, s5, 1
	s_load_dwordx4 s[24:27], s[0:1], 0x60
	s_load_dwordx8 s[8:15], s[0:1], 0x40
	s_load_dword s3, s[0:1], 0x98
	s_load_dwordx4 s[28:31], s[0:1], 0x8
	s_load_dwordx8 s[16:23], s[0:1], 0x20
	s_load_dwordx2 s[4:5], s[0:1], 0x80
	s_waitcnt lgkmcnt(0)
	s_bitcmp1_b32 s3, 0
	s_cselect_b64 s[36:37], -1, 0
	s_bitcmp1_b32 s3, 16
	v_writelane_b32 v30, s4, 2
	s_nop 1
	v_writelane_b32 v30, s5, 3
	s_cselect_b64 s[4:5], -1, 0
	s_xor_b64 s[4:5], s[4:5], -1
	v_cndmask_b32_e64 v1, 0, 1, s[4:5]
	s_bitcmp0_b32 s3, 0
	v_cmp_ne_u32_e64 s[4:5], 1, v1
	s_cbranch_scc1 .LBB212_5
; %bb.1:
	s_load_dwordx2 s[6:7], s[0:1], 0x18
	s_and_b64 vcc, exec, s[4:5]
	s_waitcnt lgkmcnt(0)
	s_mov_b32 s44, s6
	s_cbranch_vccnz .LBB212_3
; %bb.2:
	s_load_dword s44, s[6:7], 0x0
.LBB212_3:
	s_and_b64 vcc, exec, s[4:5]
	s_cbranch_vccnz .LBB212_5
; %bb.4:
	s_load_dword s7, s[6:7], 0x4
.LBB212_5:
	s_bitcmp1_b32 s3, 8
	s_cselect_b64 s[34:35], -1, 0
	s_bfe_u32 s3, s3, 0x10008
	s_mov_b32 s42, 0
	s_cmp_eq_u32 s3, 0
	s_mov_b32 s43, 0
	s_cbranch_scc1 .LBB212_11
; %bb.6:
	s_and_b64 vcc, exec, s[4:5]
	s_mov_b32 s42, s12
	s_cbranch_vccnz .LBB212_8
; %bb.7:
	s_load_dword s42, s[12:13], 0x0
.LBB212_8:
	s_and_b64 vcc, exec, s[4:5]
	s_cbranch_vccnz .LBB212_10
; %bb.9:
	s_load_dword s13, s[12:13], 0x4
.LBB212_10:
	s_waitcnt lgkmcnt(0)
	s_mov_b32 s43, s13
.LBB212_11:
	s_load_dword s33, s[0:1], 0x0
	v_lshlrev_b32_e32 v2, 2, v0
	v_add_u32_e32 v1, 0, v2
	v_add_u32_e32 v2, v1, v2
	;; [unrolled: 1-line block ×3, first 2 shown]
	v_mov_b32_e32 v5, 0
	s_waitcnt lgkmcnt(0)
	v_mov_b32_e32 v4, s33
	ds_write2_b32 v3, v5, v5 offset1:1
	v_mov_b32_e32 v3, s33
	ds_write2st64_b32 v1, v4, v3 offset1:16
	v_add_u32_e32 v3, 0xa000, v2
	v_add_u32_e32 v4, 0xc000, v2
	ds_write2_b32 v3, v5, v5 offset1:1
	v_mov_b32_e32 v3, s33
	ds_write2_b32 v4, v5, v5 offset1:1
	v_mov_b32_e32 v4, s33
	v_add_u32_e32 v2, 0xe000, v2
	ds_write2st64_b32 v1, v3, v4 offset0:32 offset1:48
	ds_write2_b32 v2, v5, v5 offset1:1
	v_mov_b32_e32 v2, s33
	s_add_i32 s0, 0, 0x8000
	ds_write_b32 v1, v2 offset:16384
	v_lshl_add_u32 v2, v0, 3, s0
	v_add_u32_e32 v3, 0x8000, v2
	ds_write2_b32 v3, v5, v5 offset1:1
	v_mov_b32_e32 v3, s33
	ds_write_b32 v1, v3 offset:20480
	v_add_u32_e32 v3, 0xa000, v2
	ds_write2_b32 v3, v5, v5 offset1:1
	v_mov_b32_e32 v3, s33
	ds_write_b32 v1, v3 offset:24576
	v_add_u32_e32 v3, 0xc000, v2
	ds_write2_b32 v3, v5, v5 offset1:1
	v_mov_b32_e32 v3, s33
	v_add_u32_e32 v2, 0xe000, v2
	ds_write_b32 v1, v3 offset:28672
	ds_write2_b32 v2, v5, v5 offset1:1
	s_waitcnt lgkmcnt(0)
	s_barrier
	s_load_dword s0, s[28:29], 0x0
	s_mov_b32 s1, 0
	s_waitcnt lgkmcnt(0)
	s_add_i32 s0, s0, s2
	s_lshl_b64 s[0:1], s[0:1], 2
	s_add_u32 s0, s30, s0
	s_addc_u32 s1, s31, s1
	s_load_dword s46, s[0:1], 0x0
	s_andn2_b64 vcc, exec, s[36:37]
	s_cbranch_vccnz .LBB212_29
; %bb.12:
	s_waitcnt lgkmcnt(0)
	s_ashr_i32 s47, s46, 31
	s_lshl_b64 s[0:1], s[46:47], 3
	s_add_u32 s0, s16, s0
	s_addc_u32 s1, s17, s1
	s_load_dwordx4 s[28:31], s[0:1], 0x0
	v_lshrrev_b32_e32 v2, 6, v0
	v_subrev_co_u32_e32 v2, vcc, s64, v2
	s_waitcnt lgkmcnt(0)
	s_sub_u32 s0, s30, s64
	v_subb_co_u32_e64 v3, s[2:3], 0, 0, vcc
	s_subb_u32 s1, s31, 0
	v_lshl_add_u64 v[2:3], s[28:29], 0, v[2:3]
	v_cmp_gt_i64_e32 vcc, s[0:1], v[2:3]
	s_and_saveexec_b64 s[2:3], vcc
	s_cbranch_execz .LBB212_28
; %bb.13:
	v_and_b32_e32 v4, 63, v0
	v_subrev_co_u32_e32 v4, vcc, s65, v4
	s_mov_b32 s6, s65
	s_nop 0
	v_subb_co_u32_e64 v5, s[4:5], 0, 0, vcc
	s_mov_b64 s[4:5], 0
	s_movk_i32 s45, 0x89
	s_branch .LBB212_15
.LBB212_14:                             ;   in Loop: Header=BB212_15 Depth=1
	s_or_b64 exec, exec, s[12:13]
	v_lshl_add_u64 v[2:3], v[2:3], 0, 16
	v_cmp_le_i64_e32 vcc, s[0:1], v[2:3]
	s_or_b64 s[4:5], vcc, s[4:5]
	s_andn2_b64 exec, exec, s[4:5]
	s_cbranch_execz .LBB212_28
.LBB212_15:                             ; =>This Loop Header: Depth=1
                                        ;     Child Loop BB212_19 Depth 2
                                        ;       Child Loop BB212_22 Depth 3
	v_lshl_add_u64 v[6:7], v[2:3], 2, s[18:19]
	global_load_dword v6, v[6:7], off
	s_waitcnt vmcnt(0)
	v_subrev_u32_e32 v6, s64, v6
	v_ashrrev_i32_e32 v7, 31, v6
	v_lshl_add_u64 v[6:7], v[6:7], 3, s[22:23]
	global_load_dwordx4 v[8:11], v[6:7], off
	s_waitcnt vmcnt(0)
	v_subrev_co_u32_e32 v6, vcc, s6, v10
	s_nop 1
	v_subbrev_co_u32_e32 v7, vcc, 0, v11, vcc
	v_lshl_add_u64 v[8:9], v[8:9], 0, v[4:5]
	v_cmp_lt_i64_e32 vcc, v[8:9], v[6:7]
	s_and_saveexec_b64 s[12:13], vcc
	s_cbranch_execz .LBB212_14
; %bb.16:                               ;   in Loop: Header=BB212_15 Depth=1
	v_lshl_add_u64 v[10:11], v[2:3], 3, s[20:21]
	global_load_dwordx2 v[10:11], v[10:11], off
	s_mov_b64 s[16:17], 0
	s_waitcnt vmcnt(0)
	v_mul_f32_e64 v12, v11, -s7
	v_mul_f32_e32 v13, s44, v11
	v_fmac_f32_e32 v12, s44, v10
	v_fmac_f32_e32 v13, s7, v10
	s_branch .LBB212_19
.LBB212_17:                             ;   in Loop: Header=BB212_19 Depth=2
	s_or_b64 exec, exec, s[30:31]
.LBB212_18:                             ;   in Loop: Header=BB212_19 Depth=2
	s_or_b64 exec, exec, s[28:29]
	s_waitcnt vmcnt(0)
	v_mul_f32_e64 v15, v11, -v13
	v_mul_f32_e32 v11, v12, v11
	v_fmac_f32_e32 v15, v12, v10
	v_fmac_f32_e32 v11, v13, v10
	v_lshl_add_u32 v10, v14, 3, 0
	ds_add_f32 v10, v15 offset:32768
	ds_add_f32 v10, v11 offset:32772
	v_lshl_add_u64 v[8:9], v[8:9], 0, 64
	v_cmp_ge_i64_e32 vcc, v[8:9], v[6:7]
	s_or_b64 s[16:17], vcc, s[16:17]
	s_andn2_b64 exec, exec, s[16:17]
	s_cbranch_execz .LBB212_14
.LBB212_19:                             ;   Parent Loop BB212_15 Depth=1
                                        ; =>  This Loop Header: Depth=2
                                        ;       Child Loop BB212_22 Depth 3
	v_lshl_add_u64 v[10:11], v[8:9], 2, s[8:9]
	global_load_dword v14, v[10:11], off
	v_lshl_add_u64 v[10:11], v[8:9], 3, s[10:11]
	global_load_dwordx2 v[10:11], v[10:11], off
	s_waitcnt vmcnt(1)
	v_subrev_u32_e32 v15, s65, v14
	v_mul_lo_u32 v14, v15, s45
	v_and_b32_e32 v14, 0x1fff, v14
	v_lshl_add_u32 v16, v14, 2, 0
	ds_read_b32 v17, v16
	s_waitcnt lgkmcnt(0)
	v_cmp_ne_u32_e32 vcc, v17, v15
	s_and_saveexec_b64 s[28:29], vcc
	s_cbranch_execz .LBB212_18
; %bb.20:                               ;   in Loop: Header=BB212_19 Depth=2
	s_mov_b64 s[30:31], 0
	s_branch .LBB212_22
.LBB212_21:                             ;   in Loop: Header=BB212_22 Depth=3
	s_or_b64 exec, exec, s[40:41]
	s_and_b64 s[36:37], exec, s[38:39]
	s_or_b64 s[30:31], s[36:37], s[30:31]
	s_andn2_b64 exec, exec, s[30:31]
	s_cbranch_execz .LBB212_17
.LBB212_22:                             ;   Parent Loop BB212_15 Depth=1
                                        ;     Parent Loop BB212_19 Depth=2
                                        ; =>    This Inner Loop Header: Depth=3
	v_cmp_ne_u32_e32 vcc, s33, v17
	s_mov_b64 s[36:37], 0
	s_and_saveexec_b64 s[38:39], vcc
	s_xor_b64 s[38:39], exec, s[38:39]
	s_cbranch_execz .LBB212_24
; %bb.23:                               ;   in Loop: Header=BB212_22 Depth=3
	v_add_u32_e32 v14, 1, v14
	s_mov_b64 s[36:37], exec
	v_and_b32_e32 v14, 0x1fff, v14
                                        ; implicit-def: $vgpr16
	s_andn2_saveexec_b64 s[38:39], s[38:39]
	s_cbranch_execz .LBB212_26
	s_branch .LBB212_25
.LBB212_24:                             ;   in Loop: Header=BB212_22 Depth=3
	s_andn2_saveexec_b64 s[38:39], s[38:39]
	s_cbranch_execz .LBB212_26
.LBB212_25:                             ;   in Loop: Header=BB212_22 Depth=3
	v_mov_b32_e32 v17, s33
	ds_cmpst_rtn_b32 v16, v16, v17, v15
	s_andn2_b64 s[36:37], s[36:37], exec
	s_waitcnt lgkmcnt(0)
	v_cmp_ne_u32_e32 vcc, s33, v16
	s_and_b64 s[40:41], vcc, exec
	s_or_b64 s[36:37], s[36:37], s[40:41]
.LBB212_26:                             ;   in Loop: Header=BB212_22 Depth=3
	s_or_b64 exec, exec, s[38:39]
	s_mov_b64 s[38:39], -1
                                        ; implicit-def: $vgpr16
                                        ; implicit-def: $vgpr17
	s_and_saveexec_b64 s[40:41], s[36:37]
	s_cbranch_execz .LBB212_21
; %bb.27:                               ;   in Loop: Header=BB212_22 Depth=3
	v_lshl_add_u32 v16, v14, 2, 0
	ds_read_b32 v17, v16
	s_waitcnt lgkmcnt(0)
	v_cmp_eq_u32_e32 vcc, v17, v15
	s_orn2_b64 s[38:39], vcc, exec
	s_branch .LBB212_21
.LBB212_28:
	s_or_b64 exec, exec, s[2:3]
.LBB212_29:
	s_andn2_b64 vcc, exec, s[34:35]
	s_cbranch_vccnz .LBB212_44
; %bb.30:
	s_waitcnt lgkmcnt(0)
	s_ashr_i32 s47, s46, 31
	s_lshl_b64 s[0:1], s[46:47], 3
	s_add_u32 s0, s14, s0
	s_addc_u32 s1, s15, s1
	s_load_dwordx4 s[4:7], s[0:1], 0x0
	v_subrev_co_u32_e32 v2, vcc, s67, v0
	s_nop 1
	v_subb_co_u32_e64 v3, s[0:1], 0, 0, vcc
	s_waitcnt lgkmcnt(0)
	s_sub_u32 s0, s6, s67
	s_subb_u32 s1, s7, 0
	v_lshl_add_u64 v[2:3], s[4:5], 0, v[2:3]
	v_cmp_gt_i64_e32 vcc, s[0:1], v[2:3]
	s_and_saveexec_b64 s[2:3], vcc
	s_cbranch_execz .LBB212_43
; %bb.31:
	s_mov_b64 s[4:5], 0
	s_movk_i32 s18, 0x89
	s_mov_b64 s[6:7], 0x400
	s_branch .LBB212_34
.LBB212_32:                             ;   in Loop: Header=BB212_34 Depth=1
	s_or_b64 exec, exec, s[10:11]
.LBB212_33:                             ;   in Loop: Header=BB212_34 Depth=1
	s_or_b64 exec, exec, s[8:9]
	s_waitcnt vmcnt(0)
	v_mul_f32_e64 v7, v5, -s43
	v_mul_f32_e32 v5, s42, v5
	v_fmac_f32_e32 v7, s42, v4
	v_fmac_f32_e32 v5, s43, v4
	v_lshl_add_u32 v4, v6, 3, 0
	ds_add_f32 v4, v7 offset:32768
	ds_add_f32 v4, v5 offset:32772
	v_lshl_add_u64 v[2:3], v[2:3], 0, s[6:7]
	v_cmp_le_i64_e32 vcc, s[0:1], v[2:3]
	s_or_b64 s[4:5], vcc, s[4:5]
	s_andn2_b64 exec, exec, s[4:5]
	s_cbranch_execz .LBB212_43
.LBB212_34:                             ; =>This Loop Header: Depth=1
                                        ;     Child Loop BB212_37 Depth 2
	v_lshl_add_u64 v[4:5], v[2:3], 2, s[24:25]
	global_load_dword v6, v[4:5], off
	v_lshl_add_u64 v[4:5], v[2:3], 3, s[26:27]
	global_load_dwordx2 v[4:5], v[4:5], off
	s_waitcnt vmcnt(1)
	v_subrev_u32_e32 v7, s67, v6
	v_mul_lo_u32 v6, v7, s18
	v_and_b32_e32 v6, 0x1fff, v6
	v_lshl_add_u32 v8, v6, 2, 0
	ds_read_b32 v9, v8
	s_waitcnt lgkmcnt(0)
	v_cmp_ne_u32_e32 vcc, v9, v7
	s_and_saveexec_b64 s[8:9], vcc
	s_cbranch_execz .LBB212_33
; %bb.35:                               ;   in Loop: Header=BB212_34 Depth=1
	s_mov_b64 s[10:11], 0
	s_branch .LBB212_37
.LBB212_36:                             ;   in Loop: Header=BB212_37 Depth=2
	s_or_b64 exec, exec, s[16:17]
	s_and_b64 s[12:13], exec, s[14:15]
	s_or_b64 s[10:11], s[12:13], s[10:11]
	s_andn2_b64 exec, exec, s[10:11]
	s_cbranch_execz .LBB212_32
.LBB212_37:                             ;   Parent Loop BB212_34 Depth=1
                                        ; =>  This Inner Loop Header: Depth=2
	v_cmp_ne_u32_e32 vcc, s33, v9
	s_mov_b64 s[12:13], 0
	s_and_saveexec_b64 s[14:15], vcc
	s_xor_b64 s[14:15], exec, s[14:15]
	s_cbranch_execz .LBB212_39
; %bb.38:                               ;   in Loop: Header=BB212_37 Depth=2
	v_add_u32_e32 v6, 1, v6
	s_mov_b64 s[12:13], exec
	v_and_b32_e32 v6, 0x1fff, v6
                                        ; implicit-def: $vgpr8
	s_andn2_saveexec_b64 s[14:15], s[14:15]
	s_cbranch_execz .LBB212_41
	s_branch .LBB212_40
.LBB212_39:                             ;   in Loop: Header=BB212_37 Depth=2
	s_andn2_saveexec_b64 s[14:15], s[14:15]
	s_cbranch_execz .LBB212_41
.LBB212_40:                             ;   in Loop: Header=BB212_37 Depth=2
	v_mov_b32_e32 v9, s33
	ds_cmpst_rtn_b32 v8, v8, v9, v7
	s_andn2_b64 s[12:13], s[12:13], exec
	s_waitcnt lgkmcnt(0)
	v_cmp_ne_u32_e32 vcc, s33, v8
	s_and_b64 s[16:17], vcc, exec
	s_or_b64 s[12:13], s[12:13], s[16:17]
.LBB212_41:                             ;   in Loop: Header=BB212_37 Depth=2
	s_or_b64 exec, exec, s[14:15]
	s_mov_b64 s[14:15], -1
                                        ; implicit-def: $vgpr8
                                        ; implicit-def: $vgpr9
	s_and_saveexec_b64 s[16:17], s[12:13]
	s_cbranch_execz .LBB212_36
; %bb.42:                               ;   in Loop: Header=BB212_37 Depth=2
	v_lshl_add_u32 v8, v6, 2, 0
	ds_read_b32 v9, v8
	s_waitcnt lgkmcnt(0)
	v_cmp_eq_u32_e32 vcc, v9, v7
	s_orn2_b64 s[14:15], vcc, exec
	s_branch .LBB212_36
.LBB212_43:
	s_or_b64 exec, exec, s[2:3]
.LBB212_44:
	s_waitcnt lgkmcnt(0)
	v_writelane_b32 v30, s46, 4
	s_add_i32 s0, 0, 0x18000
	v_lshrrev_b32_e32 v4, 3, v0
	v_writelane_b32 v30, s47, 5
	v_writelane_b32 v30, s0, 6
	s_add_i32 s60, 0, 0x18004
	v_mbcnt_lo_u32_b32 v2, -1, 0
	v_and_b32_e32 v4, 0x7c, v4
	v_writelane_b32 v30, s60, 7
	s_add_i32 s60, 0, 0x18008
	v_mbcnt_hi_u32_b32 v2, -1, v2
	v_add_u32_e32 v6, s0, v4
	s_movk_i32 s0, 0x3ff
	v_writelane_b32 v30, s60, 8
	s_add_i32 s60, 0, 0x1800c
	v_sub_u32_e32 v2, 63, v2
	v_cmp_eq_u32_e32 vcc, s0, v0
	s_movk_i32 s0, 0x5f
	s_movk_i32 s2, 0x7f
	;; [unrolled: 1-line block ×29, first 2 shown]
	v_lshl_add_u32 v4, v0, 3, 0
	v_writelane_b32 v30, s60, 9
	s_add_i32 s60, 0, 0x18014
	v_lshrrev_b64 v[2:3], v2, -1
	v_cmp_lt_u32_e64 s[0:1], s0, v0
	v_cmp_lt_u32_e64 s[2:3], s2, v0
	;; [unrolled: 1-line block ×29, first 2 shown]
	v_add_u32_e32 v7, 0x8000, v4
	v_or_b32_e32 v8, 0xfffffc00, v0
	v_mov_b32_e32 v9, 0
	s_add_i32 s79, 0, 0x18010
	v_writelane_b32 v30, s60, 10
	s_add_i32 s82, 0, 0x18018
	s_add_i32 s83, 0, 0x1801c
	;; [unrolled: 1-line block ×26, first 2 shown]
	v_cmp_lt_u32_e64 s[60:61], 31, v0
	v_cmp_lt_u32_e64 s[62:63], 63, v0
	s_mov_b64 s[74:75], 0
	s_barrier
	s_branch .LBB212_46
.LBB212_45:                             ;   in Loop: Header=BB212_46 Depth=1
	s_or_b64 exec, exec, s[64:65]
	v_mov_b32_e32 v4, s78
	s_waitcnt lgkmcnt(0)
	s_barrier
	ds_read_b32 v4, v4
	v_add_u32_e32 v8, 0x400, v8
	s_movk_i32 s64, 0x1bff
	v_cmp_lt_u32_e64 s[64:65], s64, v8
	v_add_u32_e32 v7, 0x2000, v7
	s_waitcnt lgkmcnt(0)
	v_add_u32_e32 v9, v4, v9
	s_or_b64 s[74:75], s[64:65], s[74:75]
	v_add_u32_e32 v1, 0x1000, v1
	s_andn2_b64 exec, exec, s[74:75]
	s_cbranch_execz .LBB212_112
.LBB212_46:                             ; =>This Inner Loop Header: Depth=1
	ds_read_b32 v10, v1
	ds_read2_b32 v[4:5], v7 offset1:1
	s_waitcnt lgkmcnt(0)
	s_barrier
	v_cmp_gt_i32_e64 s[64:65], s33, v10
	s_bcnt1_i32_b64 s76, s[64:65]
	s_nop 0
	v_and_b32_e32 v12, s64, v2
	v_and_b32_e32 v11, s65, v3
	v_bcnt_u32_b32 v12, v12, 0
	v_bcnt_u32_b32 v11, v11, v12
	v_mov_b32_e32 v12, s76
	ds_write_b32 v6, v12
	s_waitcnt lgkmcnt(0)
	s_barrier
	s_and_saveexec_b64 s[76:77], s[60:61]
	s_cbranch_execz .LBB212_79
; %bb.47:                               ;   in Loop: Header=BB212_46 Depth=1
	v_readlane_b32 s80, v30, 6
	s_nop 1
	v_mov_b32_e32 v12, s80
	ds_read_b32 v12, v12
	s_waitcnt lgkmcnt(0)
	v_add_u32_e32 v11, v12, v11
	s_or_b64 exec, exec, s[76:77]
	s_and_saveexec_b64 s[76:77], s[62:63]
	s_cbranch_execnz .LBB212_80
.LBB212_48:                             ;   in Loop: Header=BB212_46 Depth=1
	s_or_b64 exec, exec, s[76:77]
	s_and_saveexec_b64 s[76:77], s[0:1]
	s_cbranch_execz .LBB212_81
.LBB212_49:                             ;   in Loop: Header=BB212_46 Depth=1
	v_readlane_b32 s80, v30, 8
	s_nop 1
	v_mov_b32_e32 v12, s80
	ds_read_b32 v12, v12
	s_waitcnt lgkmcnt(0)
	v_add_u32_e32 v11, v12, v11
	s_or_b64 exec, exec, s[76:77]
	s_and_saveexec_b64 s[76:77], s[2:3]
	s_cbranch_execnz .LBB212_82
.LBB212_50:                             ;   in Loop: Header=BB212_46 Depth=1
	s_or_b64 exec, exec, s[76:77]
	s_and_saveexec_b64 s[76:77], s[4:5]
	s_cbranch_execz .LBB212_83
.LBB212_51:                             ;   in Loop: Header=BB212_46 Depth=1
	v_mov_b32_e32 v12, s79
	ds_read_b32 v12, v12
	s_waitcnt lgkmcnt(0)
	v_add_u32_e32 v11, v12, v11
	s_or_b64 exec, exec, s[76:77]
	s_and_saveexec_b64 s[76:77], s[6:7]
	s_cbranch_execnz .LBB212_84
.LBB212_52:                             ;   in Loop: Header=BB212_46 Depth=1
	s_or_b64 exec, exec, s[76:77]
	s_and_saveexec_b64 s[76:77], s[8:9]
	s_cbranch_execz .LBB212_85
.LBB212_53:                             ;   in Loop: Header=BB212_46 Depth=1
	v_mov_b32_e32 v12, s82
	ds_read_b32 v12, v12
	s_waitcnt lgkmcnt(0)
	v_add_u32_e32 v11, v12, v11
	s_or_b64 exec, exec, s[76:77]
	s_and_saveexec_b64 s[76:77], s[10:11]
	s_cbranch_execnz .LBB212_86
.LBB212_54:                             ;   in Loop: Header=BB212_46 Depth=1
	s_or_b64 exec, exec, s[76:77]
	s_and_saveexec_b64 s[76:77], s[12:13]
	s_cbranch_execz .LBB212_87
.LBB212_55:                             ;   in Loop: Header=BB212_46 Depth=1
	v_mov_b32_e32 v12, s84
	ds_read_b32 v12, v12
	s_waitcnt lgkmcnt(0)
	v_add_u32_e32 v11, v12, v11
	s_or_b64 exec, exec, s[76:77]
	s_and_saveexec_b64 s[76:77], s[14:15]
	s_cbranch_execnz .LBB212_88
.LBB212_56:                             ;   in Loop: Header=BB212_46 Depth=1
	s_or_b64 exec, exec, s[76:77]
	s_and_saveexec_b64 s[76:77], s[16:17]
	s_cbranch_execz .LBB212_89
.LBB212_57:                             ;   in Loop: Header=BB212_46 Depth=1
	v_mov_b32_e32 v12, s86
	ds_read_b32 v12, v12
	s_waitcnt lgkmcnt(0)
	v_add_u32_e32 v11, v12, v11
	s_or_b64 exec, exec, s[76:77]
	s_and_saveexec_b64 s[76:77], s[18:19]
	s_cbranch_execnz .LBB212_90
.LBB212_58:                             ;   in Loop: Header=BB212_46 Depth=1
	s_or_b64 exec, exec, s[76:77]
	s_and_saveexec_b64 s[76:77], s[20:21]
	s_cbranch_execz .LBB212_91
.LBB212_59:                             ;   in Loop: Header=BB212_46 Depth=1
	v_mov_b32_e32 v12, s88
	ds_read_b32 v12, v12
	s_waitcnt lgkmcnt(0)
	v_add_u32_e32 v11, v12, v11
	s_or_b64 exec, exec, s[76:77]
	s_and_saveexec_b64 s[76:77], s[22:23]
	s_cbranch_execnz .LBB212_92
.LBB212_60:                             ;   in Loop: Header=BB212_46 Depth=1
	s_or_b64 exec, exec, s[76:77]
	s_and_saveexec_b64 s[76:77], s[24:25]
	s_cbranch_execz .LBB212_93
.LBB212_61:                             ;   in Loop: Header=BB212_46 Depth=1
	v_mov_b32_e32 v12, s90
	ds_read_b32 v12, v12
	s_waitcnt lgkmcnt(0)
	v_add_u32_e32 v11, v12, v11
	s_or_b64 exec, exec, s[76:77]
	s_and_saveexec_b64 s[76:77], s[26:27]
	s_cbranch_execnz .LBB212_94
.LBB212_62:                             ;   in Loop: Header=BB212_46 Depth=1
	s_or_b64 exec, exec, s[76:77]
	s_and_saveexec_b64 s[76:77], s[28:29]
	s_cbranch_execz .LBB212_95
.LBB212_63:                             ;   in Loop: Header=BB212_46 Depth=1
	v_mov_b32_e32 v12, s92
	ds_read_b32 v12, v12
	s_waitcnt lgkmcnt(0)
	v_add_u32_e32 v11, v12, v11
	s_or_b64 exec, exec, s[76:77]
	s_and_saveexec_b64 s[76:77], s[30:31]
	s_cbranch_execnz .LBB212_96
.LBB212_64:                             ;   in Loop: Header=BB212_46 Depth=1
	s_or_b64 exec, exec, s[76:77]
	s_and_saveexec_b64 s[76:77], s[34:35]
	s_cbranch_execz .LBB212_97
.LBB212_65:                             ;   in Loop: Header=BB212_46 Depth=1
	v_mov_b32_e32 v12, s94
	ds_read_b32 v12, v12
	s_waitcnt lgkmcnt(0)
	v_add_u32_e32 v11, v12, v11
	s_or_b64 exec, exec, s[76:77]
	s_and_saveexec_b64 s[76:77], s[36:37]
	s_cbranch_execnz .LBB212_98
.LBB212_66:                             ;   in Loop: Header=BB212_46 Depth=1
	s_or_b64 exec, exec, s[76:77]
	s_and_saveexec_b64 s[76:77], s[38:39]
	s_cbranch_execz .LBB212_99
.LBB212_67:                             ;   in Loop: Header=BB212_46 Depth=1
	v_mov_b32_e32 v12, s96
	ds_read_b32 v12, v12
	s_waitcnt lgkmcnt(0)
	v_add_u32_e32 v11, v12, v11
	s_or_b64 exec, exec, s[76:77]
	s_and_saveexec_b64 s[76:77], s[40:41]
	s_cbranch_execnz .LBB212_100
.LBB212_68:                             ;   in Loop: Header=BB212_46 Depth=1
	s_or_b64 exec, exec, s[76:77]
	s_and_saveexec_b64 s[76:77], s[42:43]
	s_cbranch_execz .LBB212_101
.LBB212_69:                             ;   in Loop: Header=BB212_46 Depth=1
	v_mov_b32_e32 v12, s98
	ds_read_b32 v12, v12
	s_waitcnt lgkmcnt(0)
	v_add_u32_e32 v11, v12, v11
	s_or_b64 exec, exec, s[76:77]
	s_and_saveexec_b64 s[76:77], s[44:45]
	s_cbranch_execnz .LBB212_102
.LBB212_70:                             ;   in Loop: Header=BB212_46 Depth=1
	s_or_b64 exec, exec, s[76:77]
	s_and_saveexec_b64 s[76:77], s[46:47]
	s_cbranch_execz .LBB212_103
.LBB212_71:                             ;   in Loop: Header=BB212_46 Depth=1
	v_mov_b32_e32 v12, s70
	ds_read_b32 v12, v12
	s_waitcnt lgkmcnt(0)
	v_add_u32_e32 v11, v12, v11
	s_or_b64 exec, exec, s[76:77]
	s_and_saveexec_b64 s[76:77], s[48:49]
	s_cbranch_execnz .LBB212_104
.LBB212_72:                             ;   in Loop: Header=BB212_46 Depth=1
	s_or_b64 exec, exec, s[76:77]
	s_and_saveexec_b64 s[76:77], s[50:51]
	s_cbranch_execz .LBB212_105
.LBB212_73:                             ;   in Loop: Header=BB212_46 Depth=1
	v_mov_b32_e32 v12, s72
	ds_read_b32 v12, v12
	s_waitcnt lgkmcnt(0)
	v_add_u32_e32 v11, v12, v11
	s_or_b64 exec, exec, s[76:77]
	s_and_saveexec_b64 s[76:77], s[52:53]
	s_cbranch_execnz .LBB212_106
.LBB212_74:                             ;   in Loop: Header=BB212_46 Depth=1
	s_or_b64 exec, exec, s[76:77]
	s_and_saveexec_b64 s[76:77], s[54:55]
	s_cbranch_execz .LBB212_107
.LBB212_75:                             ;   in Loop: Header=BB212_46 Depth=1
	v_mov_b32_e32 v12, s69
	ds_read_b32 v12, v12
	s_waitcnt lgkmcnt(0)
	v_add_u32_e32 v11, v12, v11
	s_or_b64 exec, exec, s[76:77]
	s_and_saveexec_b64 s[76:77], s[56:57]
	s_cbranch_execnz .LBB212_108
.LBB212_76:                             ;   in Loop: Header=BB212_46 Depth=1
	s_or_b64 exec, exec, s[76:77]
	s_and_saveexec_b64 s[76:77], s[58:59]
	s_cbranch_execz .LBB212_109
.LBB212_77:                             ;   in Loop: Header=BB212_46 Depth=1
	v_mov_b32_e32 v12, s73
	ds_read_b32 v12, v12
	s_waitcnt lgkmcnt(0)
	v_add_u32_e32 v11, v12, v11
	s_or_b64 exec, exec, s[76:77]
	s_and_saveexec_b64 s[76:77], s[64:65]
	s_cbranch_execnz .LBB212_110
.LBB212_78:                             ;   in Loop: Header=BB212_46 Depth=1
	s_or_b64 exec, exec, s[76:77]
	s_and_saveexec_b64 s[64:65], vcc
	s_cbranch_execz .LBB212_45
	s_branch .LBB212_111
.LBB212_79:                             ;   in Loop: Header=BB212_46 Depth=1
	s_or_b64 exec, exec, s[76:77]
	s_and_saveexec_b64 s[76:77], s[62:63]
	s_cbranch_execz .LBB212_48
.LBB212_80:                             ;   in Loop: Header=BB212_46 Depth=1
	v_readlane_b32 s80, v30, 7
	s_nop 1
	v_mov_b32_e32 v12, s80
	ds_read_b32 v12, v12
	s_waitcnt lgkmcnt(0)
	v_add_u32_e32 v11, v12, v11
	s_or_b64 exec, exec, s[76:77]
	s_and_saveexec_b64 s[76:77], s[0:1]
	s_cbranch_execnz .LBB212_49
.LBB212_81:                             ;   in Loop: Header=BB212_46 Depth=1
	s_or_b64 exec, exec, s[76:77]
	s_and_saveexec_b64 s[76:77], s[2:3]
	s_cbranch_execz .LBB212_50
.LBB212_82:                             ;   in Loop: Header=BB212_46 Depth=1
	v_readlane_b32 s80, v30, 9
	s_nop 1
	v_mov_b32_e32 v12, s80
	ds_read_b32 v12, v12
	s_waitcnt lgkmcnt(0)
	v_add_u32_e32 v11, v12, v11
	s_or_b64 exec, exec, s[76:77]
	s_and_saveexec_b64 s[76:77], s[4:5]
	s_cbranch_execnz .LBB212_51
.LBB212_83:                             ;   in Loop: Header=BB212_46 Depth=1
	s_or_b64 exec, exec, s[76:77]
	s_and_saveexec_b64 s[76:77], s[6:7]
	s_cbranch_execz .LBB212_52
.LBB212_84:                             ;   in Loop: Header=BB212_46 Depth=1
	v_readlane_b32 s80, v30, 10
	s_nop 1
	v_mov_b32_e32 v12, s80
	ds_read_b32 v12, v12
	s_waitcnt lgkmcnt(0)
	v_add_u32_e32 v11, v12, v11
	s_or_b64 exec, exec, s[76:77]
	s_and_saveexec_b64 s[76:77], s[8:9]
	s_cbranch_execnz .LBB212_53
.LBB212_85:                             ;   in Loop: Header=BB212_46 Depth=1
	s_or_b64 exec, exec, s[76:77]
	s_and_saveexec_b64 s[76:77], s[10:11]
	s_cbranch_execz .LBB212_54
.LBB212_86:                             ;   in Loop: Header=BB212_46 Depth=1
	v_mov_b32_e32 v12, s83
	ds_read_b32 v12, v12
	s_waitcnt lgkmcnt(0)
	v_add_u32_e32 v11, v12, v11
	s_or_b64 exec, exec, s[76:77]
	s_and_saveexec_b64 s[76:77], s[12:13]
	s_cbranch_execnz .LBB212_55
.LBB212_87:                             ;   in Loop: Header=BB212_46 Depth=1
	s_or_b64 exec, exec, s[76:77]
	s_and_saveexec_b64 s[76:77], s[14:15]
	s_cbranch_execz .LBB212_56
.LBB212_88:                             ;   in Loop: Header=BB212_46 Depth=1
	v_mov_b32_e32 v12, s85
	ds_read_b32 v12, v12
	s_waitcnt lgkmcnt(0)
	v_add_u32_e32 v11, v12, v11
	s_or_b64 exec, exec, s[76:77]
	s_and_saveexec_b64 s[76:77], s[16:17]
	s_cbranch_execnz .LBB212_57
.LBB212_89:                             ;   in Loop: Header=BB212_46 Depth=1
	s_or_b64 exec, exec, s[76:77]
	s_and_saveexec_b64 s[76:77], s[18:19]
	s_cbranch_execz .LBB212_58
.LBB212_90:                             ;   in Loop: Header=BB212_46 Depth=1
	v_mov_b32_e32 v12, s87
	ds_read_b32 v12, v12
	s_waitcnt lgkmcnt(0)
	v_add_u32_e32 v11, v12, v11
	s_or_b64 exec, exec, s[76:77]
	s_and_saveexec_b64 s[76:77], s[20:21]
	s_cbranch_execnz .LBB212_59
.LBB212_91:                             ;   in Loop: Header=BB212_46 Depth=1
	s_or_b64 exec, exec, s[76:77]
	s_and_saveexec_b64 s[76:77], s[22:23]
	s_cbranch_execz .LBB212_60
.LBB212_92:                             ;   in Loop: Header=BB212_46 Depth=1
	v_mov_b32_e32 v12, s89
	ds_read_b32 v12, v12
	s_waitcnt lgkmcnt(0)
	v_add_u32_e32 v11, v12, v11
	s_or_b64 exec, exec, s[76:77]
	s_and_saveexec_b64 s[76:77], s[24:25]
	s_cbranch_execnz .LBB212_61
.LBB212_93:                             ;   in Loop: Header=BB212_46 Depth=1
	s_or_b64 exec, exec, s[76:77]
	s_and_saveexec_b64 s[76:77], s[26:27]
	s_cbranch_execz .LBB212_62
.LBB212_94:                             ;   in Loop: Header=BB212_46 Depth=1
	v_mov_b32_e32 v12, s91
	ds_read_b32 v12, v12
	s_waitcnt lgkmcnt(0)
	v_add_u32_e32 v11, v12, v11
	s_or_b64 exec, exec, s[76:77]
	s_and_saveexec_b64 s[76:77], s[28:29]
	s_cbranch_execnz .LBB212_63
.LBB212_95:                             ;   in Loop: Header=BB212_46 Depth=1
	s_or_b64 exec, exec, s[76:77]
	s_and_saveexec_b64 s[76:77], s[30:31]
	s_cbranch_execz .LBB212_64
.LBB212_96:                             ;   in Loop: Header=BB212_46 Depth=1
	v_mov_b32_e32 v12, s93
	ds_read_b32 v12, v12
	s_waitcnt lgkmcnt(0)
	v_add_u32_e32 v11, v12, v11
	s_or_b64 exec, exec, s[76:77]
	s_and_saveexec_b64 s[76:77], s[34:35]
	s_cbranch_execnz .LBB212_65
.LBB212_97:                             ;   in Loop: Header=BB212_46 Depth=1
	s_or_b64 exec, exec, s[76:77]
	s_and_saveexec_b64 s[76:77], s[36:37]
	s_cbranch_execz .LBB212_66
.LBB212_98:                             ;   in Loop: Header=BB212_46 Depth=1
	v_mov_b32_e32 v12, s95
	ds_read_b32 v12, v12
	s_waitcnt lgkmcnt(0)
	v_add_u32_e32 v11, v12, v11
	s_or_b64 exec, exec, s[76:77]
	s_and_saveexec_b64 s[76:77], s[38:39]
	s_cbranch_execnz .LBB212_67
.LBB212_99:                             ;   in Loop: Header=BB212_46 Depth=1
	s_or_b64 exec, exec, s[76:77]
	s_and_saveexec_b64 s[76:77], s[40:41]
	s_cbranch_execz .LBB212_68
.LBB212_100:                            ;   in Loop: Header=BB212_46 Depth=1
	v_mov_b32_e32 v12, s97
	ds_read_b32 v12, v12
	s_waitcnt lgkmcnt(0)
	v_add_u32_e32 v11, v12, v11
	s_or_b64 exec, exec, s[76:77]
	s_and_saveexec_b64 s[76:77], s[42:43]
	s_cbranch_execnz .LBB212_69
.LBB212_101:                            ;   in Loop: Header=BB212_46 Depth=1
	s_or_b64 exec, exec, s[76:77]
	s_and_saveexec_b64 s[76:77], s[44:45]
	s_cbranch_execz .LBB212_70
.LBB212_102:                            ;   in Loop: Header=BB212_46 Depth=1
	v_mov_b32_e32 v12, s99
	ds_read_b32 v12, v12
	s_waitcnt lgkmcnt(0)
	v_add_u32_e32 v11, v12, v11
	s_or_b64 exec, exec, s[76:77]
	s_and_saveexec_b64 s[76:77], s[46:47]
	s_cbranch_execnz .LBB212_71
.LBB212_103:                            ;   in Loop: Header=BB212_46 Depth=1
	s_or_b64 exec, exec, s[76:77]
	s_and_saveexec_b64 s[76:77], s[48:49]
	s_cbranch_execz .LBB212_72
.LBB212_104:                            ;   in Loop: Header=BB212_46 Depth=1
	v_mov_b32_e32 v12, s71
	ds_read_b32 v12, v12
	s_waitcnt lgkmcnt(0)
	v_add_u32_e32 v11, v12, v11
	s_or_b64 exec, exec, s[76:77]
	s_and_saveexec_b64 s[76:77], s[50:51]
	s_cbranch_execnz .LBB212_73
.LBB212_105:                            ;   in Loop: Header=BB212_46 Depth=1
	s_or_b64 exec, exec, s[76:77]
	s_and_saveexec_b64 s[76:77], s[52:53]
	s_cbranch_execz .LBB212_74
.LBB212_106:                            ;   in Loop: Header=BB212_46 Depth=1
	v_mov_b32_e32 v12, s68
	ds_read_b32 v12, v12
	s_waitcnt lgkmcnt(0)
	v_add_u32_e32 v11, v12, v11
	s_or_b64 exec, exec, s[76:77]
	s_and_saveexec_b64 s[76:77], s[54:55]
	s_cbranch_execnz .LBB212_75
.LBB212_107:                            ;   in Loop: Header=BB212_46 Depth=1
	s_or_b64 exec, exec, s[76:77]
	s_and_saveexec_b64 s[76:77], s[56:57]
	s_cbranch_execz .LBB212_76
.LBB212_108:                            ;   in Loop: Header=BB212_46 Depth=1
	v_mov_b32_e32 v12, s67
	ds_read_b32 v12, v12
	s_waitcnt lgkmcnt(0)
	v_add_u32_e32 v11, v12, v11
	s_or_b64 exec, exec, s[76:77]
	s_and_saveexec_b64 s[76:77], s[58:59]
	s_cbranch_execnz .LBB212_77
.LBB212_109:                            ;   in Loop: Header=BB212_46 Depth=1
	s_or_b64 exec, exec, s[76:77]
	s_and_saveexec_b64 s[76:77], s[64:65]
	s_cbranch_execz .LBB212_78
.LBB212_110:                            ;   in Loop: Header=BB212_46 Depth=1
	v_add3_u32 v12, v9, -1, v11
	v_add_u32_e32 v13, v9, v11
	v_lshl_add_u32 v12, v12, 2, 0
	v_lshl_add_u32 v13, v13, 3, 0
	v_add_u32_e32 v13, 0x7ff8, v13
	ds_write_b32 v12, v10
	ds_write2_b32 v13, v4, v5 offset1:1
	s_or_b64 exec, exec, s[76:77]
	s_and_saveexec_b64 s[64:65], vcc
	s_cbranch_execz .LBB212_45
.LBB212_111:                            ;   in Loop: Header=BB212_46 Depth=1
	v_mov_b32_e32 v4, s78
	ds_write_b32 v4, v11
	s_branch .LBB212_45
.LBB212_112:
	s_or_b64 exec, exec, s[74:75]
	v_readlane_b32 s0, v30, 4
	v_readlane_b32 s1, v30, 5
	s_ashr_i32 s1, s0, 31
	s_lshl_b64 s[0:1], s[0:1], 3
	v_readlane_b32 s2, v30, 0
	v_readlane_b32 s3, v30, 1
	s_add_u32 s4, s2, s0
	s_addc_u32 s5, s3, s1
	s_load_dwordx4 s[0:3], s[4:5], 0x0
	s_waitcnt lgkmcnt(0)
	s_sub_i32 s8, s2, s0
	v_cmp_gt_i32_e32 vcc, s8, v0
	s_and_saveexec_b64 s[4:5], vcc
	s_cbranch_execz .LBB212_122
; %bb.113:
	s_sub_u32 s4, s0, s66
	s_subb_u32 s5, s1, 0
	s_and_b32 s10, s8, 7
	s_sub_i32 s0, s0, s2
	s_cmp_lt_u32 s0, -7
	s_cselect_b64 s[0:1], -1, 0
	s_and_b32 s11, s8, -8
	s_cmp_lg_u32 s10, 0
	v_cndmask_b32_e64 v1, 0, 1, s[0:1]
	s_cselect_b64 s[2:3], -1, 0
	v_cmp_ne_u32_e64 s[0:1], 1, v1
	v_cndmask_b32_e64 v1, 0, 1, s[2:3]
	s_mov_b32 s9, 0
	s_mov_b64 s[6:7], 0
	s_mov_b32 s12, 0x8000
	v_cmp_ne_u32_e64 s[2:3], 1, v1
	s_branch .LBB212_115
.LBB212_114:                            ;   in Loop: Header=BB212_115 Depth=1
	v_readlane_b32 s14, v30, 2
	v_add_u32_e32 v0, 0x400, v0
	v_readlane_b32 s15, v30, 3
	v_cmp_le_i32_e32 vcc, s8, v0
	s_or_b64 s[6:7], vcc, s[6:7]
	v_lshl_add_u64 v[4:5], v[4:5], 3, s[14:15]
	s_waitcnt lgkmcnt(0)
	global_store_dwordx2 v[4:5], v[2:3], off
	s_andn2_b64 exec, exec, s[6:7]
	s_cbranch_execz .LBB212_122
.LBB212_115:                            ; =>This Loop Header: Depth=1
                                        ;     Child Loop BB212_117 Depth 2
                                        ;     Child Loop BB212_121 Depth 2
	v_lshlrev_b32_e32 v1, 2, v0
	v_add_u32_e32 v2, 0, v1
	v_add3_u32 v3, v2, v1, s12
	ds_read_b32 v1, v2
	ds_read2_b32 v[2:3], v3 offset1:1
	s_and_b64 vcc, exec, s[0:1]
	v_mov_b64_e32 v[4:5], s[4:5]
	s_mov_b32 s13, 0
	s_cbranch_vccnz .LBB212_119
; %bb.116:                              ;   in Loop: Header=BB212_115 Depth=1
	s_mov_b32 s14, 0
	v_mov_b64_e32 v[4:5], s[4:5]
.LBB212_117:                            ;   Parent Loop BB212_115 Depth=1
                                        ; =>  This Inner Loop Header: Depth=2
	v_mov_b32_e32 v6, s14
	ds_read2_b32 v[22:23], v6 offset1:1
	ds_read2_b32 v[24:25], v6 offset0:2 offset1:3
	ds_read2_b32 v[26:27], v6 offset0:4 offset1:5
	;; [unrolled: 1-line block ×3, first 2 shown]
	v_mov_b32_e32 v7, s9
	s_waitcnt lgkmcnt(3)
	v_cmp_gt_i32_e32 vcc, v1, v22
	v_mov_b32_e32 v9, s9
	v_mov_b32_e32 v11, s9
	v_cndmask_b32_e64 v6, 0, 1, vcc
	v_cmp_gt_i32_e32 vcc, v1, v23
	v_lshl_add_u64 v[4:5], v[4:5], 0, v[6:7]
	v_mov_b32_e32 v13, s9
	v_cndmask_b32_e64 v8, 0, 1, vcc
	s_waitcnt lgkmcnt(2)
	v_cmp_gt_i32_e32 vcc, v1, v24
	v_lshl_add_u64 v[4:5], v[4:5], 0, v[8:9]
	v_mov_b32_e32 v15, s9
	v_cndmask_b32_e64 v10, 0, 1, vcc
	v_cmp_gt_i32_e32 vcc, v1, v25
	v_lshl_add_u64 v[4:5], v[4:5], 0, v[10:11]
	v_mov_b32_e32 v17, s9
	v_cndmask_b32_e64 v12, 0, 1, vcc
	s_waitcnt lgkmcnt(1)
	v_cmp_gt_i32_e32 vcc, v1, v26
	v_lshl_add_u64 v[4:5], v[4:5], 0, v[12:13]
	;; [unrolled: 9-line block ×3, first 2 shown]
	s_add_i32 s13, s13, 8
	v_cndmask_b32_e64 v18, 0, 1, vcc
	v_cmp_gt_i32_e32 vcc, v1, v29
	s_add_i32 s14, s14, 32
	v_lshl_add_u64 v[4:5], v[4:5], 0, v[18:19]
	v_cndmask_b32_e64 v20, 0, 1, vcc
	s_cmp_eq_u32 s11, s13
	v_lshl_add_u64 v[4:5], v[4:5], 0, v[20:21]
	s_cbranch_scc0 .LBB212_117
; %bb.118:                              ;   in Loop: Header=BB212_115 Depth=1
	s_mov_b32 s13, s11
.LBB212_119:                            ;   in Loop: Header=BB212_115 Depth=1
	s_and_b64 vcc, exec, s[2:3]
	s_cbranch_vccnz .LBB212_114
; %bb.120:                              ;   in Loop: Header=BB212_115 Depth=1
	s_lshl_b32 s13, s13, 2
	s_add_i32 s13, s13, 0
	s_mov_b32 s14, s10
.LBB212_121:                            ;   Parent Loop BB212_115 Depth=1
                                        ; =>  This Inner Loop Header: Depth=2
	v_mov_b32_e32 v6, s13
	ds_read_b32 v6, v6
	v_mov_b32_e32 v7, s9
	s_add_i32 s13, s13, 4
	s_add_i32 s14, s14, -1
	s_cmp_lg_u32 s14, 0
	s_waitcnt lgkmcnt(0)
	v_cmp_gt_i32_e32 vcc, v1, v6
	s_nop 1
	v_cndmask_b32_e64 v6, 0, 1, vcc
	v_lshl_add_u64 v[4:5], v[4:5], 0, v[6:7]
	s_cbranch_scc1 .LBB212_121
	s_branch .LBB212_114
.LBB212_122:
	s_endpgm
	.section	.rodata,"a",@progbits
	.p2align	6, 0x0
	.amdhsa_kernel _ZN9rocsparseL41csrgemm_numeric_fill_block_per_row_kernelILj1024ELj64ELj8192ELj137ELj32Eli21rocsparse_complex_numIfEEEvT5_PKS3_S5_NS_24const_host_device_scalarIT6_EEPKT4_S5_PKS7_SB_S5_SD_S8_SB_S5_SD_SB_S5_PS7_21rocsparse_index_base_SF_SF_SF_bbb
		.amdhsa_group_segment_fixed_size 0
		.amdhsa_private_segment_fixed_size 0
		.amdhsa_kernarg_size 156
		.amdhsa_user_sgpr_count 2
		.amdhsa_user_sgpr_dispatch_ptr 0
		.amdhsa_user_sgpr_queue_ptr 0
		.amdhsa_user_sgpr_kernarg_segment_ptr 1
		.amdhsa_user_sgpr_dispatch_id 0
		.amdhsa_user_sgpr_kernarg_preload_length 0
		.amdhsa_user_sgpr_kernarg_preload_offset 0
		.amdhsa_user_sgpr_private_segment_size 0
		.amdhsa_uses_dynamic_stack 0
		.amdhsa_enable_private_segment 0
		.amdhsa_system_sgpr_workgroup_id_x 1
		.amdhsa_system_sgpr_workgroup_id_y 0
		.amdhsa_system_sgpr_workgroup_id_z 0
		.amdhsa_system_sgpr_workgroup_info 0
		.amdhsa_system_vgpr_workitem_id 0
		.amdhsa_next_free_vgpr 31
		.amdhsa_next_free_sgpr 100
		.amdhsa_accum_offset 32
		.amdhsa_reserve_vcc 1
		.amdhsa_float_round_mode_32 0
		.amdhsa_float_round_mode_16_64 0
		.amdhsa_float_denorm_mode_32 3
		.amdhsa_float_denorm_mode_16_64 3
		.amdhsa_dx10_clamp 1
		.amdhsa_ieee_mode 1
		.amdhsa_fp16_overflow 0
		.amdhsa_tg_split 0
		.amdhsa_exception_fp_ieee_invalid_op 0
		.amdhsa_exception_fp_denorm_src 0
		.amdhsa_exception_fp_ieee_div_zero 0
		.amdhsa_exception_fp_ieee_overflow 0
		.amdhsa_exception_fp_ieee_underflow 0
		.amdhsa_exception_fp_ieee_inexact 0
		.amdhsa_exception_int_div_zero 0
	.end_amdhsa_kernel
	.section	.text._ZN9rocsparseL41csrgemm_numeric_fill_block_per_row_kernelILj1024ELj64ELj8192ELj137ELj32Eli21rocsparse_complex_numIfEEEvT5_PKS3_S5_NS_24const_host_device_scalarIT6_EEPKT4_S5_PKS7_SB_S5_SD_S8_SB_S5_SD_SB_S5_PS7_21rocsparse_index_base_SF_SF_SF_bbb,"axG",@progbits,_ZN9rocsparseL41csrgemm_numeric_fill_block_per_row_kernelILj1024ELj64ELj8192ELj137ELj32Eli21rocsparse_complex_numIfEEEvT5_PKS3_S5_NS_24const_host_device_scalarIT6_EEPKT4_S5_PKS7_SB_S5_SD_S8_SB_S5_SD_SB_S5_PS7_21rocsparse_index_base_SF_SF_SF_bbb,comdat
.Lfunc_end212:
	.size	_ZN9rocsparseL41csrgemm_numeric_fill_block_per_row_kernelILj1024ELj64ELj8192ELj137ELj32Eli21rocsparse_complex_numIfEEEvT5_PKS3_S5_NS_24const_host_device_scalarIT6_EEPKT4_S5_PKS7_SB_S5_SD_S8_SB_S5_SD_SB_S5_PS7_21rocsparse_index_base_SF_SF_SF_bbb, .Lfunc_end212-_ZN9rocsparseL41csrgemm_numeric_fill_block_per_row_kernelILj1024ELj64ELj8192ELj137ELj32Eli21rocsparse_complex_numIfEEEvT5_PKS3_S5_NS_24const_host_device_scalarIT6_EEPKT4_S5_PKS7_SB_S5_SD_S8_SB_S5_SD_SB_S5_PS7_21rocsparse_index_base_SF_SF_SF_bbb
                                        ; -- End function
	.set _ZN9rocsparseL41csrgemm_numeric_fill_block_per_row_kernelILj1024ELj64ELj8192ELj137ELj32Eli21rocsparse_complex_numIfEEEvT5_PKS3_S5_NS_24const_host_device_scalarIT6_EEPKT4_S5_PKS7_SB_S5_SD_S8_SB_S5_SD_SB_S5_PS7_21rocsparse_index_base_SF_SF_SF_bbb.num_vgpr, 31
	.set _ZN9rocsparseL41csrgemm_numeric_fill_block_per_row_kernelILj1024ELj64ELj8192ELj137ELj32Eli21rocsparse_complex_numIfEEEvT5_PKS3_S5_NS_24const_host_device_scalarIT6_EEPKT4_S5_PKS7_SB_S5_SD_S8_SB_S5_SD_SB_S5_PS7_21rocsparse_index_base_SF_SF_SF_bbb.num_agpr, 0
	.set _ZN9rocsparseL41csrgemm_numeric_fill_block_per_row_kernelILj1024ELj64ELj8192ELj137ELj32Eli21rocsparse_complex_numIfEEEvT5_PKS3_S5_NS_24const_host_device_scalarIT6_EEPKT4_S5_PKS7_SB_S5_SD_S8_SB_S5_SD_SB_S5_PS7_21rocsparse_index_base_SF_SF_SF_bbb.numbered_sgpr, 100
	.set _ZN9rocsparseL41csrgemm_numeric_fill_block_per_row_kernelILj1024ELj64ELj8192ELj137ELj32Eli21rocsparse_complex_numIfEEEvT5_PKS3_S5_NS_24const_host_device_scalarIT6_EEPKT4_S5_PKS7_SB_S5_SD_S8_SB_S5_SD_SB_S5_PS7_21rocsparse_index_base_SF_SF_SF_bbb.num_named_barrier, 0
	.set _ZN9rocsparseL41csrgemm_numeric_fill_block_per_row_kernelILj1024ELj64ELj8192ELj137ELj32Eli21rocsparse_complex_numIfEEEvT5_PKS3_S5_NS_24const_host_device_scalarIT6_EEPKT4_S5_PKS7_SB_S5_SD_S8_SB_S5_SD_SB_S5_PS7_21rocsparse_index_base_SF_SF_SF_bbb.private_seg_size, 0
	.set _ZN9rocsparseL41csrgemm_numeric_fill_block_per_row_kernelILj1024ELj64ELj8192ELj137ELj32Eli21rocsparse_complex_numIfEEEvT5_PKS3_S5_NS_24const_host_device_scalarIT6_EEPKT4_S5_PKS7_SB_S5_SD_S8_SB_S5_SD_SB_S5_PS7_21rocsparse_index_base_SF_SF_SF_bbb.uses_vcc, 1
	.set _ZN9rocsparseL41csrgemm_numeric_fill_block_per_row_kernelILj1024ELj64ELj8192ELj137ELj32Eli21rocsparse_complex_numIfEEEvT5_PKS3_S5_NS_24const_host_device_scalarIT6_EEPKT4_S5_PKS7_SB_S5_SD_S8_SB_S5_SD_SB_S5_PS7_21rocsparse_index_base_SF_SF_SF_bbb.uses_flat_scratch, 0
	.set _ZN9rocsparseL41csrgemm_numeric_fill_block_per_row_kernelILj1024ELj64ELj8192ELj137ELj32Eli21rocsparse_complex_numIfEEEvT5_PKS3_S5_NS_24const_host_device_scalarIT6_EEPKT4_S5_PKS7_SB_S5_SD_S8_SB_S5_SD_SB_S5_PS7_21rocsparse_index_base_SF_SF_SF_bbb.has_dyn_sized_stack, 0
	.set _ZN9rocsparseL41csrgemm_numeric_fill_block_per_row_kernelILj1024ELj64ELj8192ELj137ELj32Eli21rocsparse_complex_numIfEEEvT5_PKS3_S5_NS_24const_host_device_scalarIT6_EEPKT4_S5_PKS7_SB_S5_SD_S8_SB_S5_SD_SB_S5_PS7_21rocsparse_index_base_SF_SF_SF_bbb.has_recursion, 0
	.set _ZN9rocsparseL41csrgemm_numeric_fill_block_per_row_kernelILj1024ELj64ELj8192ELj137ELj32Eli21rocsparse_complex_numIfEEEvT5_PKS3_S5_NS_24const_host_device_scalarIT6_EEPKT4_S5_PKS7_SB_S5_SD_S8_SB_S5_SD_SB_S5_PS7_21rocsparse_index_base_SF_SF_SF_bbb.has_indirect_call, 0
	.section	.AMDGPU.csdata,"",@progbits
; Kernel info:
; codeLenInByte = 4740
; TotalNumSgprs: 106
; NumVgprs: 31
; NumAgprs: 0
; TotalNumVgprs: 31
; ScratchSize: 0
; MemoryBound: 0
; FloatMode: 240
; IeeeMode: 1
; LDSByteSize: 0 bytes/workgroup (compile time only)
; SGPRBlocks: 13
; VGPRBlocks: 3
; NumSGPRsForWavesPerEU: 106
; NumVGPRsForWavesPerEU: 31
; AccumOffset: 32
; Occupancy: 7
; WaveLimiterHint : 1
; COMPUTE_PGM_RSRC2:SCRATCH_EN: 0
; COMPUTE_PGM_RSRC2:USER_SGPR: 2
; COMPUTE_PGM_RSRC2:TRAP_HANDLER: 0
; COMPUTE_PGM_RSRC2:TGID_X_EN: 1
; COMPUTE_PGM_RSRC2:TGID_Y_EN: 0
; COMPUTE_PGM_RSRC2:TGID_Z_EN: 0
; COMPUTE_PGM_RSRC2:TIDIG_COMP_CNT: 0
; COMPUTE_PGM_RSRC3_GFX90A:ACCUM_OFFSET: 7
; COMPUTE_PGM_RSRC3_GFX90A:TG_SPLIT: 0
	.section	.text._ZN9rocsparseL41csrgemm_numeric_fill_block_per_row_kernelILj1024ELj64ELj8192ELj137ELj64Eli21rocsparse_complex_numIfEEEvT5_PKS3_S5_NS_24const_host_device_scalarIT6_EEPKT4_S5_PKS7_SB_S5_SD_S8_SB_S5_SD_SB_S5_PS7_21rocsparse_index_base_SF_SF_SF_bbb,"axG",@progbits,_ZN9rocsparseL41csrgemm_numeric_fill_block_per_row_kernelILj1024ELj64ELj8192ELj137ELj64Eli21rocsparse_complex_numIfEEEvT5_PKS3_S5_NS_24const_host_device_scalarIT6_EEPKT4_S5_PKS7_SB_S5_SD_S8_SB_S5_SD_SB_S5_PS7_21rocsparse_index_base_SF_SF_SF_bbb,comdat
	.globl	_ZN9rocsparseL41csrgemm_numeric_fill_block_per_row_kernelILj1024ELj64ELj8192ELj137ELj64Eli21rocsparse_complex_numIfEEEvT5_PKS3_S5_NS_24const_host_device_scalarIT6_EEPKT4_S5_PKS7_SB_S5_SD_S8_SB_S5_SD_SB_S5_PS7_21rocsparse_index_base_SF_SF_SF_bbb ; -- Begin function _ZN9rocsparseL41csrgemm_numeric_fill_block_per_row_kernelILj1024ELj64ELj8192ELj137ELj64Eli21rocsparse_complex_numIfEEEvT5_PKS3_S5_NS_24const_host_device_scalarIT6_EEPKT4_S5_PKS7_SB_S5_SD_S8_SB_S5_SD_SB_S5_PS7_21rocsparse_index_base_SF_SF_SF_bbb
	.p2align	8
	.type	_ZN9rocsparseL41csrgemm_numeric_fill_block_per_row_kernelILj1024ELj64ELj8192ELj137ELj64Eli21rocsparse_complex_numIfEEEvT5_PKS3_S5_NS_24const_host_device_scalarIT6_EEPKT4_S5_PKS7_SB_S5_SD_S8_SB_S5_SD_SB_S5_PS7_21rocsparse_index_base_SF_SF_SF_bbb,@function
_ZN9rocsparseL41csrgemm_numeric_fill_block_per_row_kernelILj1024ELj64ELj8192ELj137ELj64Eli21rocsparse_complex_numIfEEEvT5_PKS3_S5_NS_24const_host_device_scalarIT6_EEPKT4_S5_PKS7_SB_S5_SD_S8_SB_S5_SD_SB_S5_PS7_21rocsparse_index_base_SF_SF_SF_bbb: ; @_ZN9rocsparseL41csrgemm_numeric_fill_block_per_row_kernelILj1024ELj64ELj8192ELj137ELj64Eli21rocsparse_complex_numIfEEEvT5_PKS3_S5_NS_24const_host_device_scalarIT6_EEPKT4_S5_PKS7_SB_S5_SD_S8_SB_S5_SD_SB_S5_PS7_21rocsparse_index_base_SF_SF_SF_bbb
; %bb.0:
	s_load_dwordx2 s[40:41], s[0:1], 0x70
	s_load_dwordx4 s[24:27], s[0:1], 0x60
	s_load_dwordx8 s[8:15], s[0:1], 0x40
	s_load_dword s3, s[0:1], 0x98
	s_load_dwordx4 s[28:31], s[0:1], 0x8
	s_load_dwordx8 s[16:23], s[0:1], 0x20
	s_load_dwordx2 s[34:35], s[0:1], 0x80
	s_load_dwordx4 s[36:39], s[0:1], 0x88
	s_waitcnt lgkmcnt(0)
	s_bitcmp1_b32 s3, 0
	s_cselect_b64 s[46:47], -1, 0
	s_bitcmp1_b32 s3, 16
	s_cselect_b64 s[4:5], -1, 0
	s_xor_b64 s[4:5], s[4:5], -1
	v_cndmask_b32_e64 v1, 0, 1, s[4:5]
	s_mov_b32 s7, 0
	s_bitcmp0_b32 s3, 0
	v_cmp_ne_u32_e64 s[4:5], 1, v1
	s_mov_b32 s54, 0
	s_cbranch_scc1 .LBB213_5
; %bb.1:
	s_load_dwordx2 s[6:7], s[0:1], 0x18
	s_and_b64 vcc, exec, s[4:5]
	s_waitcnt lgkmcnt(0)
	s_mov_b32 s54, s6
	s_cbranch_vccnz .LBB213_3
; %bb.2:
	s_load_dword s54, s[6:7], 0x0
.LBB213_3:
	s_and_b64 vcc, exec, s[4:5]
	s_cbranch_vccnz .LBB213_5
; %bb.4:
	s_load_dword s7, s[6:7], 0x4
.LBB213_5:
	s_bitcmp1_b32 s3, 8
	s_cselect_b64 s[44:45], -1, 0
	s_bfe_u32 s3, s3, 0x10008
	s_mov_b32 s52, 0
	s_cmp_eq_u32 s3, 0
	s_mov_b32 s53, 0
	s_cbranch_scc1 .LBB213_11
; %bb.6:
	s_and_b64 vcc, exec, s[4:5]
	s_mov_b32 s52, s12
	s_cbranch_vccnz .LBB213_8
; %bb.7:
	s_load_dword s52, s[12:13], 0x0
.LBB213_8:
	s_and_b64 vcc, exec, s[4:5]
	s_cbranch_vccnz .LBB213_10
; %bb.9:
	s_load_dword s13, s[12:13], 0x4
.LBB213_10:
	s_waitcnt lgkmcnt(0)
	s_mov_b32 s53, s13
.LBB213_11:
	s_load_dword s33, s[0:1], 0x0
	v_lshlrev_b32_e32 v2, 2, v0
	v_add_u32_e32 v1, 0, v2
	v_add_u32_e32 v2, v1, v2
	;; [unrolled: 1-line block ×3, first 2 shown]
	v_mov_b32_e32 v5, 0
	s_waitcnt lgkmcnt(0)
	v_mov_b32_e32 v4, s33
	ds_write2_b32 v3, v5, v5 offset1:1
	v_mov_b32_e32 v3, s33
	ds_write2st64_b32 v1, v4, v3 offset1:16
	v_add_u32_e32 v3, 0xa000, v2
	v_add_u32_e32 v4, 0xc000, v2
	ds_write2_b32 v3, v5, v5 offset1:1
	v_mov_b32_e32 v3, s33
	ds_write2_b32 v4, v5, v5 offset1:1
	v_mov_b32_e32 v4, s33
	v_add_u32_e32 v2, 0xe000, v2
	ds_write2st64_b32 v1, v3, v4 offset0:32 offset1:48
	ds_write2_b32 v2, v5, v5 offset1:1
	v_mov_b32_e32 v2, s33
	s_add_i32 s0, 0, 0x8000
	ds_write_b32 v1, v2 offset:16384
	v_lshl_add_u32 v2, v0, 3, s0
	v_add_u32_e32 v3, 0x8000, v2
	ds_write2_b32 v3, v5, v5 offset1:1
	v_mov_b32_e32 v3, s33
	ds_write_b32 v1, v3 offset:20480
	v_add_u32_e32 v3, 0xa000, v2
	ds_write2_b32 v3, v5, v5 offset1:1
	v_mov_b32_e32 v3, s33
	ds_write_b32 v1, v3 offset:24576
	v_add_u32_e32 v3, 0xc000, v2
	ds_write2_b32 v3, v5, v5 offset1:1
	v_mov_b32_e32 v3, s33
	v_add_u32_e32 v2, 0xe000, v2
	ds_write_b32 v1, v3 offset:28672
	ds_write2_b32 v2, v5, v5 offset1:1
	s_waitcnt lgkmcnt(0)
	s_barrier
	s_load_dword s0, s[28:29], 0x0
	s_mov_b32 s1, 0
	v_lshrrev_b32_e32 v12, 6, v0
	s_waitcnt lgkmcnt(0)
	s_add_i32 s0, s0, s2
	s_lshl_b64 s[0:1], s[0:1], 2
	s_add_u32 s0, s30, s0
	s_addc_u32 s1, s31, s1
	s_load_dword s42, s[0:1], 0x0
	s_andn2_b64 vcc, exec, s[46:47]
	s_cbranch_vccnz .LBB213_29
; %bb.12:
	s_waitcnt lgkmcnt(0)
	s_ashr_i32 s43, s42, 31
	s_lshl_b64 s[0:1], s[42:43], 3
	s_add_u32 s0, s16, s0
	s_addc_u32 s1, s17, s1
	s_load_dwordx4 s[28:31], s[0:1], 0x0
	v_subrev_co_u32_e32 v2, vcc, s36, v12
	s_nop 1
	v_subb_co_u32_e64 v3, s[0:1], 0, 0, vcc
	s_waitcnt lgkmcnt(0)
	s_sub_u32 s0, s30, s36
	s_subb_u32 s1, s31, 0
	v_lshl_add_u64 v[2:3], s[28:29], 0, v[2:3]
	v_cmp_gt_i64_e32 vcc, s[0:1], v[2:3]
	s_and_saveexec_b64 s[2:3], vcc
	s_cbranch_execz .LBB213_28
; %bb.13:
	v_and_b32_e32 v4, 63, v0
	v_subrev_co_u32_e32 v4, vcc, s37, v4
	s_mov_b32 s6, s37
	s_nop 0
	v_subb_co_u32_e64 v5, s[4:5], 0, 0, vcc
	s_mov_b64 s[4:5], 0
	s_movk_i32 s43, 0x89
	s_branch .LBB213_15
.LBB213_14:                             ;   in Loop: Header=BB213_15 Depth=1
	s_or_b64 exec, exec, s[12:13]
	v_lshl_add_u64 v[2:3], v[2:3], 0, 16
	v_cmp_le_i64_e32 vcc, s[0:1], v[2:3]
	s_or_b64 s[4:5], vcc, s[4:5]
	s_andn2_b64 exec, exec, s[4:5]
	s_cbranch_execz .LBB213_28
.LBB213_15:                             ; =>This Loop Header: Depth=1
                                        ;     Child Loop BB213_19 Depth 2
                                        ;       Child Loop BB213_22 Depth 3
	v_lshl_add_u64 v[6:7], v[2:3], 2, s[18:19]
	global_load_dword v6, v[6:7], off
	s_waitcnt vmcnt(0)
	v_subrev_u32_e32 v6, s36, v6
	v_ashrrev_i32_e32 v7, 31, v6
	v_lshl_add_u64 v[6:7], v[6:7], 3, s[22:23]
	global_load_dwordx4 v[8:11], v[6:7], off
	s_waitcnt vmcnt(0)
	v_subrev_co_u32_e32 v6, vcc, s6, v10
	s_nop 1
	v_subbrev_co_u32_e32 v7, vcc, 0, v11, vcc
	v_lshl_add_u64 v[8:9], v[8:9], 0, v[4:5]
	v_cmp_lt_i64_e32 vcc, v[8:9], v[6:7]
	s_and_saveexec_b64 s[12:13], vcc
	s_cbranch_execz .LBB213_14
; %bb.16:                               ;   in Loop: Header=BB213_15 Depth=1
	v_lshl_add_u64 v[10:11], v[2:3], 3, s[20:21]
	global_load_dwordx2 v[10:11], v[10:11], off
	s_mov_b64 s[16:17], 0
	s_waitcnt vmcnt(0)
	v_mul_f32_e64 v13, v11, -s7
	v_mul_f32_e32 v14, s54, v11
	v_fmac_f32_e32 v13, s54, v10
	v_fmac_f32_e32 v14, s7, v10
	s_branch .LBB213_19
.LBB213_17:                             ;   in Loop: Header=BB213_19 Depth=2
	s_or_b64 exec, exec, s[30:31]
.LBB213_18:                             ;   in Loop: Header=BB213_19 Depth=2
	s_or_b64 exec, exec, s[28:29]
	s_waitcnt vmcnt(0)
	v_mul_f32_e64 v16, v11, -v14
	v_mul_f32_e32 v11, v13, v11
	v_fmac_f32_e32 v16, v13, v10
	v_fmac_f32_e32 v11, v14, v10
	v_lshl_add_u32 v10, v15, 3, 0
	ds_add_f32 v10, v16 offset:32768
	ds_add_f32 v10, v11 offset:32772
	v_lshl_add_u64 v[8:9], v[8:9], 0, 64
	v_cmp_ge_i64_e32 vcc, v[8:9], v[6:7]
	s_or_b64 s[16:17], vcc, s[16:17]
	s_andn2_b64 exec, exec, s[16:17]
	s_cbranch_execz .LBB213_14
.LBB213_19:                             ;   Parent Loop BB213_15 Depth=1
                                        ; =>  This Loop Header: Depth=2
                                        ;       Child Loop BB213_22 Depth 3
	v_lshl_add_u64 v[10:11], v[8:9], 2, s[8:9]
	global_load_dword v15, v[10:11], off
	v_lshl_add_u64 v[10:11], v[8:9], 3, s[10:11]
	global_load_dwordx2 v[10:11], v[10:11], off
	s_waitcnt vmcnt(1)
	v_subrev_u32_e32 v16, s37, v15
	v_mul_lo_u32 v15, v16, s43
	v_and_b32_e32 v15, 0x1fff, v15
	v_lshl_add_u32 v17, v15, 2, 0
	ds_read_b32 v18, v17
	s_waitcnt lgkmcnt(0)
	v_cmp_ne_u32_e32 vcc, v18, v16
	s_and_saveexec_b64 s[28:29], vcc
	s_cbranch_execz .LBB213_18
; %bb.20:                               ;   in Loop: Header=BB213_19 Depth=2
	s_mov_b64 s[30:31], 0
	s_branch .LBB213_22
.LBB213_21:                             ;   in Loop: Header=BB213_22 Depth=3
	s_or_b64 exec, exec, s[50:51]
	s_and_b64 s[46:47], exec, s[48:49]
	s_or_b64 s[30:31], s[46:47], s[30:31]
	s_andn2_b64 exec, exec, s[30:31]
	s_cbranch_execz .LBB213_17
.LBB213_22:                             ;   Parent Loop BB213_15 Depth=1
                                        ;     Parent Loop BB213_19 Depth=2
                                        ; =>    This Inner Loop Header: Depth=3
	v_cmp_ne_u32_e32 vcc, s33, v18
	s_mov_b64 s[46:47], 0
	s_and_saveexec_b64 s[48:49], vcc
	s_xor_b64 s[48:49], exec, s[48:49]
	s_cbranch_execz .LBB213_24
; %bb.23:                               ;   in Loop: Header=BB213_22 Depth=3
	v_add_u32_e32 v15, 1, v15
	s_mov_b64 s[46:47], exec
	v_and_b32_e32 v15, 0x1fff, v15
                                        ; implicit-def: $vgpr17
	s_andn2_saveexec_b64 s[48:49], s[48:49]
	s_cbranch_execz .LBB213_26
	s_branch .LBB213_25
.LBB213_24:                             ;   in Loop: Header=BB213_22 Depth=3
	s_andn2_saveexec_b64 s[48:49], s[48:49]
	s_cbranch_execz .LBB213_26
.LBB213_25:                             ;   in Loop: Header=BB213_22 Depth=3
	v_mov_b32_e32 v18, s33
	ds_cmpst_rtn_b32 v17, v17, v18, v16
	s_andn2_b64 s[46:47], s[46:47], exec
	s_waitcnt lgkmcnt(0)
	v_cmp_ne_u32_e32 vcc, s33, v17
	s_and_b64 s[50:51], vcc, exec
	s_or_b64 s[46:47], s[46:47], s[50:51]
.LBB213_26:                             ;   in Loop: Header=BB213_22 Depth=3
	s_or_b64 exec, exec, s[48:49]
	s_mov_b64 s[48:49], -1
                                        ; implicit-def: $vgpr17
                                        ; implicit-def: $vgpr18
	s_and_saveexec_b64 s[50:51], s[46:47]
	s_cbranch_execz .LBB213_21
; %bb.27:                               ;   in Loop: Header=BB213_22 Depth=3
	v_lshl_add_u32 v17, v15, 2, 0
	ds_read_b32 v18, v17
	s_waitcnt lgkmcnt(0)
	v_cmp_eq_u32_e32 vcc, v18, v16
	s_orn2_b64 s[48:49], vcc, exec
	s_branch .LBB213_21
.LBB213_28:
	s_or_b64 exec, exec, s[2:3]
.LBB213_29:
	s_andn2_b64 vcc, exec, s[44:45]
	s_cbranch_vccnz .LBB213_44
; %bb.30:
	s_waitcnt lgkmcnt(0)
	s_ashr_i32 s43, s42, 31
	s_lshl_b64 s[0:1], s[42:43], 3
	s_add_u32 s0, s14, s0
	s_addc_u32 s1, s15, s1
	s_load_dwordx4 s[4:7], s[0:1], 0x0
	v_subrev_co_u32_e32 v2, vcc, s39, v0
	s_nop 1
	v_subb_co_u32_e64 v3, s[0:1], 0, 0, vcc
	s_waitcnt lgkmcnt(0)
	s_sub_u32 s0, s6, s39
	s_subb_u32 s1, s7, 0
	v_lshl_add_u64 v[2:3], s[4:5], 0, v[2:3]
	v_cmp_gt_i64_e32 vcc, s[0:1], v[2:3]
	s_and_saveexec_b64 s[2:3], vcc
	s_cbranch_execz .LBB213_43
; %bb.31:
	s_mov_b64 s[4:5], 0
	s_movk_i32 s18, 0x89
	s_mov_b64 s[6:7], 0x400
	s_branch .LBB213_34
.LBB213_32:                             ;   in Loop: Header=BB213_34 Depth=1
	s_or_b64 exec, exec, s[10:11]
.LBB213_33:                             ;   in Loop: Header=BB213_34 Depth=1
	s_or_b64 exec, exec, s[8:9]
	s_waitcnt vmcnt(0)
	v_mul_f32_e64 v7, v5, -s53
	v_mul_f32_e32 v5, s52, v5
	v_fmac_f32_e32 v7, s52, v4
	v_fmac_f32_e32 v5, s53, v4
	v_lshl_add_u32 v4, v6, 3, 0
	ds_add_f32 v4, v7 offset:32768
	ds_add_f32 v4, v5 offset:32772
	v_lshl_add_u64 v[2:3], v[2:3], 0, s[6:7]
	v_cmp_le_i64_e32 vcc, s[0:1], v[2:3]
	s_or_b64 s[4:5], vcc, s[4:5]
	s_andn2_b64 exec, exec, s[4:5]
	s_cbranch_execz .LBB213_43
.LBB213_34:                             ; =>This Loop Header: Depth=1
                                        ;     Child Loop BB213_37 Depth 2
	v_lshl_add_u64 v[4:5], v[2:3], 2, s[24:25]
	global_load_dword v6, v[4:5], off
	v_lshl_add_u64 v[4:5], v[2:3], 3, s[26:27]
	global_load_dwordx2 v[4:5], v[4:5], off
	s_waitcnt vmcnt(1)
	v_subrev_u32_e32 v7, s39, v6
	v_mul_lo_u32 v6, v7, s18
	v_and_b32_e32 v6, 0x1fff, v6
	v_lshl_add_u32 v8, v6, 2, 0
	ds_read_b32 v9, v8
	s_waitcnt lgkmcnt(0)
	v_cmp_ne_u32_e32 vcc, v9, v7
	s_and_saveexec_b64 s[8:9], vcc
	s_cbranch_execz .LBB213_33
; %bb.35:                               ;   in Loop: Header=BB213_34 Depth=1
	s_mov_b64 s[10:11], 0
	s_branch .LBB213_37
.LBB213_36:                             ;   in Loop: Header=BB213_37 Depth=2
	s_or_b64 exec, exec, s[16:17]
	s_and_b64 s[12:13], exec, s[14:15]
	s_or_b64 s[10:11], s[12:13], s[10:11]
	s_andn2_b64 exec, exec, s[10:11]
	s_cbranch_execz .LBB213_32
.LBB213_37:                             ;   Parent Loop BB213_34 Depth=1
                                        ; =>  This Inner Loop Header: Depth=2
	v_cmp_ne_u32_e32 vcc, s33, v9
	s_mov_b64 s[12:13], 0
	s_and_saveexec_b64 s[14:15], vcc
	s_xor_b64 s[14:15], exec, s[14:15]
	s_cbranch_execz .LBB213_39
; %bb.38:                               ;   in Loop: Header=BB213_37 Depth=2
	v_add_u32_e32 v6, 1, v6
	s_mov_b64 s[12:13], exec
	v_and_b32_e32 v6, 0x1fff, v6
                                        ; implicit-def: $vgpr8
	s_andn2_saveexec_b64 s[14:15], s[14:15]
	s_cbranch_execz .LBB213_41
	s_branch .LBB213_40
.LBB213_39:                             ;   in Loop: Header=BB213_37 Depth=2
	s_andn2_saveexec_b64 s[14:15], s[14:15]
	s_cbranch_execz .LBB213_41
.LBB213_40:                             ;   in Loop: Header=BB213_37 Depth=2
	v_mov_b32_e32 v9, s33
	ds_cmpst_rtn_b32 v8, v8, v9, v7
	s_andn2_b64 s[12:13], s[12:13], exec
	s_waitcnt lgkmcnt(0)
	v_cmp_ne_u32_e32 vcc, s33, v8
	s_and_b64 s[16:17], vcc, exec
	s_or_b64 s[12:13], s[12:13], s[16:17]
.LBB213_41:                             ;   in Loop: Header=BB213_37 Depth=2
	s_or_b64 exec, exec, s[14:15]
	s_mov_b64 s[14:15], -1
                                        ; implicit-def: $vgpr8
                                        ; implicit-def: $vgpr9
	s_and_saveexec_b64 s[16:17], s[12:13]
	s_cbranch_execz .LBB213_36
; %bb.42:                               ;   in Loop: Header=BB213_37 Depth=2
	v_lshl_add_u32 v8, v6, 2, 0
	ds_read_b32 v9, v8
	s_waitcnt lgkmcnt(0)
	v_cmp_eq_u32_e32 vcc, v9, v7
	s_orn2_b64 s[14:15], vcc, exec
	s_branch .LBB213_36
.LBB213_43:
	s_or_b64 exec, exec, s[2:3]
.LBB213_44:
	v_mbcnt_lo_u32_b32 v2, -1, 0
	v_mbcnt_hi_u32_b32 v2, -1, v2
	v_sub_u32_e32 v2, 63, v2
	s_add_i32 s39, 0, 0x18000
	s_movk_i32 s0, 0x3ff
	s_movk_i32 s2, 0x7f
	;; [unrolled: 1-line block ×15, first 2 shown]
	v_lshl_add_u32 v4, v0, 3, 0
	s_add_i32 s59, 0, 0x1803c
	v_lshrrev_b64 v[2:3], v2, -1
	v_lshl_add_u32 v6, v12, 2, s39
	v_cmp_eq_u32_e32 vcc, s0, v0
	v_cmp_lt_u32_e64 s[0:1], 63, v0
	v_cmp_lt_u32_e64 s[2:3], s2, v0
	;; [unrolled: 1-line block ×15, first 2 shown]
	v_add_u32_e32 v7, 0x8000, v4
	v_or_b32_e32 v8, 0xfffffc00, v0
	s_mov_b64 s[36:37], 0
	v_mov_b32_e32 v9, 0
	s_add_i32 s43, 0, 0x18004
	s_add_i32 s46, 0, 0x18008
	;; [unrolled: 1-line block ×14, first 2 shown]
	v_mov_b32_e32 v10, s59
	s_movk_i32 s60, 0x1bff
	s_waitcnt lgkmcnt(0)
	s_barrier
	s_branch .LBB213_46
.LBB213_45:                             ;   in Loop: Header=BB213_46 Depth=1
	s_or_b64 exec, exec, s[30:31]
	s_waitcnt lgkmcnt(0)
	s_barrier
	ds_read_b32 v4, v10
	v_add_u32_e32 v8, 0x400, v8
	v_cmp_lt_u32_e64 s[30:31], s60, v8
	v_add_u32_e32 v7, 0x2000, v7
	s_or_b64 s[36:37], s[30:31], s[36:37]
	s_waitcnt lgkmcnt(0)
	v_add_u32_e32 v9, v4, v9
	v_add_u32_e32 v1, 0x1000, v1
	s_andn2_b64 exec, exec, s[36:37]
	s_cbranch_execz .LBB213_80
.LBB213_46:                             ; =>This Inner Loop Header: Depth=1
	ds_read_b32 v11, v1
	ds_read2_b32 v[4:5], v7 offset1:1
	s_waitcnt lgkmcnt(0)
	s_barrier
	v_cmp_gt_i32_e64 s[30:31], s33, v11
	s_bcnt1_i32_b64 s44, s[30:31]
	s_nop 0
	v_and_b32_e32 v13, s30, v2
	v_and_b32_e32 v12, s31, v3
	v_bcnt_u32_b32 v13, v13, 0
	v_bcnt_u32_b32 v12, v12, v13
	v_mov_b32_e32 v13, s44
	ds_write_b32 v6, v13
	s_waitcnt lgkmcnt(0)
	s_barrier
	s_and_saveexec_b64 s[44:45], s[0:1]
	s_cbranch_execz .LBB213_63
; %bb.47:                               ;   in Loop: Header=BB213_46 Depth=1
	v_mov_b32_e32 v13, s39
	ds_read_b32 v13, v13
	s_waitcnt lgkmcnt(0)
	v_add_u32_e32 v12, v13, v12
	s_or_b64 exec, exec, s[44:45]
	s_and_saveexec_b64 s[44:45], s[2:3]
	s_cbranch_execnz .LBB213_64
.LBB213_48:                             ;   in Loop: Header=BB213_46 Depth=1
	s_or_b64 exec, exec, s[44:45]
	s_and_saveexec_b64 s[44:45], s[4:5]
	s_cbranch_execz .LBB213_65
.LBB213_49:                             ;   in Loop: Header=BB213_46 Depth=1
	v_mov_b32_e32 v13, s46
	ds_read_b32 v13, v13
	s_waitcnt lgkmcnt(0)
	v_add_u32_e32 v12, v13, v12
	s_or_b64 exec, exec, s[44:45]
	s_and_saveexec_b64 s[44:45], s[6:7]
	s_cbranch_execnz .LBB213_66
.LBB213_50:                             ;   in Loop: Header=BB213_46 Depth=1
	s_or_b64 exec, exec, s[44:45]
	s_and_saveexec_b64 s[44:45], s[8:9]
	s_cbranch_execz .LBB213_67
.LBB213_51:                             ;   in Loop: Header=BB213_46 Depth=1
	v_mov_b32_e32 v13, s48
	ds_read_b32 v13, v13
	s_waitcnt lgkmcnt(0)
	v_add_u32_e32 v12, v13, v12
	s_or_b64 exec, exec, s[44:45]
	s_and_saveexec_b64 s[44:45], s[10:11]
	s_cbranch_execnz .LBB213_68
.LBB213_52:                             ;   in Loop: Header=BB213_46 Depth=1
	s_or_b64 exec, exec, s[44:45]
	s_and_saveexec_b64 s[44:45], s[12:13]
	s_cbranch_execz .LBB213_69
.LBB213_53:                             ;   in Loop: Header=BB213_46 Depth=1
	v_mov_b32_e32 v13, s50
	ds_read_b32 v13, v13
	s_waitcnt lgkmcnt(0)
	v_add_u32_e32 v12, v13, v12
	s_or_b64 exec, exec, s[44:45]
	s_and_saveexec_b64 s[44:45], s[14:15]
	s_cbranch_execnz .LBB213_70
.LBB213_54:                             ;   in Loop: Header=BB213_46 Depth=1
	s_or_b64 exec, exec, s[44:45]
	s_and_saveexec_b64 s[44:45], s[16:17]
	s_cbranch_execz .LBB213_71
.LBB213_55:                             ;   in Loop: Header=BB213_46 Depth=1
	v_mov_b32_e32 v13, s52
	ds_read_b32 v13, v13
	s_waitcnt lgkmcnt(0)
	v_add_u32_e32 v12, v13, v12
	s_or_b64 exec, exec, s[44:45]
	s_and_saveexec_b64 s[44:45], s[18:19]
	s_cbranch_execnz .LBB213_72
.LBB213_56:                             ;   in Loop: Header=BB213_46 Depth=1
	s_or_b64 exec, exec, s[44:45]
	s_and_saveexec_b64 s[44:45], s[20:21]
	s_cbranch_execz .LBB213_73
.LBB213_57:                             ;   in Loop: Header=BB213_46 Depth=1
	v_mov_b32_e32 v13, s54
	ds_read_b32 v13, v13
	s_waitcnt lgkmcnt(0)
	v_add_u32_e32 v12, v13, v12
	s_or_b64 exec, exec, s[44:45]
	s_and_saveexec_b64 s[44:45], s[22:23]
	s_cbranch_execnz .LBB213_74
.LBB213_58:                             ;   in Loop: Header=BB213_46 Depth=1
	s_or_b64 exec, exec, s[44:45]
	s_and_saveexec_b64 s[44:45], s[24:25]
	s_cbranch_execz .LBB213_75
.LBB213_59:                             ;   in Loop: Header=BB213_46 Depth=1
	v_mov_b32_e32 v13, s56
	ds_read_b32 v13, v13
	s_waitcnt lgkmcnt(0)
	v_add_u32_e32 v12, v13, v12
	s_or_b64 exec, exec, s[44:45]
	s_and_saveexec_b64 s[44:45], s[26:27]
	s_cbranch_execnz .LBB213_76
.LBB213_60:                             ;   in Loop: Header=BB213_46 Depth=1
	s_or_b64 exec, exec, s[44:45]
	s_and_saveexec_b64 s[44:45], s[28:29]
	s_cbranch_execz .LBB213_77
.LBB213_61:                             ;   in Loop: Header=BB213_46 Depth=1
	v_mov_b32_e32 v13, s58
	ds_read_b32 v13, v13
	s_waitcnt lgkmcnt(0)
	v_add_u32_e32 v12, v13, v12
	s_or_b64 exec, exec, s[44:45]
	s_and_saveexec_b64 s[44:45], s[30:31]
	s_cbranch_execnz .LBB213_78
.LBB213_62:                             ;   in Loop: Header=BB213_46 Depth=1
	s_or_b64 exec, exec, s[44:45]
	s_and_saveexec_b64 s[30:31], vcc
	s_cbranch_execz .LBB213_45
	s_branch .LBB213_79
.LBB213_63:                             ;   in Loop: Header=BB213_46 Depth=1
	s_or_b64 exec, exec, s[44:45]
	s_and_saveexec_b64 s[44:45], s[2:3]
	s_cbranch_execz .LBB213_48
.LBB213_64:                             ;   in Loop: Header=BB213_46 Depth=1
	v_mov_b32_e32 v13, s43
	ds_read_b32 v13, v13
	s_waitcnt lgkmcnt(0)
	v_add_u32_e32 v12, v13, v12
	s_or_b64 exec, exec, s[44:45]
	s_and_saveexec_b64 s[44:45], s[4:5]
	s_cbranch_execnz .LBB213_49
.LBB213_65:                             ;   in Loop: Header=BB213_46 Depth=1
	s_or_b64 exec, exec, s[44:45]
	s_and_saveexec_b64 s[44:45], s[6:7]
	s_cbranch_execz .LBB213_50
.LBB213_66:                             ;   in Loop: Header=BB213_46 Depth=1
	v_mov_b32_e32 v13, s47
	ds_read_b32 v13, v13
	s_waitcnt lgkmcnt(0)
	v_add_u32_e32 v12, v13, v12
	s_or_b64 exec, exec, s[44:45]
	s_and_saveexec_b64 s[44:45], s[8:9]
	s_cbranch_execnz .LBB213_51
.LBB213_67:                             ;   in Loop: Header=BB213_46 Depth=1
	s_or_b64 exec, exec, s[44:45]
	s_and_saveexec_b64 s[44:45], s[10:11]
	s_cbranch_execz .LBB213_52
.LBB213_68:                             ;   in Loop: Header=BB213_46 Depth=1
	v_mov_b32_e32 v13, s49
	ds_read_b32 v13, v13
	s_waitcnt lgkmcnt(0)
	v_add_u32_e32 v12, v13, v12
	s_or_b64 exec, exec, s[44:45]
	s_and_saveexec_b64 s[44:45], s[12:13]
	s_cbranch_execnz .LBB213_53
.LBB213_69:                             ;   in Loop: Header=BB213_46 Depth=1
	s_or_b64 exec, exec, s[44:45]
	s_and_saveexec_b64 s[44:45], s[14:15]
	s_cbranch_execz .LBB213_54
.LBB213_70:                             ;   in Loop: Header=BB213_46 Depth=1
	v_mov_b32_e32 v13, s51
	ds_read_b32 v13, v13
	s_waitcnt lgkmcnt(0)
	v_add_u32_e32 v12, v13, v12
	s_or_b64 exec, exec, s[44:45]
	s_and_saveexec_b64 s[44:45], s[16:17]
	s_cbranch_execnz .LBB213_55
.LBB213_71:                             ;   in Loop: Header=BB213_46 Depth=1
	s_or_b64 exec, exec, s[44:45]
	s_and_saveexec_b64 s[44:45], s[18:19]
	s_cbranch_execz .LBB213_56
.LBB213_72:                             ;   in Loop: Header=BB213_46 Depth=1
	v_mov_b32_e32 v13, s53
	ds_read_b32 v13, v13
	s_waitcnt lgkmcnt(0)
	v_add_u32_e32 v12, v13, v12
	s_or_b64 exec, exec, s[44:45]
	s_and_saveexec_b64 s[44:45], s[20:21]
	s_cbranch_execnz .LBB213_57
.LBB213_73:                             ;   in Loop: Header=BB213_46 Depth=1
	s_or_b64 exec, exec, s[44:45]
	s_and_saveexec_b64 s[44:45], s[22:23]
	s_cbranch_execz .LBB213_58
.LBB213_74:                             ;   in Loop: Header=BB213_46 Depth=1
	v_mov_b32_e32 v13, s55
	ds_read_b32 v13, v13
	s_waitcnt lgkmcnt(0)
	v_add_u32_e32 v12, v13, v12
	s_or_b64 exec, exec, s[44:45]
	s_and_saveexec_b64 s[44:45], s[24:25]
	s_cbranch_execnz .LBB213_59
.LBB213_75:                             ;   in Loop: Header=BB213_46 Depth=1
	s_or_b64 exec, exec, s[44:45]
	s_and_saveexec_b64 s[44:45], s[26:27]
	s_cbranch_execz .LBB213_60
.LBB213_76:                             ;   in Loop: Header=BB213_46 Depth=1
	v_mov_b32_e32 v13, s57
	ds_read_b32 v13, v13
	s_waitcnt lgkmcnt(0)
	v_add_u32_e32 v12, v13, v12
	s_or_b64 exec, exec, s[44:45]
	s_and_saveexec_b64 s[44:45], s[28:29]
	s_cbranch_execnz .LBB213_61
.LBB213_77:                             ;   in Loop: Header=BB213_46 Depth=1
	s_or_b64 exec, exec, s[44:45]
	s_and_saveexec_b64 s[44:45], s[30:31]
	s_cbranch_execz .LBB213_62
.LBB213_78:                             ;   in Loop: Header=BB213_46 Depth=1
	v_add3_u32 v13, v9, -1, v12
	v_add_u32_e32 v14, v9, v12
	v_lshl_add_u32 v13, v13, 2, 0
	v_lshl_add_u32 v14, v14, 3, 0
	v_add_u32_e32 v14, 0x7ff8, v14
	ds_write_b32 v13, v11
	ds_write2_b32 v14, v4, v5 offset1:1
	s_or_b64 exec, exec, s[44:45]
	s_and_saveexec_b64 s[30:31], vcc
	s_cbranch_execz .LBB213_45
.LBB213_79:                             ;   in Loop: Header=BB213_46 Depth=1
	v_mov_b32_e32 v4, s59
	ds_write_b32 v4, v12
	s_branch .LBB213_45
.LBB213_80:
	s_or_b64 exec, exec, s[36:37]
	s_ashr_i32 s43, s42, 31
	s_lshl_b64 s[0:1], s[42:43], 3
	s_add_u32 s4, s40, s0
	s_addc_u32 s5, s41, s1
	s_load_dwordx4 s[0:3], s[4:5], 0x0
	s_waitcnt lgkmcnt(0)
	s_sub_i32 s8, s2, s0
	v_cmp_gt_i32_e32 vcc, s8, v0
	s_and_saveexec_b64 s[4:5], vcc
	s_cbranch_execz .LBB213_90
; %bb.81:
	s_sub_u32 s4, s0, s38
	s_subb_u32 s5, s1, 0
	s_and_b32 s10, s8, 7
	s_sub_i32 s0, s0, s2
	s_cmp_lt_u32 s0, -7
	s_cselect_b64 s[0:1], -1, 0
	s_and_b32 s11, s8, -8
	s_cmp_lg_u32 s10, 0
	v_cndmask_b32_e64 v1, 0, 1, s[0:1]
	s_cselect_b64 s[2:3], -1, 0
	v_cmp_ne_u32_e64 s[0:1], 1, v1
	v_cndmask_b32_e64 v1, 0, 1, s[2:3]
	s_mov_b32 s9, 0
	s_mov_b64 s[6:7], 0
	s_mov_b32 s12, 0x8000
	v_cmp_ne_u32_e64 s[2:3], 1, v1
	s_branch .LBB213_83
.LBB213_82:                             ;   in Loop: Header=BB213_83 Depth=1
	v_add_u32_e32 v0, 0x400, v0
	v_cmp_le_i32_e32 vcc, s8, v0
	v_lshl_add_u64 v[4:5], v[4:5], 3, s[34:35]
	s_or_b64 s[6:7], vcc, s[6:7]
	s_waitcnt lgkmcnt(0)
	global_store_dwordx2 v[4:5], v[2:3], off
	s_andn2_b64 exec, exec, s[6:7]
	s_cbranch_execz .LBB213_90
.LBB213_83:                             ; =>This Loop Header: Depth=1
                                        ;     Child Loop BB213_85 Depth 2
                                        ;     Child Loop BB213_89 Depth 2
	v_lshlrev_b32_e32 v1, 2, v0
	v_add_u32_e32 v2, 0, v1
	v_add3_u32 v3, v2, v1, s12
	ds_read_b32 v1, v2
	ds_read2_b32 v[2:3], v3 offset1:1
	s_and_b64 vcc, exec, s[0:1]
	v_mov_b64_e32 v[4:5], s[4:5]
	s_mov_b32 s13, 0
	s_cbranch_vccnz .LBB213_87
; %bb.84:                               ;   in Loop: Header=BB213_83 Depth=1
	s_mov_b32 s14, 0
	v_mov_b64_e32 v[4:5], s[4:5]
.LBB213_85:                             ;   Parent Loop BB213_83 Depth=1
                                        ; =>  This Inner Loop Header: Depth=2
	v_mov_b32_e32 v6, s14
	ds_read2_b32 v[22:23], v6 offset1:1
	ds_read2_b32 v[24:25], v6 offset0:2 offset1:3
	ds_read2_b32 v[26:27], v6 offset0:4 offset1:5
	;; [unrolled: 1-line block ×3, first 2 shown]
	v_mov_b32_e32 v7, s9
	s_waitcnt lgkmcnt(3)
	v_cmp_gt_i32_e32 vcc, v1, v22
	v_mov_b32_e32 v9, s9
	v_mov_b32_e32 v11, s9
	v_cndmask_b32_e64 v6, 0, 1, vcc
	v_cmp_gt_i32_e32 vcc, v1, v23
	v_lshl_add_u64 v[4:5], v[4:5], 0, v[6:7]
	v_mov_b32_e32 v13, s9
	v_cndmask_b32_e64 v8, 0, 1, vcc
	s_waitcnt lgkmcnt(2)
	v_cmp_gt_i32_e32 vcc, v1, v24
	v_lshl_add_u64 v[4:5], v[4:5], 0, v[8:9]
	v_mov_b32_e32 v15, s9
	v_cndmask_b32_e64 v10, 0, 1, vcc
	v_cmp_gt_i32_e32 vcc, v1, v25
	v_lshl_add_u64 v[4:5], v[4:5], 0, v[10:11]
	v_mov_b32_e32 v17, s9
	v_cndmask_b32_e64 v12, 0, 1, vcc
	s_waitcnt lgkmcnt(1)
	v_cmp_gt_i32_e32 vcc, v1, v26
	v_lshl_add_u64 v[4:5], v[4:5], 0, v[12:13]
	;; [unrolled: 9-line block ×3, first 2 shown]
	s_add_i32 s13, s13, 8
	v_cndmask_b32_e64 v18, 0, 1, vcc
	v_cmp_gt_i32_e32 vcc, v1, v29
	s_add_i32 s14, s14, 32
	v_lshl_add_u64 v[4:5], v[4:5], 0, v[18:19]
	v_cndmask_b32_e64 v20, 0, 1, vcc
	s_cmp_eq_u32 s11, s13
	v_lshl_add_u64 v[4:5], v[4:5], 0, v[20:21]
	s_cbranch_scc0 .LBB213_85
; %bb.86:                               ;   in Loop: Header=BB213_83 Depth=1
	s_mov_b32 s13, s11
.LBB213_87:                             ;   in Loop: Header=BB213_83 Depth=1
	s_and_b64 vcc, exec, s[2:3]
	s_cbranch_vccnz .LBB213_82
; %bb.88:                               ;   in Loop: Header=BB213_83 Depth=1
	s_lshl_b32 s13, s13, 2
	s_add_i32 s13, s13, 0
	s_mov_b32 s14, s10
.LBB213_89:                             ;   Parent Loop BB213_83 Depth=1
                                        ; =>  This Inner Loop Header: Depth=2
	v_mov_b32_e32 v6, s13
	ds_read_b32 v6, v6
	v_mov_b32_e32 v7, s9
	s_add_i32 s13, s13, 4
	s_add_i32 s14, s14, -1
	s_cmp_lg_u32 s14, 0
	s_waitcnt lgkmcnt(0)
	v_cmp_gt_i32_e32 vcc, v1, v6
	s_nop 1
	v_cndmask_b32_e64 v6, 0, 1, vcc
	v_lshl_add_u64 v[4:5], v[4:5], 0, v[6:7]
	s_cbranch_scc1 .LBB213_89
	s_branch .LBB213_82
.LBB213_90:
	s_endpgm
	.section	.rodata,"a",@progbits
	.p2align	6, 0x0
	.amdhsa_kernel _ZN9rocsparseL41csrgemm_numeric_fill_block_per_row_kernelILj1024ELj64ELj8192ELj137ELj64Eli21rocsparse_complex_numIfEEEvT5_PKS3_S5_NS_24const_host_device_scalarIT6_EEPKT4_S5_PKS7_SB_S5_SD_S8_SB_S5_SD_SB_S5_PS7_21rocsparse_index_base_SF_SF_SF_bbb
		.amdhsa_group_segment_fixed_size 0
		.amdhsa_private_segment_fixed_size 0
		.amdhsa_kernarg_size 156
		.amdhsa_user_sgpr_count 2
		.amdhsa_user_sgpr_dispatch_ptr 0
		.amdhsa_user_sgpr_queue_ptr 0
		.amdhsa_user_sgpr_kernarg_segment_ptr 1
		.amdhsa_user_sgpr_dispatch_id 0
		.amdhsa_user_sgpr_kernarg_preload_length 0
		.amdhsa_user_sgpr_kernarg_preload_offset 0
		.amdhsa_user_sgpr_private_segment_size 0
		.amdhsa_uses_dynamic_stack 0
		.amdhsa_enable_private_segment 0
		.amdhsa_system_sgpr_workgroup_id_x 1
		.amdhsa_system_sgpr_workgroup_id_y 0
		.amdhsa_system_sgpr_workgroup_id_z 0
		.amdhsa_system_sgpr_workgroup_info 0
		.amdhsa_system_vgpr_workitem_id 0
		.amdhsa_next_free_vgpr 30
		.amdhsa_next_free_sgpr 61
		.amdhsa_accum_offset 32
		.amdhsa_reserve_vcc 1
		.amdhsa_float_round_mode_32 0
		.amdhsa_float_round_mode_16_64 0
		.amdhsa_float_denorm_mode_32 3
		.amdhsa_float_denorm_mode_16_64 3
		.amdhsa_dx10_clamp 1
		.amdhsa_ieee_mode 1
		.amdhsa_fp16_overflow 0
		.amdhsa_tg_split 0
		.amdhsa_exception_fp_ieee_invalid_op 0
		.amdhsa_exception_fp_denorm_src 0
		.amdhsa_exception_fp_ieee_div_zero 0
		.amdhsa_exception_fp_ieee_overflow 0
		.amdhsa_exception_fp_ieee_underflow 0
		.amdhsa_exception_fp_ieee_inexact 0
		.amdhsa_exception_int_div_zero 0
	.end_amdhsa_kernel
	.section	.text._ZN9rocsparseL41csrgemm_numeric_fill_block_per_row_kernelILj1024ELj64ELj8192ELj137ELj64Eli21rocsparse_complex_numIfEEEvT5_PKS3_S5_NS_24const_host_device_scalarIT6_EEPKT4_S5_PKS7_SB_S5_SD_S8_SB_S5_SD_SB_S5_PS7_21rocsparse_index_base_SF_SF_SF_bbb,"axG",@progbits,_ZN9rocsparseL41csrgemm_numeric_fill_block_per_row_kernelILj1024ELj64ELj8192ELj137ELj64Eli21rocsparse_complex_numIfEEEvT5_PKS3_S5_NS_24const_host_device_scalarIT6_EEPKT4_S5_PKS7_SB_S5_SD_S8_SB_S5_SD_SB_S5_PS7_21rocsparse_index_base_SF_SF_SF_bbb,comdat
.Lfunc_end213:
	.size	_ZN9rocsparseL41csrgemm_numeric_fill_block_per_row_kernelILj1024ELj64ELj8192ELj137ELj64Eli21rocsparse_complex_numIfEEEvT5_PKS3_S5_NS_24const_host_device_scalarIT6_EEPKT4_S5_PKS7_SB_S5_SD_S8_SB_S5_SD_SB_S5_PS7_21rocsparse_index_base_SF_SF_SF_bbb, .Lfunc_end213-_ZN9rocsparseL41csrgemm_numeric_fill_block_per_row_kernelILj1024ELj64ELj8192ELj137ELj64Eli21rocsparse_complex_numIfEEEvT5_PKS3_S5_NS_24const_host_device_scalarIT6_EEPKT4_S5_PKS7_SB_S5_SD_S8_SB_S5_SD_SB_S5_PS7_21rocsparse_index_base_SF_SF_SF_bbb
                                        ; -- End function
	.set _ZN9rocsparseL41csrgemm_numeric_fill_block_per_row_kernelILj1024ELj64ELj8192ELj137ELj64Eli21rocsparse_complex_numIfEEEvT5_PKS3_S5_NS_24const_host_device_scalarIT6_EEPKT4_S5_PKS7_SB_S5_SD_S8_SB_S5_SD_SB_S5_PS7_21rocsparse_index_base_SF_SF_SF_bbb.num_vgpr, 30
	.set _ZN9rocsparseL41csrgemm_numeric_fill_block_per_row_kernelILj1024ELj64ELj8192ELj137ELj64Eli21rocsparse_complex_numIfEEEvT5_PKS3_S5_NS_24const_host_device_scalarIT6_EEPKT4_S5_PKS7_SB_S5_SD_S8_SB_S5_SD_SB_S5_PS7_21rocsparse_index_base_SF_SF_SF_bbb.num_agpr, 0
	.set _ZN9rocsparseL41csrgemm_numeric_fill_block_per_row_kernelILj1024ELj64ELj8192ELj137ELj64Eli21rocsparse_complex_numIfEEEvT5_PKS3_S5_NS_24const_host_device_scalarIT6_EEPKT4_S5_PKS7_SB_S5_SD_S8_SB_S5_SD_SB_S5_PS7_21rocsparse_index_base_SF_SF_SF_bbb.numbered_sgpr, 61
	.set _ZN9rocsparseL41csrgemm_numeric_fill_block_per_row_kernelILj1024ELj64ELj8192ELj137ELj64Eli21rocsparse_complex_numIfEEEvT5_PKS3_S5_NS_24const_host_device_scalarIT6_EEPKT4_S5_PKS7_SB_S5_SD_S8_SB_S5_SD_SB_S5_PS7_21rocsparse_index_base_SF_SF_SF_bbb.num_named_barrier, 0
	.set _ZN9rocsparseL41csrgemm_numeric_fill_block_per_row_kernelILj1024ELj64ELj8192ELj137ELj64Eli21rocsparse_complex_numIfEEEvT5_PKS3_S5_NS_24const_host_device_scalarIT6_EEPKT4_S5_PKS7_SB_S5_SD_S8_SB_S5_SD_SB_S5_PS7_21rocsparse_index_base_SF_SF_SF_bbb.private_seg_size, 0
	.set _ZN9rocsparseL41csrgemm_numeric_fill_block_per_row_kernelILj1024ELj64ELj8192ELj137ELj64Eli21rocsparse_complex_numIfEEEvT5_PKS3_S5_NS_24const_host_device_scalarIT6_EEPKT4_S5_PKS7_SB_S5_SD_S8_SB_S5_SD_SB_S5_PS7_21rocsparse_index_base_SF_SF_SF_bbb.uses_vcc, 1
	.set _ZN9rocsparseL41csrgemm_numeric_fill_block_per_row_kernelILj1024ELj64ELj8192ELj137ELj64Eli21rocsparse_complex_numIfEEEvT5_PKS3_S5_NS_24const_host_device_scalarIT6_EEPKT4_S5_PKS7_SB_S5_SD_S8_SB_S5_SD_SB_S5_PS7_21rocsparse_index_base_SF_SF_SF_bbb.uses_flat_scratch, 0
	.set _ZN9rocsparseL41csrgemm_numeric_fill_block_per_row_kernelILj1024ELj64ELj8192ELj137ELj64Eli21rocsparse_complex_numIfEEEvT5_PKS3_S5_NS_24const_host_device_scalarIT6_EEPKT4_S5_PKS7_SB_S5_SD_S8_SB_S5_SD_SB_S5_PS7_21rocsparse_index_base_SF_SF_SF_bbb.has_dyn_sized_stack, 0
	.set _ZN9rocsparseL41csrgemm_numeric_fill_block_per_row_kernelILj1024ELj64ELj8192ELj137ELj64Eli21rocsparse_complex_numIfEEEvT5_PKS3_S5_NS_24const_host_device_scalarIT6_EEPKT4_S5_PKS7_SB_S5_SD_S8_SB_S5_SD_SB_S5_PS7_21rocsparse_index_base_SF_SF_SF_bbb.has_recursion, 0
	.set _ZN9rocsparseL41csrgemm_numeric_fill_block_per_row_kernelILj1024ELj64ELj8192ELj137ELj64Eli21rocsparse_complex_numIfEEEvT5_PKS3_S5_NS_24const_host_device_scalarIT6_EEPKT4_S5_PKS7_SB_S5_SD_S8_SB_S5_SD_SB_S5_PS7_21rocsparse_index_base_SF_SF_SF_bbb.has_indirect_call, 0
	.section	.AMDGPU.csdata,"",@progbits
; Kernel info:
; codeLenInByte = 3508
; TotalNumSgprs: 67
; NumVgprs: 30
; NumAgprs: 0
; TotalNumVgprs: 30
; ScratchSize: 0
; MemoryBound: 0
; FloatMode: 240
; IeeeMode: 1
; LDSByteSize: 0 bytes/workgroup (compile time only)
; SGPRBlocks: 8
; VGPRBlocks: 3
; NumSGPRsForWavesPerEU: 67
; NumVGPRsForWavesPerEU: 30
; AccumOffset: 32
; Occupancy: 8
; WaveLimiterHint : 1
; COMPUTE_PGM_RSRC2:SCRATCH_EN: 0
; COMPUTE_PGM_RSRC2:USER_SGPR: 2
; COMPUTE_PGM_RSRC2:TRAP_HANDLER: 0
; COMPUTE_PGM_RSRC2:TGID_X_EN: 1
; COMPUTE_PGM_RSRC2:TGID_Y_EN: 0
; COMPUTE_PGM_RSRC2:TGID_Z_EN: 0
; COMPUTE_PGM_RSRC2:TIDIG_COMP_CNT: 0
; COMPUTE_PGM_RSRC3_GFX90A:ACCUM_OFFSET: 7
; COMPUTE_PGM_RSRC3_GFX90A:TG_SPLIT: 0
	.section	.text._ZN9rocsparseL41csrgemm_numeric_fill_block_per_row_kernelILj1024ELj64ELj16384ELj137ELj32Eli21rocsparse_complex_numIfEEEvT5_PKS3_S5_NS_24const_host_device_scalarIT6_EEPKT4_S5_PKS7_SB_S5_SD_S8_SB_S5_SD_SB_S5_PS7_21rocsparse_index_base_SF_SF_SF_bbb,"axG",@progbits,_ZN9rocsparseL41csrgemm_numeric_fill_block_per_row_kernelILj1024ELj64ELj16384ELj137ELj32Eli21rocsparse_complex_numIfEEEvT5_PKS3_S5_NS_24const_host_device_scalarIT6_EEPKT4_S5_PKS7_SB_S5_SD_S8_SB_S5_SD_SB_S5_PS7_21rocsparse_index_base_SF_SF_SF_bbb,comdat
	.globl	_ZN9rocsparseL41csrgemm_numeric_fill_block_per_row_kernelILj1024ELj64ELj16384ELj137ELj32Eli21rocsparse_complex_numIfEEEvT5_PKS3_S5_NS_24const_host_device_scalarIT6_EEPKT4_S5_PKS7_SB_S5_SD_S8_SB_S5_SD_SB_S5_PS7_21rocsparse_index_base_SF_SF_SF_bbb ; -- Begin function _ZN9rocsparseL41csrgemm_numeric_fill_block_per_row_kernelILj1024ELj64ELj16384ELj137ELj32Eli21rocsparse_complex_numIfEEEvT5_PKS3_S5_NS_24const_host_device_scalarIT6_EEPKT4_S5_PKS7_SB_S5_SD_S8_SB_S5_SD_SB_S5_PS7_21rocsparse_index_base_SF_SF_SF_bbb
	.p2align	8
	.type	_ZN9rocsparseL41csrgemm_numeric_fill_block_per_row_kernelILj1024ELj64ELj16384ELj137ELj32Eli21rocsparse_complex_numIfEEEvT5_PKS3_S5_NS_24const_host_device_scalarIT6_EEPKT4_S5_PKS7_SB_S5_SD_S8_SB_S5_SD_SB_S5_PS7_21rocsparse_index_base_SF_SF_SF_bbb,@function
_ZN9rocsparseL41csrgemm_numeric_fill_block_per_row_kernelILj1024ELj64ELj16384ELj137ELj32Eli21rocsparse_complex_numIfEEEvT5_PKS3_S5_NS_24const_host_device_scalarIT6_EEPKT4_S5_PKS7_SB_S5_SD_S8_SB_S5_SD_SB_S5_PS7_21rocsparse_index_base_SF_SF_SF_bbb: ; @_ZN9rocsparseL41csrgemm_numeric_fill_block_per_row_kernelILj1024ELj64ELj16384ELj137ELj32Eli21rocsparse_complex_numIfEEEvT5_PKS3_S5_NS_24const_host_device_scalarIT6_EEPKT4_S5_PKS7_SB_S5_SD_S8_SB_S5_SD_SB_S5_PS7_21rocsparse_index_base_SF_SF_SF_bbb
; %bb.0:
	s_load_dwordx2 s[4:5], s[0:1], 0x70
	s_load_dwordx4 s[64:67], s[0:1], 0x88
                                        ; implicit-def: $vgpr30 : SGPR spill to VGPR lane
	s_mov_b32 s7, 0
	s_mov_b32 s44, 0
	s_waitcnt lgkmcnt(0)
	v_writelane_b32 v30, s4, 0
	s_nop 1
	v_writelane_b32 v30, s5, 1
	s_load_dwordx4 s[24:27], s[0:1], 0x60
	s_load_dwordx8 s[8:15], s[0:1], 0x40
	s_load_dword s3, s[0:1], 0x98
	s_load_dwordx4 s[28:31], s[0:1], 0x8
	s_load_dwordx8 s[16:23], s[0:1], 0x20
	s_load_dwordx2 s[4:5], s[0:1], 0x80
	s_waitcnt lgkmcnt(0)
	s_bitcmp1_b32 s3, 0
	s_cselect_b64 s[36:37], -1, 0
	s_bitcmp1_b32 s3, 16
	v_writelane_b32 v30, s4, 2
	s_nop 1
	v_writelane_b32 v30, s5, 3
	s_cselect_b64 s[4:5], -1, 0
	s_xor_b64 s[4:5], s[4:5], -1
	v_cndmask_b32_e64 v1, 0, 1, s[4:5]
	s_bitcmp0_b32 s3, 0
	v_cmp_ne_u32_e64 s[4:5], 1, v1
	s_cbranch_scc1 .LBB214_5
; %bb.1:
	s_load_dwordx2 s[6:7], s[0:1], 0x18
	s_and_b64 vcc, exec, s[4:5]
	s_waitcnt lgkmcnt(0)
	s_mov_b32 s44, s6
	s_cbranch_vccnz .LBB214_3
; %bb.2:
	s_load_dword s44, s[6:7], 0x0
.LBB214_3:
	s_and_b64 vcc, exec, s[4:5]
	s_cbranch_vccnz .LBB214_5
; %bb.4:
	s_load_dword s7, s[6:7], 0x4
.LBB214_5:
	s_bitcmp1_b32 s3, 8
	s_cselect_b64 s[34:35], -1, 0
	s_bfe_u32 s3, s3, 0x10008
	s_mov_b32 s42, 0
	s_cmp_eq_u32 s3, 0
	s_mov_b32 s43, 0
	s_cbranch_scc1 .LBB214_11
; %bb.6:
	s_and_b64 vcc, exec, s[4:5]
	s_mov_b32 s42, s12
	s_cbranch_vccnz .LBB214_8
; %bb.7:
	s_load_dword s42, s[12:13], 0x0
.LBB214_8:
	s_and_b64 vcc, exec, s[4:5]
	s_cbranch_vccnz .LBB214_10
; %bb.9:
	s_load_dword s13, s[12:13], 0x4
.LBB214_10:
	s_waitcnt lgkmcnt(0)
	s_mov_b32 s43, s13
.LBB214_11:
	s_load_dword s33, s[0:1], 0x0
	v_lshl_add_u32 v2, v0, 3, 0
	v_or_b32_e32 v1, 0xfffffc00, v0
	v_add_u32_e32 v12, 0x10000, v2
	v_lshl_add_u32 v13, v0, 2, 0
	s_mov_b64 s[0:1], 0
	s_waitcnt lgkmcnt(0)
	v_mov_b32_e32 v6, s33
	v_mov_b32_e32 v2, 0
	s_movk_i32 s3, 0x3bff
	v_mov_b32_e32 v3, v13
	v_mov_b32_e32 v4, v12
	v_mov_b32_e32 v5, v1
.LBB214_12:                             ; =>This Inner Loop Header: Depth=1
	v_add_u32_e32 v5, 0x400, v5
	v_cmp_lt_u32_e32 vcc, s3, v5
	ds_write_b32 v3, v6
	ds_write2_b32 v4, v2, v2 offset1:1
	v_add_u32_e32 v4, 0x2000, v4
	s_or_b64 s[0:1], vcc, s[0:1]
	v_add_u32_e32 v3, 0x1000, v3
	s_andn2_b64 exec, exec, s[0:1]
	s_cbranch_execnz .LBB214_12
; %bb.13:
	s_or_b64 exec, exec, s[0:1]
	s_waitcnt lgkmcnt(0)
	s_barrier
	s_load_dword s0, s[28:29], 0x0
	s_mov_b32 s1, 0
	s_waitcnt lgkmcnt(0)
	s_add_i32 s0, s0, s2
	s_lshl_b64 s[0:1], s[0:1], 2
	s_add_u32 s0, s30, s0
	s_addc_u32 s1, s31, s1
	s_load_dword s46, s[0:1], 0x0
	s_and_b64 vcc, exec, s[36:37]
	s_cbranch_vccz .LBB214_31
; %bb.14:
	s_waitcnt lgkmcnt(0)
	s_ashr_i32 s47, s46, 31
	s_lshl_b64 s[0:1], s[46:47], 3
	s_add_u32 s0, s16, s0
	s_addc_u32 s1, s17, s1
	s_load_dwordx4 s[28:31], s[0:1], 0x0
	v_lshrrev_b32_e32 v2, 6, v0
	v_subrev_co_u32_e32 v2, vcc, s64, v2
	s_waitcnt lgkmcnt(0)
	s_sub_u32 s0, s30, s64
	v_subb_co_u32_e64 v3, s[2:3], 0, 0, vcc
	s_subb_u32 s1, s31, 0
	v_lshl_add_u64 v[2:3], s[28:29], 0, v[2:3]
	v_cmp_gt_i64_e32 vcc, s[0:1], v[2:3]
	s_and_saveexec_b64 s[2:3], vcc
	s_cbranch_execz .LBB214_30
; %bb.15:
	v_and_b32_e32 v4, 63, v0
	v_subrev_co_u32_e32 v4, vcc, s65, v4
	s_mov_b32 s6, s65
	s_nop 0
	v_subb_co_u32_e64 v5, s[4:5], 0, 0, vcc
	s_mov_b64 s[4:5], 0
	s_movk_i32 s45, 0x89
	s_branch .LBB214_17
.LBB214_16:                             ;   in Loop: Header=BB214_17 Depth=1
	s_or_b64 exec, exec, s[12:13]
	v_lshl_add_u64 v[2:3], v[2:3], 0, 16
	v_cmp_le_i64_e32 vcc, s[0:1], v[2:3]
	s_or_b64 s[4:5], vcc, s[4:5]
	s_andn2_b64 exec, exec, s[4:5]
	s_cbranch_execz .LBB214_30
.LBB214_17:                             ; =>This Loop Header: Depth=1
                                        ;     Child Loop BB214_21 Depth 2
                                        ;       Child Loop BB214_24 Depth 3
	v_lshl_add_u64 v[6:7], v[2:3], 2, s[18:19]
	global_load_dword v6, v[6:7], off
	s_waitcnt vmcnt(0)
	v_subrev_u32_e32 v6, s64, v6
	v_ashrrev_i32_e32 v7, 31, v6
	v_lshl_add_u64 v[6:7], v[6:7], 3, s[22:23]
	global_load_dwordx4 v[8:11], v[6:7], off
	s_waitcnt vmcnt(0)
	v_subrev_co_u32_e32 v6, vcc, s6, v10
	s_nop 1
	v_subbrev_co_u32_e32 v7, vcc, 0, v11, vcc
	v_lshl_add_u64 v[8:9], v[8:9], 0, v[4:5]
	v_cmp_lt_i64_e32 vcc, v[8:9], v[6:7]
	s_and_saveexec_b64 s[12:13], vcc
	s_cbranch_execz .LBB214_16
; %bb.18:                               ;   in Loop: Header=BB214_17 Depth=1
	v_lshl_add_u64 v[10:11], v[2:3], 3, s[20:21]
	global_load_dwordx2 v[10:11], v[10:11], off
	s_mov_b64 s[16:17], 0
	s_waitcnt vmcnt(0)
	v_mul_f32_e64 v14, v11, -s7
	v_mul_f32_e32 v15, s44, v11
	v_fmac_f32_e32 v14, s44, v10
	v_fmac_f32_e32 v15, s7, v10
	s_branch .LBB214_21
.LBB214_19:                             ;   in Loop: Header=BB214_21 Depth=2
	s_or_b64 exec, exec, s[30:31]
.LBB214_20:                             ;   in Loop: Header=BB214_21 Depth=2
	s_or_b64 exec, exec, s[28:29]
	s_waitcnt vmcnt(0)
	v_mul_f32_e64 v17, v11, -v15
	v_mul_f32_e32 v11, v14, v11
	v_fmac_f32_e32 v17, v14, v10
	v_fmac_f32_e32 v11, v15, v10
	v_lshl_add_u32 v10, v16, 3, 0
	v_add_u32_e32 v10, 0x10000, v10
	ds_add_f32 v10, v17
	ds_add_f32 v10, v11 offset:4
	v_lshl_add_u64 v[8:9], v[8:9], 0, 64
	v_cmp_ge_i64_e32 vcc, v[8:9], v[6:7]
	s_or_b64 s[16:17], vcc, s[16:17]
	s_andn2_b64 exec, exec, s[16:17]
	s_cbranch_execz .LBB214_16
.LBB214_21:                             ;   Parent Loop BB214_17 Depth=1
                                        ; =>  This Loop Header: Depth=2
                                        ;       Child Loop BB214_24 Depth 3
	v_lshl_add_u64 v[10:11], v[8:9], 2, s[8:9]
	global_load_dword v16, v[10:11], off
	v_lshl_add_u64 v[10:11], v[8:9], 3, s[10:11]
	global_load_dwordx2 v[10:11], v[10:11], off
	s_waitcnt vmcnt(1)
	v_subrev_u32_e32 v17, s65, v16
	v_mul_lo_u32 v16, v17, s45
	v_and_b32_e32 v16, 0x3fff, v16
	v_lshl_add_u32 v18, v16, 2, 0
	ds_read_b32 v19, v18
	s_waitcnt lgkmcnt(0)
	v_cmp_ne_u32_e32 vcc, v19, v17
	s_and_saveexec_b64 s[28:29], vcc
	s_cbranch_execz .LBB214_20
; %bb.22:                               ;   in Loop: Header=BB214_21 Depth=2
	s_mov_b64 s[30:31], 0
	s_branch .LBB214_24
.LBB214_23:                             ;   in Loop: Header=BB214_24 Depth=3
	s_or_b64 exec, exec, s[40:41]
	s_and_b64 s[36:37], exec, s[38:39]
	s_or_b64 s[30:31], s[36:37], s[30:31]
	s_andn2_b64 exec, exec, s[30:31]
	s_cbranch_execz .LBB214_19
.LBB214_24:                             ;   Parent Loop BB214_17 Depth=1
                                        ;     Parent Loop BB214_21 Depth=2
                                        ; =>    This Inner Loop Header: Depth=3
	v_cmp_ne_u32_e32 vcc, s33, v19
	s_mov_b64 s[36:37], 0
	s_and_saveexec_b64 s[38:39], vcc
	s_xor_b64 s[38:39], exec, s[38:39]
	s_cbranch_execz .LBB214_26
; %bb.25:                               ;   in Loop: Header=BB214_24 Depth=3
	v_add_u32_e32 v16, 1, v16
	s_mov_b64 s[36:37], exec
	v_and_b32_e32 v16, 0x3fff, v16
                                        ; implicit-def: $vgpr18
	s_andn2_saveexec_b64 s[38:39], s[38:39]
	s_cbranch_execz .LBB214_28
	s_branch .LBB214_27
.LBB214_26:                             ;   in Loop: Header=BB214_24 Depth=3
	s_andn2_saveexec_b64 s[38:39], s[38:39]
	s_cbranch_execz .LBB214_28
.LBB214_27:                             ;   in Loop: Header=BB214_24 Depth=3
	v_mov_b32_e32 v19, s33
	ds_cmpst_rtn_b32 v18, v18, v19, v17
	s_andn2_b64 s[36:37], s[36:37], exec
	s_waitcnt lgkmcnt(0)
	v_cmp_ne_u32_e32 vcc, s33, v18
	s_and_b64 s[40:41], vcc, exec
	s_or_b64 s[36:37], s[36:37], s[40:41]
.LBB214_28:                             ;   in Loop: Header=BB214_24 Depth=3
	s_or_b64 exec, exec, s[38:39]
	s_mov_b64 s[38:39], -1
                                        ; implicit-def: $vgpr18
                                        ; implicit-def: $vgpr19
	s_and_saveexec_b64 s[40:41], s[36:37]
	s_cbranch_execz .LBB214_23
; %bb.29:                               ;   in Loop: Header=BB214_24 Depth=3
	v_lshl_add_u32 v18, v16, 2, 0
	ds_read_b32 v19, v18
	s_waitcnt lgkmcnt(0)
	v_cmp_eq_u32_e32 vcc, v19, v17
	s_orn2_b64 s[38:39], vcc, exec
	s_branch .LBB214_23
.LBB214_30:
	s_or_b64 exec, exec, s[2:3]
.LBB214_31:
	s_andn2_b64 vcc, exec, s[34:35]
	s_cbranch_vccnz .LBB214_46
; %bb.32:
	s_waitcnt lgkmcnt(0)
	s_ashr_i32 s47, s46, 31
	s_lshl_b64 s[0:1], s[46:47], 3
	s_add_u32 s0, s14, s0
	s_addc_u32 s1, s15, s1
	s_load_dwordx4 s[4:7], s[0:1], 0x0
	v_subrev_co_u32_e32 v2, vcc, s67, v0
	s_nop 1
	v_subb_co_u32_e64 v3, s[0:1], 0, 0, vcc
	s_waitcnt lgkmcnt(0)
	s_sub_u32 s0, s6, s67
	s_subb_u32 s1, s7, 0
	v_lshl_add_u64 v[2:3], s[4:5], 0, v[2:3]
	v_cmp_gt_i64_e32 vcc, s[0:1], v[2:3]
	s_and_saveexec_b64 s[2:3], vcc
	s_cbranch_execz .LBB214_45
; %bb.33:
	s_mov_b64 s[4:5], 0
	s_movk_i32 s18, 0x89
	s_mov_b64 s[6:7], 0x400
	s_branch .LBB214_36
.LBB214_34:                             ;   in Loop: Header=BB214_36 Depth=1
	s_or_b64 exec, exec, s[10:11]
.LBB214_35:                             ;   in Loop: Header=BB214_36 Depth=1
	s_or_b64 exec, exec, s[8:9]
	s_waitcnt vmcnt(0)
	v_mul_f32_e64 v7, v5, -s43
	v_mul_f32_e32 v5, s42, v5
	v_fmac_f32_e32 v7, s42, v4
	v_fmac_f32_e32 v5, s43, v4
	v_lshl_add_u32 v4, v6, 3, 0
	v_add_u32_e32 v4, 0x10000, v4
	ds_add_f32 v4, v7
	ds_add_f32 v4, v5 offset:4
	v_lshl_add_u64 v[2:3], v[2:3], 0, s[6:7]
	v_cmp_le_i64_e32 vcc, s[0:1], v[2:3]
	s_or_b64 s[4:5], vcc, s[4:5]
	s_andn2_b64 exec, exec, s[4:5]
	s_cbranch_execz .LBB214_45
.LBB214_36:                             ; =>This Loop Header: Depth=1
                                        ;     Child Loop BB214_39 Depth 2
	v_lshl_add_u64 v[4:5], v[2:3], 2, s[24:25]
	global_load_dword v6, v[4:5], off
	v_lshl_add_u64 v[4:5], v[2:3], 3, s[26:27]
	global_load_dwordx2 v[4:5], v[4:5], off
	s_waitcnt vmcnt(1)
	v_subrev_u32_e32 v7, s67, v6
	v_mul_lo_u32 v6, v7, s18
	v_and_b32_e32 v6, 0x3fff, v6
	v_lshl_add_u32 v8, v6, 2, 0
	ds_read_b32 v9, v8
	s_waitcnt lgkmcnt(0)
	v_cmp_ne_u32_e32 vcc, v9, v7
	s_and_saveexec_b64 s[8:9], vcc
	s_cbranch_execz .LBB214_35
; %bb.37:                               ;   in Loop: Header=BB214_36 Depth=1
	s_mov_b64 s[10:11], 0
	s_branch .LBB214_39
.LBB214_38:                             ;   in Loop: Header=BB214_39 Depth=2
	s_or_b64 exec, exec, s[16:17]
	s_and_b64 s[12:13], exec, s[14:15]
	s_or_b64 s[10:11], s[12:13], s[10:11]
	s_andn2_b64 exec, exec, s[10:11]
	s_cbranch_execz .LBB214_34
.LBB214_39:                             ;   Parent Loop BB214_36 Depth=1
                                        ; =>  This Inner Loop Header: Depth=2
	v_cmp_ne_u32_e32 vcc, s33, v9
	s_mov_b64 s[12:13], 0
	s_and_saveexec_b64 s[14:15], vcc
	s_xor_b64 s[14:15], exec, s[14:15]
	s_cbranch_execz .LBB214_41
; %bb.40:                               ;   in Loop: Header=BB214_39 Depth=2
	v_add_u32_e32 v6, 1, v6
	s_mov_b64 s[12:13], exec
	v_and_b32_e32 v6, 0x3fff, v6
                                        ; implicit-def: $vgpr8
	s_andn2_saveexec_b64 s[14:15], s[14:15]
	s_cbranch_execz .LBB214_43
	s_branch .LBB214_42
.LBB214_41:                             ;   in Loop: Header=BB214_39 Depth=2
	s_andn2_saveexec_b64 s[14:15], s[14:15]
	s_cbranch_execz .LBB214_43
.LBB214_42:                             ;   in Loop: Header=BB214_39 Depth=2
	v_mov_b32_e32 v9, s33
	ds_cmpst_rtn_b32 v8, v8, v9, v7
	s_andn2_b64 s[12:13], s[12:13], exec
	s_waitcnt lgkmcnt(0)
	v_cmp_ne_u32_e32 vcc, s33, v8
	s_and_b64 s[16:17], vcc, exec
	s_or_b64 s[12:13], s[12:13], s[16:17]
.LBB214_43:                             ;   in Loop: Header=BB214_39 Depth=2
	s_or_b64 exec, exec, s[14:15]
	s_mov_b64 s[14:15], -1
                                        ; implicit-def: $vgpr8
                                        ; implicit-def: $vgpr9
	s_and_saveexec_b64 s[16:17], s[12:13]
	s_cbranch_execz .LBB214_38
; %bb.44:                               ;   in Loop: Header=BB214_39 Depth=2
	v_lshl_add_u32 v8, v6, 2, 0
	ds_read_b32 v9, v8
	s_waitcnt lgkmcnt(0)
	v_cmp_eq_u32_e32 vcc, v9, v7
	s_orn2_b64 s[14:15], vcc, exec
	s_branch .LBB214_38
.LBB214_45:
	s_or_b64 exec, exec, s[2:3]
.LBB214_46:
	s_waitcnt lgkmcnt(0)
	v_writelane_b32 v30, s46, 4
	s_add_i32 s0, 0, 0x30000
	v_lshrrev_b32_e32 v4, 3, v0
	v_writelane_b32 v30, s47, 5
	v_writelane_b32 v30, s0, 6
	s_add_i32 s60, 0, 0x30004
	v_mbcnt_lo_u32_b32 v2, -1, 0
	v_and_b32_e32 v4, 0x7c, v4
	v_writelane_b32 v30, s60, 7
	s_add_i32 s60, 0, 0x30008
	v_mbcnt_hi_u32_b32 v2, -1, v2
	v_add_u32_e32 v6, s0, v4
	s_movk_i32 s0, 0x3ff
	v_writelane_b32 v30, s60, 8
	s_add_i32 s60, 0, 0x3000c
	v_sub_u32_e32 v2, 63, v2
	v_cmp_eq_u32_e32 vcc, s0, v0
	s_movk_i32 s0, 0x5f
	s_movk_i32 s2, 0x7f
	;; [unrolled: 1-line block ×29, first 2 shown]
	v_writelane_b32 v30, s60, 9
	s_add_i32 s60, 0, 0x30014
	v_lshrrev_b64 v[2:3], v2, -1
	v_cmp_lt_u32_e64 s[0:1], s0, v0
	v_cmp_lt_u32_e64 s[2:3], s2, v0
	;; [unrolled: 1-line block ×29, first 2 shown]
	v_mov_b32_e32 v7, 0
	s_add_i32 s79, 0, 0x30010
	v_writelane_b32 v30, s60, 10
	s_add_i32 s82, 0, 0x30018
	s_add_i32 s83, 0, 0x3001c
	;; [unrolled: 1-line block ×26, first 2 shown]
	v_cmp_lt_u32_e64 s[60:61], 31, v0
	v_cmp_lt_u32_e64 s[62:63], 63, v0
	s_mov_b64 s[74:75], 0
	s_barrier
	s_branch .LBB214_48
.LBB214_47:                             ;   in Loop: Header=BB214_48 Depth=1
	s_or_b64 exec, exec, s[64:65]
	v_mov_b32_e32 v4, s78
	s_waitcnt lgkmcnt(0)
	s_barrier
	ds_read_b32 v4, v4
	v_add_u32_e32 v1, 0x400, v1
	s_movk_i32 s64, 0x3bff
	v_cmp_lt_u32_e64 s[64:65], s64, v1
	v_add_u32_e32 v12, 0x2000, v12
	s_waitcnt lgkmcnt(0)
	v_add_u32_e32 v7, v4, v7
	s_or_b64 s[74:75], s[64:65], s[74:75]
	v_add_u32_e32 v13, 0x1000, v13
	s_andn2_b64 exec, exec, s[74:75]
	s_cbranch_execz .LBB214_114
.LBB214_48:                             ; =>This Inner Loop Header: Depth=1
	ds_read_b32 v8, v13
	ds_read2_b32 v[4:5], v12 offset1:1
	s_waitcnt lgkmcnt(0)
	s_barrier
	v_cmp_gt_i32_e64 s[64:65], s33, v8
	s_bcnt1_i32_b64 s76, s[64:65]
	s_nop 0
	v_and_b32_e32 v10, s64, v2
	v_and_b32_e32 v9, s65, v3
	v_bcnt_u32_b32 v10, v10, 0
	v_bcnt_u32_b32 v9, v9, v10
	v_mov_b32_e32 v10, s76
	ds_write_b32 v6, v10
	s_waitcnt lgkmcnt(0)
	s_barrier
	s_and_saveexec_b64 s[76:77], s[60:61]
	s_cbranch_execz .LBB214_81
; %bb.49:                               ;   in Loop: Header=BB214_48 Depth=1
	v_readlane_b32 s80, v30, 6
	s_nop 1
	v_mov_b32_e32 v10, s80
	ds_read_b32 v10, v10
	s_waitcnt lgkmcnt(0)
	v_add_u32_e32 v9, v10, v9
	s_or_b64 exec, exec, s[76:77]
	s_and_saveexec_b64 s[76:77], s[62:63]
	s_cbranch_execnz .LBB214_82
.LBB214_50:                             ;   in Loop: Header=BB214_48 Depth=1
	s_or_b64 exec, exec, s[76:77]
	s_and_saveexec_b64 s[76:77], s[0:1]
	s_cbranch_execz .LBB214_83
.LBB214_51:                             ;   in Loop: Header=BB214_48 Depth=1
	v_readlane_b32 s80, v30, 8
	s_nop 1
	v_mov_b32_e32 v10, s80
	ds_read_b32 v10, v10
	s_waitcnt lgkmcnt(0)
	v_add_u32_e32 v9, v10, v9
	s_or_b64 exec, exec, s[76:77]
	s_and_saveexec_b64 s[76:77], s[2:3]
	s_cbranch_execnz .LBB214_84
.LBB214_52:                             ;   in Loop: Header=BB214_48 Depth=1
	s_or_b64 exec, exec, s[76:77]
	s_and_saveexec_b64 s[76:77], s[4:5]
	s_cbranch_execz .LBB214_85
.LBB214_53:                             ;   in Loop: Header=BB214_48 Depth=1
	v_mov_b32_e32 v10, s79
	ds_read_b32 v10, v10
	s_waitcnt lgkmcnt(0)
	v_add_u32_e32 v9, v10, v9
	s_or_b64 exec, exec, s[76:77]
	s_and_saveexec_b64 s[76:77], s[6:7]
	s_cbranch_execnz .LBB214_86
.LBB214_54:                             ;   in Loop: Header=BB214_48 Depth=1
	s_or_b64 exec, exec, s[76:77]
	s_and_saveexec_b64 s[76:77], s[8:9]
	s_cbranch_execz .LBB214_87
.LBB214_55:                             ;   in Loop: Header=BB214_48 Depth=1
	v_mov_b32_e32 v10, s82
	ds_read_b32 v10, v10
	s_waitcnt lgkmcnt(0)
	v_add_u32_e32 v9, v10, v9
	s_or_b64 exec, exec, s[76:77]
	s_and_saveexec_b64 s[76:77], s[10:11]
	s_cbranch_execnz .LBB214_88
.LBB214_56:                             ;   in Loop: Header=BB214_48 Depth=1
	s_or_b64 exec, exec, s[76:77]
	s_and_saveexec_b64 s[76:77], s[12:13]
	s_cbranch_execz .LBB214_89
.LBB214_57:                             ;   in Loop: Header=BB214_48 Depth=1
	v_mov_b32_e32 v10, s84
	ds_read_b32 v10, v10
	s_waitcnt lgkmcnt(0)
	v_add_u32_e32 v9, v10, v9
	s_or_b64 exec, exec, s[76:77]
	s_and_saveexec_b64 s[76:77], s[14:15]
	s_cbranch_execnz .LBB214_90
.LBB214_58:                             ;   in Loop: Header=BB214_48 Depth=1
	s_or_b64 exec, exec, s[76:77]
	s_and_saveexec_b64 s[76:77], s[16:17]
	s_cbranch_execz .LBB214_91
.LBB214_59:                             ;   in Loop: Header=BB214_48 Depth=1
	v_mov_b32_e32 v10, s86
	ds_read_b32 v10, v10
	s_waitcnt lgkmcnt(0)
	v_add_u32_e32 v9, v10, v9
	s_or_b64 exec, exec, s[76:77]
	s_and_saveexec_b64 s[76:77], s[18:19]
	s_cbranch_execnz .LBB214_92
.LBB214_60:                             ;   in Loop: Header=BB214_48 Depth=1
	s_or_b64 exec, exec, s[76:77]
	s_and_saveexec_b64 s[76:77], s[20:21]
	s_cbranch_execz .LBB214_93
.LBB214_61:                             ;   in Loop: Header=BB214_48 Depth=1
	v_mov_b32_e32 v10, s88
	ds_read_b32 v10, v10
	s_waitcnt lgkmcnt(0)
	v_add_u32_e32 v9, v10, v9
	s_or_b64 exec, exec, s[76:77]
	s_and_saveexec_b64 s[76:77], s[22:23]
	s_cbranch_execnz .LBB214_94
.LBB214_62:                             ;   in Loop: Header=BB214_48 Depth=1
	s_or_b64 exec, exec, s[76:77]
	s_and_saveexec_b64 s[76:77], s[24:25]
	s_cbranch_execz .LBB214_95
.LBB214_63:                             ;   in Loop: Header=BB214_48 Depth=1
	v_mov_b32_e32 v10, s90
	ds_read_b32 v10, v10
	s_waitcnt lgkmcnt(0)
	v_add_u32_e32 v9, v10, v9
	s_or_b64 exec, exec, s[76:77]
	s_and_saveexec_b64 s[76:77], s[26:27]
	s_cbranch_execnz .LBB214_96
.LBB214_64:                             ;   in Loop: Header=BB214_48 Depth=1
	s_or_b64 exec, exec, s[76:77]
	s_and_saveexec_b64 s[76:77], s[28:29]
	s_cbranch_execz .LBB214_97
.LBB214_65:                             ;   in Loop: Header=BB214_48 Depth=1
	v_mov_b32_e32 v10, s92
	ds_read_b32 v10, v10
	s_waitcnt lgkmcnt(0)
	v_add_u32_e32 v9, v10, v9
	s_or_b64 exec, exec, s[76:77]
	s_and_saveexec_b64 s[76:77], s[30:31]
	s_cbranch_execnz .LBB214_98
.LBB214_66:                             ;   in Loop: Header=BB214_48 Depth=1
	s_or_b64 exec, exec, s[76:77]
	s_and_saveexec_b64 s[76:77], s[34:35]
	s_cbranch_execz .LBB214_99
.LBB214_67:                             ;   in Loop: Header=BB214_48 Depth=1
	v_mov_b32_e32 v10, s94
	ds_read_b32 v10, v10
	s_waitcnt lgkmcnt(0)
	v_add_u32_e32 v9, v10, v9
	s_or_b64 exec, exec, s[76:77]
	s_and_saveexec_b64 s[76:77], s[36:37]
	s_cbranch_execnz .LBB214_100
.LBB214_68:                             ;   in Loop: Header=BB214_48 Depth=1
	s_or_b64 exec, exec, s[76:77]
	s_and_saveexec_b64 s[76:77], s[38:39]
	s_cbranch_execz .LBB214_101
.LBB214_69:                             ;   in Loop: Header=BB214_48 Depth=1
	v_mov_b32_e32 v10, s96
	ds_read_b32 v10, v10
	s_waitcnt lgkmcnt(0)
	v_add_u32_e32 v9, v10, v9
	s_or_b64 exec, exec, s[76:77]
	s_and_saveexec_b64 s[76:77], s[40:41]
	s_cbranch_execnz .LBB214_102
.LBB214_70:                             ;   in Loop: Header=BB214_48 Depth=1
	s_or_b64 exec, exec, s[76:77]
	s_and_saveexec_b64 s[76:77], s[42:43]
	s_cbranch_execz .LBB214_103
.LBB214_71:                             ;   in Loop: Header=BB214_48 Depth=1
	v_mov_b32_e32 v10, s98
	ds_read_b32 v10, v10
	s_waitcnt lgkmcnt(0)
	v_add_u32_e32 v9, v10, v9
	s_or_b64 exec, exec, s[76:77]
	s_and_saveexec_b64 s[76:77], s[44:45]
	s_cbranch_execnz .LBB214_104
.LBB214_72:                             ;   in Loop: Header=BB214_48 Depth=1
	s_or_b64 exec, exec, s[76:77]
	s_and_saveexec_b64 s[76:77], s[46:47]
	s_cbranch_execz .LBB214_105
.LBB214_73:                             ;   in Loop: Header=BB214_48 Depth=1
	v_mov_b32_e32 v10, s70
	ds_read_b32 v10, v10
	s_waitcnt lgkmcnt(0)
	v_add_u32_e32 v9, v10, v9
	s_or_b64 exec, exec, s[76:77]
	s_and_saveexec_b64 s[76:77], s[48:49]
	s_cbranch_execnz .LBB214_106
.LBB214_74:                             ;   in Loop: Header=BB214_48 Depth=1
	s_or_b64 exec, exec, s[76:77]
	s_and_saveexec_b64 s[76:77], s[50:51]
	s_cbranch_execz .LBB214_107
.LBB214_75:                             ;   in Loop: Header=BB214_48 Depth=1
	v_mov_b32_e32 v10, s72
	ds_read_b32 v10, v10
	s_waitcnt lgkmcnt(0)
	v_add_u32_e32 v9, v10, v9
	s_or_b64 exec, exec, s[76:77]
	s_and_saveexec_b64 s[76:77], s[52:53]
	s_cbranch_execnz .LBB214_108
.LBB214_76:                             ;   in Loop: Header=BB214_48 Depth=1
	s_or_b64 exec, exec, s[76:77]
	s_and_saveexec_b64 s[76:77], s[54:55]
	s_cbranch_execz .LBB214_109
.LBB214_77:                             ;   in Loop: Header=BB214_48 Depth=1
	v_mov_b32_e32 v10, s69
	ds_read_b32 v10, v10
	s_waitcnt lgkmcnt(0)
	v_add_u32_e32 v9, v10, v9
	s_or_b64 exec, exec, s[76:77]
	s_and_saveexec_b64 s[76:77], s[56:57]
	s_cbranch_execnz .LBB214_110
.LBB214_78:                             ;   in Loop: Header=BB214_48 Depth=1
	s_or_b64 exec, exec, s[76:77]
	s_and_saveexec_b64 s[76:77], s[58:59]
	s_cbranch_execz .LBB214_111
.LBB214_79:                             ;   in Loop: Header=BB214_48 Depth=1
	v_mov_b32_e32 v10, s73
	ds_read_b32 v10, v10
	s_waitcnt lgkmcnt(0)
	v_add_u32_e32 v9, v10, v9
	s_or_b64 exec, exec, s[76:77]
	s_and_saveexec_b64 s[76:77], s[64:65]
	s_cbranch_execnz .LBB214_112
.LBB214_80:                             ;   in Loop: Header=BB214_48 Depth=1
	s_or_b64 exec, exec, s[76:77]
	s_and_saveexec_b64 s[64:65], vcc
	s_cbranch_execz .LBB214_47
	s_branch .LBB214_113
.LBB214_81:                             ;   in Loop: Header=BB214_48 Depth=1
	s_or_b64 exec, exec, s[76:77]
	s_and_saveexec_b64 s[76:77], s[62:63]
	s_cbranch_execz .LBB214_50
.LBB214_82:                             ;   in Loop: Header=BB214_48 Depth=1
	v_readlane_b32 s80, v30, 7
	s_nop 1
	v_mov_b32_e32 v10, s80
	ds_read_b32 v10, v10
	s_waitcnt lgkmcnt(0)
	v_add_u32_e32 v9, v10, v9
	s_or_b64 exec, exec, s[76:77]
	s_and_saveexec_b64 s[76:77], s[0:1]
	s_cbranch_execnz .LBB214_51
.LBB214_83:                             ;   in Loop: Header=BB214_48 Depth=1
	s_or_b64 exec, exec, s[76:77]
	s_and_saveexec_b64 s[76:77], s[2:3]
	s_cbranch_execz .LBB214_52
.LBB214_84:                             ;   in Loop: Header=BB214_48 Depth=1
	v_readlane_b32 s80, v30, 9
	s_nop 1
	v_mov_b32_e32 v10, s80
	ds_read_b32 v10, v10
	s_waitcnt lgkmcnt(0)
	v_add_u32_e32 v9, v10, v9
	s_or_b64 exec, exec, s[76:77]
	s_and_saveexec_b64 s[76:77], s[4:5]
	s_cbranch_execnz .LBB214_53
.LBB214_85:                             ;   in Loop: Header=BB214_48 Depth=1
	s_or_b64 exec, exec, s[76:77]
	s_and_saveexec_b64 s[76:77], s[6:7]
	s_cbranch_execz .LBB214_54
.LBB214_86:                             ;   in Loop: Header=BB214_48 Depth=1
	v_readlane_b32 s80, v30, 10
	s_nop 1
	v_mov_b32_e32 v10, s80
	ds_read_b32 v10, v10
	s_waitcnt lgkmcnt(0)
	v_add_u32_e32 v9, v10, v9
	s_or_b64 exec, exec, s[76:77]
	s_and_saveexec_b64 s[76:77], s[8:9]
	s_cbranch_execnz .LBB214_55
.LBB214_87:                             ;   in Loop: Header=BB214_48 Depth=1
	s_or_b64 exec, exec, s[76:77]
	s_and_saveexec_b64 s[76:77], s[10:11]
	s_cbranch_execz .LBB214_56
.LBB214_88:                             ;   in Loop: Header=BB214_48 Depth=1
	v_mov_b32_e32 v10, s83
	ds_read_b32 v10, v10
	s_waitcnt lgkmcnt(0)
	v_add_u32_e32 v9, v10, v9
	s_or_b64 exec, exec, s[76:77]
	s_and_saveexec_b64 s[76:77], s[12:13]
	s_cbranch_execnz .LBB214_57
.LBB214_89:                             ;   in Loop: Header=BB214_48 Depth=1
	s_or_b64 exec, exec, s[76:77]
	s_and_saveexec_b64 s[76:77], s[14:15]
	s_cbranch_execz .LBB214_58
.LBB214_90:                             ;   in Loop: Header=BB214_48 Depth=1
	v_mov_b32_e32 v10, s85
	ds_read_b32 v10, v10
	s_waitcnt lgkmcnt(0)
	v_add_u32_e32 v9, v10, v9
	s_or_b64 exec, exec, s[76:77]
	s_and_saveexec_b64 s[76:77], s[16:17]
	s_cbranch_execnz .LBB214_59
.LBB214_91:                             ;   in Loop: Header=BB214_48 Depth=1
	s_or_b64 exec, exec, s[76:77]
	s_and_saveexec_b64 s[76:77], s[18:19]
	s_cbranch_execz .LBB214_60
.LBB214_92:                             ;   in Loop: Header=BB214_48 Depth=1
	v_mov_b32_e32 v10, s87
	ds_read_b32 v10, v10
	s_waitcnt lgkmcnt(0)
	v_add_u32_e32 v9, v10, v9
	s_or_b64 exec, exec, s[76:77]
	s_and_saveexec_b64 s[76:77], s[20:21]
	s_cbranch_execnz .LBB214_61
.LBB214_93:                             ;   in Loop: Header=BB214_48 Depth=1
	s_or_b64 exec, exec, s[76:77]
	s_and_saveexec_b64 s[76:77], s[22:23]
	s_cbranch_execz .LBB214_62
.LBB214_94:                             ;   in Loop: Header=BB214_48 Depth=1
	v_mov_b32_e32 v10, s89
	ds_read_b32 v10, v10
	s_waitcnt lgkmcnt(0)
	v_add_u32_e32 v9, v10, v9
	s_or_b64 exec, exec, s[76:77]
	s_and_saveexec_b64 s[76:77], s[24:25]
	s_cbranch_execnz .LBB214_63
.LBB214_95:                             ;   in Loop: Header=BB214_48 Depth=1
	s_or_b64 exec, exec, s[76:77]
	s_and_saveexec_b64 s[76:77], s[26:27]
	s_cbranch_execz .LBB214_64
.LBB214_96:                             ;   in Loop: Header=BB214_48 Depth=1
	v_mov_b32_e32 v10, s91
	ds_read_b32 v10, v10
	s_waitcnt lgkmcnt(0)
	v_add_u32_e32 v9, v10, v9
	s_or_b64 exec, exec, s[76:77]
	s_and_saveexec_b64 s[76:77], s[28:29]
	s_cbranch_execnz .LBB214_65
.LBB214_97:                             ;   in Loop: Header=BB214_48 Depth=1
	s_or_b64 exec, exec, s[76:77]
	s_and_saveexec_b64 s[76:77], s[30:31]
	s_cbranch_execz .LBB214_66
.LBB214_98:                             ;   in Loop: Header=BB214_48 Depth=1
	v_mov_b32_e32 v10, s93
	ds_read_b32 v10, v10
	s_waitcnt lgkmcnt(0)
	v_add_u32_e32 v9, v10, v9
	s_or_b64 exec, exec, s[76:77]
	s_and_saveexec_b64 s[76:77], s[34:35]
	s_cbranch_execnz .LBB214_67
.LBB214_99:                             ;   in Loop: Header=BB214_48 Depth=1
	s_or_b64 exec, exec, s[76:77]
	s_and_saveexec_b64 s[76:77], s[36:37]
	s_cbranch_execz .LBB214_68
.LBB214_100:                            ;   in Loop: Header=BB214_48 Depth=1
	v_mov_b32_e32 v10, s95
	ds_read_b32 v10, v10
	s_waitcnt lgkmcnt(0)
	v_add_u32_e32 v9, v10, v9
	s_or_b64 exec, exec, s[76:77]
	s_and_saveexec_b64 s[76:77], s[38:39]
	s_cbranch_execnz .LBB214_69
.LBB214_101:                            ;   in Loop: Header=BB214_48 Depth=1
	s_or_b64 exec, exec, s[76:77]
	s_and_saveexec_b64 s[76:77], s[40:41]
	s_cbranch_execz .LBB214_70
.LBB214_102:                            ;   in Loop: Header=BB214_48 Depth=1
	v_mov_b32_e32 v10, s97
	ds_read_b32 v10, v10
	s_waitcnt lgkmcnt(0)
	v_add_u32_e32 v9, v10, v9
	s_or_b64 exec, exec, s[76:77]
	s_and_saveexec_b64 s[76:77], s[42:43]
	s_cbranch_execnz .LBB214_71
.LBB214_103:                            ;   in Loop: Header=BB214_48 Depth=1
	s_or_b64 exec, exec, s[76:77]
	s_and_saveexec_b64 s[76:77], s[44:45]
	s_cbranch_execz .LBB214_72
.LBB214_104:                            ;   in Loop: Header=BB214_48 Depth=1
	v_mov_b32_e32 v10, s99
	ds_read_b32 v10, v10
	s_waitcnt lgkmcnt(0)
	v_add_u32_e32 v9, v10, v9
	s_or_b64 exec, exec, s[76:77]
	s_and_saveexec_b64 s[76:77], s[46:47]
	s_cbranch_execnz .LBB214_73
.LBB214_105:                            ;   in Loop: Header=BB214_48 Depth=1
	s_or_b64 exec, exec, s[76:77]
	s_and_saveexec_b64 s[76:77], s[48:49]
	s_cbranch_execz .LBB214_74
.LBB214_106:                            ;   in Loop: Header=BB214_48 Depth=1
	v_mov_b32_e32 v10, s71
	ds_read_b32 v10, v10
	s_waitcnt lgkmcnt(0)
	v_add_u32_e32 v9, v10, v9
	s_or_b64 exec, exec, s[76:77]
	s_and_saveexec_b64 s[76:77], s[50:51]
	s_cbranch_execnz .LBB214_75
.LBB214_107:                            ;   in Loop: Header=BB214_48 Depth=1
	s_or_b64 exec, exec, s[76:77]
	s_and_saveexec_b64 s[76:77], s[52:53]
	s_cbranch_execz .LBB214_76
.LBB214_108:                            ;   in Loop: Header=BB214_48 Depth=1
	v_mov_b32_e32 v10, s68
	ds_read_b32 v10, v10
	s_waitcnt lgkmcnt(0)
	v_add_u32_e32 v9, v10, v9
	s_or_b64 exec, exec, s[76:77]
	s_and_saveexec_b64 s[76:77], s[54:55]
	s_cbranch_execnz .LBB214_77
.LBB214_109:                            ;   in Loop: Header=BB214_48 Depth=1
	s_or_b64 exec, exec, s[76:77]
	s_and_saveexec_b64 s[76:77], s[56:57]
	s_cbranch_execz .LBB214_78
.LBB214_110:                            ;   in Loop: Header=BB214_48 Depth=1
	v_mov_b32_e32 v10, s67
	ds_read_b32 v10, v10
	s_waitcnt lgkmcnt(0)
	v_add_u32_e32 v9, v10, v9
	s_or_b64 exec, exec, s[76:77]
	s_and_saveexec_b64 s[76:77], s[58:59]
	s_cbranch_execnz .LBB214_79
.LBB214_111:                            ;   in Loop: Header=BB214_48 Depth=1
	s_or_b64 exec, exec, s[76:77]
	s_and_saveexec_b64 s[76:77], s[64:65]
	s_cbranch_execz .LBB214_80
.LBB214_112:                            ;   in Loop: Header=BB214_48 Depth=1
	v_add3_u32 v10, v7, -1, v9
	v_add_u32_e32 v11, v7, v9
	v_lshl_add_u32 v10, v10, 2, 0
	v_lshl_add_u32 v11, v11, 3, 0
	v_add_u32_e32 v11, 0xfff8, v11
	ds_write_b32 v10, v8
	ds_write2_b32 v11, v4, v5 offset1:1
	s_or_b64 exec, exec, s[76:77]
	s_and_saveexec_b64 s[64:65], vcc
	s_cbranch_execz .LBB214_47
.LBB214_113:                            ;   in Loop: Header=BB214_48 Depth=1
	v_mov_b32_e32 v4, s78
	ds_write_b32 v4, v9
	s_branch .LBB214_47
.LBB214_114:
	s_or_b64 exec, exec, s[74:75]
	v_readlane_b32 s0, v30, 4
	v_readlane_b32 s1, v30, 5
	s_ashr_i32 s1, s0, 31
	s_lshl_b64 s[0:1], s[0:1], 3
	v_readlane_b32 s2, v30, 0
	v_readlane_b32 s3, v30, 1
	s_add_u32 s4, s2, s0
	s_addc_u32 s5, s3, s1
	s_load_dwordx4 s[0:3], s[4:5], 0x0
	s_waitcnt lgkmcnt(0)
	s_sub_i32 s8, s2, s0
	v_cmp_gt_i32_e32 vcc, s8, v0
	s_and_saveexec_b64 s[4:5], vcc
	s_cbranch_execz .LBB214_124
; %bb.115:
	s_sub_u32 s4, s0, s66
	s_subb_u32 s5, s1, 0
	s_and_b32 s10, s8, 7
	s_sub_i32 s0, s0, s2
	s_cmp_lt_u32 s0, -7
	s_cselect_b64 s[0:1], -1, 0
	s_and_b32 s11, s8, -8
	s_cmp_lg_u32 s10, 0
	v_cndmask_b32_e64 v1, 0, 1, s[0:1]
	s_cselect_b64 s[2:3], -1, 0
	v_cmp_ne_u32_e64 s[0:1], 1, v1
	v_cndmask_b32_e64 v1, 0, 1, s[2:3]
	s_mov_b32 s9, 0
	s_mov_b64 s[6:7], 0
	v_cmp_ne_u32_e64 s[2:3], 1, v1
	s_branch .LBB214_117
.LBB214_116:                            ;   in Loop: Header=BB214_117 Depth=1
	v_readlane_b32 s12, v30, 2
	v_add_u32_e32 v0, 0x400, v0
	v_readlane_b32 s13, v30, 3
	v_cmp_le_i32_e32 vcc, s8, v0
	s_or_b64 s[6:7], vcc, s[6:7]
	v_lshl_add_u64 v[4:5], v[4:5], 3, s[12:13]
	s_waitcnt lgkmcnt(0)
	global_store_dwordx2 v[4:5], v[2:3], off
	s_andn2_b64 exec, exec, s[6:7]
	s_cbranch_execz .LBB214_124
.LBB214_117:                            ; =>This Loop Header: Depth=1
                                        ;     Child Loop BB214_119 Depth 2
                                        ;     Child Loop BB214_123 Depth 2
	v_lshl_add_u32 v2, v0, 3, 0
	v_lshl_add_u32 v1, v0, 2, 0
	v_add_u32_e32 v2, 0x10000, v2
	ds_read_b32 v1, v1
	ds_read2_b32 v[2:3], v2 offset1:1
	s_and_b64 vcc, exec, s[0:1]
	v_mov_b64_e32 v[4:5], s[4:5]
	s_mov_b32 s12, 0
	s_cbranch_vccnz .LBB214_121
; %bb.118:                              ;   in Loop: Header=BB214_117 Depth=1
	s_mov_b32 s13, 0
	v_mov_b64_e32 v[4:5], s[4:5]
.LBB214_119:                            ;   Parent Loop BB214_117 Depth=1
                                        ; =>  This Inner Loop Header: Depth=2
	v_mov_b32_e32 v6, s13
	ds_read2_b32 v[22:23], v6 offset1:1
	ds_read2_b32 v[24:25], v6 offset0:2 offset1:3
	ds_read2_b32 v[26:27], v6 offset0:4 offset1:5
	;; [unrolled: 1-line block ×3, first 2 shown]
	v_mov_b32_e32 v7, s9
	s_waitcnt lgkmcnt(3)
	v_cmp_gt_i32_e32 vcc, v1, v22
	v_mov_b32_e32 v9, s9
	v_mov_b32_e32 v11, s9
	v_cndmask_b32_e64 v6, 0, 1, vcc
	v_cmp_gt_i32_e32 vcc, v1, v23
	v_lshl_add_u64 v[4:5], v[4:5], 0, v[6:7]
	v_mov_b32_e32 v13, s9
	v_cndmask_b32_e64 v8, 0, 1, vcc
	s_waitcnt lgkmcnt(2)
	v_cmp_gt_i32_e32 vcc, v1, v24
	v_lshl_add_u64 v[4:5], v[4:5], 0, v[8:9]
	v_mov_b32_e32 v15, s9
	v_cndmask_b32_e64 v10, 0, 1, vcc
	v_cmp_gt_i32_e32 vcc, v1, v25
	v_lshl_add_u64 v[4:5], v[4:5], 0, v[10:11]
	v_mov_b32_e32 v17, s9
	v_cndmask_b32_e64 v12, 0, 1, vcc
	s_waitcnt lgkmcnt(1)
	v_cmp_gt_i32_e32 vcc, v1, v26
	v_lshl_add_u64 v[4:5], v[4:5], 0, v[12:13]
	;; [unrolled: 9-line block ×3, first 2 shown]
	s_add_i32 s12, s12, 8
	v_cndmask_b32_e64 v18, 0, 1, vcc
	v_cmp_gt_i32_e32 vcc, v1, v29
	s_add_i32 s13, s13, 32
	v_lshl_add_u64 v[4:5], v[4:5], 0, v[18:19]
	v_cndmask_b32_e64 v20, 0, 1, vcc
	s_cmp_eq_u32 s11, s12
	v_lshl_add_u64 v[4:5], v[4:5], 0, v[20:21]
	s_cbranch_scc0 .LBB214_119
; %bb.120:                              ;   in Loop: Header=BB214_117 Depth=1
	s_mov_b32 s12, s11
.LBB214_121:                            ;   in Loop: Header=BB214_117 Depth=1
	s_and_b64 vcc, exec, s[2:3]
	s_cbranch_vccnz .LBB214_116
; %bb.122:                              ;   in Loop: Header=BB214_117 Depth=1
	s_lshl_b32 s12, s12, 2
	s_add_i32 s12, s12, 0
	s_mov_b32 s13, s10
.LBB214_123:                            ;   Parent Loop BB214_117 Depth=1
                                        ; =>  This Inner Loop Header: Depth=2
	v_mov_b32_e32 v6, s12
	ds_read_b32 v6, v6
	v_mov_b32_e32 v7, s9
	s_add_i32 s12, s12, 4
	s_add_i32 s13, s13, -1
	s_cmp_lg_u32 s13, 0
	s_waitcnt lgkmcnt(0)
	v_cmp_gt_i32_e32 vcc, v1, v6
	s_nop 1
	v_cndmask_b32_e64 v6, 0, 1, vcc
	v_lshl_add_u64 v[4:5], v[4:5], 0, v[6:7]
	s_cbranch_scc1 .LBB214_123
	s_branch .LBB214_116
.LBB214_124:
	s_endpgm
	.section	.rodata,"a",@progbits
	.p2align	6, 0x0
	.amdhsa_kernel _ZN9rocsparseL41csrgemm_numeric_fill_block_per_row_kernelILj1024ELj64ELj16384ELj137ELj32Eli21rocsparse_complex_numIfEEEvT5_PKS3_S5_NS_24const_host_device_scalarIT6_EEPKT4_S5_PKS7_SB_S5_SD_S8_SB_S5_SD_SB_S5_PS7_21rocsparse_index_base_SF_SF_SF_bbb
		.amdhsa_group_segment_fixed_size 0
		.amdhsa_private_segment_fixed_size 0
		.amdhsa_kernarg_size 156
		.amdhsa_user_sgpr_count 2
		.amdhsa_user_sgpr_dispatch_ptr 0
		.amdhsa_user_sgpr_queue_ptr 0
		.amdhsa_user_sgpr_kernarg_segment_ptr 1
		.amdhsa_user_sgpr_dispatch_id 0
		.amdhsa_user_sgpr_kernarg_preload_length 0
		.amdhsa_user_sgpr_kernarg_preload_offset 0
		.amdhsa_user_sgpr_private_segment_size 0
		.amdhsa_uses_dynamic_stack 0
		.amdhsa_enable_private_segment 0
		.amdhsa_system_sgpr_workgroup_id_x 1
		.amdhsa_system_sgpr_workgroup_id_y 0
		.amdhsa_system_sgpr_workgroup_id_z 0
		.amdhsa_system_sgpr_workgroup_info 0
		.amdhsa_system_vgpr_workitem_id 0
		.amdhsa_next_free_vgpr 31
		.amdhsa_next_free_sgpr 100
		.amdhsa_accum_offset 32
		.amdhsa_reserve_vcc 1
		.amdhsa_float_round_mode_32 0
		.amdhsa_float_round_mode_16_64 0
		.amdhsa_float_denorm_mode_32 3
		.amdhsa_float_denorm_mode_16_64 3
		.amdhsa_dx10_clamp 1
		.amdhsa_ieee_mode 1
		.amdhsa_fp16_overflow 0
		.amdhsa_tg_split 0
		.amdhsa_exception_fp_ieee_invalid_op 0
		.amdhsa_exception_fp_denorm_src 0
		.amdhsa_exception_fp_ieee_div_zero 0
		.amdhsa_exception_fp_ieee_overflow 0
		.amdhsa_exception_fp_ieee_underflow 0
		.amdhsa_exception_fp_ieee_inexact 0
		.amdhsa_exception_int_div_zero 0
	.end_amdhsa_kernel
	.section	.text._ZN9rocsparseL41csrgemm_numeric_fill_block_per_row_kernelILj1024ELj64ELj16384ELj137ELj32Eli21rocsparse_complex_numIfEEEvT5_PKS3_S5_NS_24const_host_device_scalarIT6_EEPKT4_S5_PKS7_SB_S5_SD_S8_SB_S5_SD_SB_S5_PS7_21rocsparse_index_base_SF_SF_SF_bbb,"axG",@progbits,_ZN9rocsparseL41csrgemm_numeric_fill_block_per_row_kernelILj1024ELj64ELj16384ELj137ELj32Eli21rocsparse_complex_numIfEEEvT5_PKS3_S5_NS_24const_host_device_scalarIT6_EEPKT4_S5_PKS7_SB_S5_SD_S8_SB_S5_SD_SB_S5_PS7_21rocsparse_index_base_SF_SF_SF_bbb,comdat
.Lfunc_end214:
	.size	_ZN9rocsparseL41csrgemm_numeric_fill_block_per_row_kernelILj1024ELj64ELj16384ELj137ELj32Eli21rocsparse_complex_numIfEEEvT5_PKS3_S5_NS_24const_host_device_scalarIT6_EEPKT4_S5_PKS7_SB_S5_SD_S8_SB_S5_SD_SB_S5_PS7_21rocsparse_index_base_SF_SF_SF_bbb, .Lfunc_end214-_ZN9rocsparseL41csrgemm_numeric_fill_block_per_row_kernelILj1024ELj64ELj16384ELj137ELj32Eli21rocsparse_complex_numIfEEEvT5_PKS3_S5_NS_24const_host_device_scalarIT6_EEPKT4_S5_PKS7_SB_S5_SD_S8_SB_S5_SD_SB_S5_PS7_21rocsparse_index_base_SF_SF_SF_bbb
                                        ; -- End function
	.set _ZN9rocsparseL41csrgemm_numeric_fill_block_per_row_kernelILj1024ELj64ELj16384ELj137ELj32Eli21rocsparse_complex_numIfEEEvT5_PKS3_S5_NS_24const_host_device_scalarIT6_EEPKT4_S5_PKS7_SB_S5_SD_S8_SB_S5_SD_SB_S5_PS7_21rocsparse_index_base_SF_SF_SF_bbb.num_vgpr, 31
	.set _ZN9rocsparseL41csrgemm_numeric_fill_block_per_row_kernelILj1024ELj64ELj16384ELj137ELj32Eli21rocsparse_complex_numIfEEEvT5_PKS3_S5_NS_24const_host_device_scalarIT6_EEPKT4_S5_PKS7_SB_S5_SD_S8_SB_S5_SD_SB_S5_PS7_21rocsparse_index_base_SF_SF_SF_bbb.num_agpr, 0
	.set _ZN9rocsparseL41csrgemm_numeric_fill_block_per_row_kernelILj1024ELj64ELj16384ELj137ELj32Eli21rocsparse_complex_numIfEEEvT5_PKS3_S5_NS_24const_host_device_scalarIT6_EEPKT4_S5_PKS7_SB_S5_SD_S8_SB_S5_SD_SB_S5_PS7_21rocsparse_index_base_SF_SF_SF_bbb.numbered_sgpr, 100
	.set _ZN9rocsparseL41csrgemm_numeric_fill_block_per_row_kernelILj1024ELj64ELj16384ELj137ELj32Eli21rocsparse_complex_numIfEEEvT5_PKS3_S5_NS_24const_host_device_scalarIT6_EEPKT4_S5_PKS7_SB_S5_SD_S8_SB_S5_SD_SB_S5_PS7_21rocsparse_index_base_SF_SF_SF_bbb.num_named_barrier, 0
	.set _ZN9rocsparseL41csrgemm_numeric_fill_block_per_row_kernelILj1024ELj64ELj16384ELj137ELj32Eli21rocsparse_complex_numIfEEEvT5_PKS3_S5_NS_24const_host_device_scalarIT6_EEPKT4_S5_PKS7_SB_S5_SD_S8_SB_S5_SD_SB_S5_PS7_21rocsparse_index_base_SF_SF_SF_bbb.private_seg_size, 0
	.set _ZN9rocsparseL41csrgemm_numeric_fill_block_per_row_kernelILj1024ELj64ELj16384ELj137ELj32Eli21rocsparse_complex_numIfEEEvT5_PKS3_S5_NS_24const_host_device_scalarIT6_EEPKT4_S5_PKS7_SB_S5_SD_S8_SB_S5_SD_SB_S5_PS7_21rocsparse_index_base_SF_SF_SF_bbb.uses_vcc, 1
	.set _ZN9rocsparseL41csrgemm_numeric_fill_block_per_row_kernelILj1024ELj64ELj16384ELj137ELj32Eli21rocsparse_complex_numIfEEEvT5_PKS3_S5_NS_24const_host_device_scalarIT6_EEPKT4_S5_PKS7_SB_S5_SD_S8_SB_S5_SD_SB_S5_PS7_21rocsparse_index_base_SF_SF_SF_bbb.uses_flat_scratch, 0
	.set _ZN9rocsparseL41csrgemm_numeric_fill_block_per_row_kernelILj1024ELj64ELj16384ELj137ELj32Eli21rocsparse_complex_numIfEEEvT5_PKS3_S5_NS_24const_host_device_scalarIT6_EEPKT4_S5_PKS7_SB_S5_SD_S8_SB_S5_SD_SB_S5_PS7_21rocsparse_index_base_SF_SF_SF_bbb.has_dyn_sized_stack, 0
	.set _ZN9rocsparseL41csrgemm_numeric_fill_block_per_row_kernelILj1024ELj64ELj16384ELj137ELj32Eli21rocsparse_complex_numIfEEEvT5_PKS3_S5_NS_24const_host_device_scalarIT6_EEPKT4_S5_PKS7_SB_S5_SD_S8_SB_S5_SD_SB_S5_PS7_21rocsparse_index_base_SF_SF_SF_bbb.has_recursion, 0
	.set _ZN9rocsparseL41csrgemm_numeric_fill_block_per_row_kernelILj1024ELj64ELj16384ELj137ELj32Eli21rocsparse_complex_numIfEEEvT5_PKS3_S5_NS_24const_host_device_scalarIT6_EEPKT4_S5_PKS7_SB_S5_SD_S8_SB_S5_SD_SB_S5_PS7_21rocsparse_index_base_SF_SF_SF_bbb.has_indirect_call, 0
	.section	.AMDGPU.csdata,"",@progbits
; Kernel info:
; codeLenInByte = 4612
; TotalNumSgprs: 106
; NumVgprs: 31
; NumAgprs: 0
; TotalNumVgprs: 31
; ScratchSize: 0
; MemoryBound: 0
; FloatMode: 240
; IeeeMode: 1
; LDSByteSize: 0 bytes/workgroup (compile time only)
; SGPRBlocks: 13
; VGPRBlocks: 3
; NumSGPRsForWavesPerEU: 106
; NumVGPRsForWavesPerEU: 31
; AccumOffset: 32
; Occupancy: 7
; WaveLimiterHint : 1
; COMPUTE_PGM_RSRC2:SCRATCH_EN: 0
; COMPUTE_PGM_RSRC2:USER_SGPR: 2
; COMPUTE_PGM_RSRC2:TRAP_HANDLER: 0
; COMPUTE_PGM_RSRC2:TGID_X_EN: 1
; COMPUTE_PGM_RSRC2:TGID_Y_EN: 0
; COMPUTE_PGM_RSRC2:TGID_Z_EN: 0
; COMPUTE_PGM_RSRC2:TIDIG_COMP_CNT: 0
; COMPUTE_PGM_RSRC3_GFX90A:ACCUM_OFFSET: 7
; COMPUTE_PGM_RSRC3_GFX90A:TG_SPLIT: 0
	.section	.text._ZN9rocsparseL41csrgemm_numeric_fill_block_per_row_kernelILj1024ELj64ELj16384ELj137ELj64Eli21rocsparse_complex_numIfEEEvT5_PKS3_S5_NS_24const_host_device_scalarIT6_EEPKT4_S5_PKS7_SB_S5_SD_S8_SB_S5_SD_SB_S5_PS7_21rocsparse_index_base_SF_SF_SF_bbb,"axG",@progbits,_ZN9rocsparseL41csrgemm_numeric_fill_block_per_row_kernelILj1024ELj64ELj16384ELj137ELj64Eli21rocsparse_complex_numIfEEEvT5_PKS3_S5_NS_24const_host_device_scalarIT6_EEPKT4_S5_PKS7_SB_S5_SD_S8_SB_S5_SD_SB_S5_PS7_21rocsparse_index_base_SF_SF_SF_bbb,comdat
	.globl	_ZN9rocsparseL41csrgemm_numeric_fill_block_per_row_kernelILj1024ELj64ELj16384ELj137ELj64Eli21rocsparse_complex_numIfEEEvT5_PKS3_S5_NS_24const_host_device_scalarIT6_EEPKT4_S5_PKS7_SB_S5_SD_S8_SB_S5_SD_SB_S5_PS7_21rocsparse_index_base_SF_SF_SF_bbb ; -- Begin function _ZN9rocsparseL41csrgemm_numeric_fill_block_per_row_kernelILj1024ELj64ELj16384ELj137ELj64Eli21rocsparse_complex_numIfEEEvT5_PKS3_S5_NS_24const_host_device_scalarIT6_EEPKT4_S5_PKS7_SB_S5_SD_S8_SB_S5_SD_SB_S5_PS7_21rocsparse_index_base_SF_SF_SF_bbb
	.p2align	8
	.type	_ZN9rocsparseL41csrgemm_numeric_fill_block_per_row_kernelILj1024ELj64ELj16384ELj137ELj64Eli21rocsparse_complex_numIfEEEvT5_PKS3_S5_NS_24const_host_device_scalarIT6_EEPKT4_S5_PKS7_SB_S5_SD_S8_SB_S5_SD_SB_S5_PS7_21rocsparse_index_base_SF_SF_SF_bbb,@function
_ZN9rocsparseL41csrgemm_numeric_fill_block_per_row_kernelILj1024ELj64ELj16384ELj137ELj64Eli21rocsparse_complex_numIfEEEvT5_PKS3_S5_NS_24const_host_device_scalarIT6_EEPKT4_S5_PKS7_SB_S5_SD_S8_SB_S5_SD_SB_S5_PS7_21rocsparse_index_base_SF_SF_SF_bbb: ; @_ZN9rocsparseL41csrgemm_numeric_fill_block_per_row_kernelILj1024ELj64ELj16384ELj137ELj64Eli21rocsparse_complex_numIfEEEvT5_PKS3_S5_NS_24const_host_device_scalarIT6_EEPKT4_S5_PKS7_SB_S5_SD_S8_SB_S5_SD_SB_S5_PS7_21rocsparse_index_base_SF_SF_SF_bbb
; %bb.0:
	s_load_dwordx2 s[40:41], s[0:1], 0x70
	s_load_dwordx4 s[24:27], s[0:1], 0x60
	s_load_dwordx8 s[8:15], s[0:1], 0x40
	s_load_dword s3, s[0:1], 0x98
	s_load_dwordx4 s[28:31], s[0:1], 0x8
	s_load_dwordx8 s[16:23], s[0:1], 0x20
	s_load_dwordx2 s[34:35], s[0:1], 0x80
	s_load_dwordx4 s[36:39], s[0:1], 0x88
	s_waitcnt lgkmcnt(0)
	s_bitcmp1_b32 s3, 0
	s_cselect_b64 s[46:47], -1, 0
	s_bitcmp1_b32 s3, 16
	s_cselect_b64 s[4:5], -1, 0
	s_xor_b64 s[4:5], s[4:5], -1
	v_cndmask_b32_e64 v1, 0, 1, s[4:5]
	s_mov_b32 s7, 0
	s_bitcmp0_b32 s3, 0
	v_cmp_ne_u32_e64 s[4:5], 1, v1
	s_mov_b32 s54, 0
	s_cbranch_scc1 .LBB215_5
; %bb.1:
	s_load_dwordx2 s[6:7], s[0:1], 0x18
	s_and_b64 vcc, exec, s[4:5]
	s_waitcnt lgkmcnt(0)
	s_mov_b32 s54, s6
	s_cbranch_vccnz .LBB215_3
; %bb.2:
	s_load_dword s54, s[6:7], 0x0
.LBB215_3:
	s_and_b64 vcc, exec, s[4:5]
	s_cbranch_vccnz .LBB215_5
; %bb.4:
	s_load_dword s7, s[6:7], 0x4
.LBB215_5:
	s_bitcmp1_b32 s3, 8
	s_cselect_b64 s[44:45], -1, 0
	s_bfe_u32 s3, s3, 0x10008
	s_mov_b32 s52, 0
	s_cmp_eq_u32 s3, 0
	s_mov_b32 s53, 0
	s_cbranch_scc1 .LBB215_11
; %bb.6:
	s_and_b64 vcc, exec, s[4:5]
	s_mov_b32 s52, s12
	s_cbranch_vccnz .LBB215_8
; %bb.7:
	s_load_dword s52, s[12:13], 0x0
.LBB215_8:
	s_and_b64 vcc, exec, s[4:5]
	s_cbranch_vccnz .LBB215_10
; %bb.9:
	s_load_dword s13, s[12:13], 0x4
.LBB215_10:
	s_waitcnt lgkmcnt(0)
	s_mov_b32 s53, s13
.LBB215_11:
	s_load_dword s33, s[0:1], 0x0
	v_lshl_add_u32 v2, v0, 3, 0
	v_or_b32_e32 v1, 0xfffffc00, v0
	v_add_u32_e32 v12, 0x10000, v2
	v_lshl_add_u32 v13, v0, 2, 0
	s_mov_b64 s[0:1], 0
	s_waitcnt lgkmcnt(0)
	v_mov_b32_e32 v6, s33
	v_mov_b32_e32 v2, 0
	s_movk_i32 s3, 0x3bff
	v_mov_b32_e32 v3, v13
	v_mov_b32_e32 v4, v12
	;; [unrolled: 1-line block ×3, first 2 shown]
.LBB215_12:                             ; =>This Inner Loop Header: Depth=1
	v_add_u32_e32 v5, 0x400, v5
	v_cmp_lt_u32_e32 vcc, s3, v5
	ds_write_b32 v3, v6
	ds_write2_b32 v4, v2, v2 offset1:1
	v_add_u32_e32 v4, 0x2000, v4
	s_or_b64 s[0:1], vcc, s[0:1]
	v_add_u32_e32 v3, 0x1000, v3
	s_andn2_b64 exec, exec, s[0:1]
	s_cbranch_execnz .LBB215_12
; %bb.13:
	s_or_b64 exec, exec, s[0:1]
	s_waitcnt lgkmcnt(0)
	s_barrier
	s_load_dword s0, s[28:29], 0x0
	s_mov_b32 s1, 0
	v_lshrrev_b32_e32 v14, 6, v0
	s_waitcnt lgkmcnt(0)
	s_add_i32 s0, s0, s2
	s_lshl_b64 s[0:1], s[0:1], 2
	s_add_u32 s0, s30, s0
	s_addc_u32 s1, s31, s1
	s_load_dword s42, s[0:1], 0x0
	s_and_b64 vcc, exec, s[46:47]
	s_cbranch_vccz .LBB215_31
; %bb.14:
	s_waitcnt lgkmcnt(0)
	s_ashr_i32 s43, s42, 31
	s_lshl_b64 s[0:1], s[42:43], 3
	s_add_u32 s0, s16, s0
	s_addc_u32 s1, s17, s1
	s_load_dwordx4 s[28:31], s[0:1], 0x0
	v_subrev_co_u32_e32 v2, vcc, s36, v14
	s_nop 1
	v_subb_co_u32_e64 v3, s[0:1], 0, 0, vcc
	s_waitcnt lgkmcnt(0)
	s_sub_u32 s0, s30, s36
	s_subb_u32 s1, s31, 0
	v_lshl_add_u64 v[2:3], s[28:29], 0, v[2:3]
	v_cmp_gt_i64_e32 vcc, s[0:1], v[2:3]
	s_and_saveexec_b64 s[2:3], vcc
	s_cbranch_execz .LBB215_30
; %bb.15:
	v_and_b32_e32 v4, 63, v0
	v_subrev_co_u32_e32 v4, vcc, s37, v4
	s_mov_b32 s6, s37
	s_nop 0
	v_subb_co_u32_e64 v5, s[4:5], 0, 0, vcc
	s_mov_b64 s[4:5], 0
	s_movk_i32 s43, 0x89
	s_branch .LBB215_17
.LBB215_16:                             ;   in Loop: Header=BB215_17 Depth=1
	s_or_b64 exec, exec, s[12:13]
	v_lshl_add_u64 v[2:3], v[2:3], 0, 16
	v_cmp_le_i64_e32 vcc, s[0:1], v[2:3]
	s_or_b64 s[4:5], vcc, s[4:5]
	s_andn2_b64 exec, exec, s[4:5]
	s_cbranch_execz .LBB215_30
.LBB215_17:                             ; =>This Loop Header: Depth=1
                                        ;     Child Loop BB215_21 Depth 2
                                        ;       Child Loop BB215_24 Depth 3
	v_lshl_add_u64 v[6:7], v[2:3], 2, s[18:19]
	global_load_dword v6, v[6:7], off
	s_waitcnt vmcnt(0)
	v_subrev_u32_e32 v6, s36, v6
	v_ashrrev_i32_e32 v7, 31, v6
	v_lshl_add_u64 v[6:7], v[6:7], 3, s[22:23]
	global_load_dwordx4 v[8:11], v[6:7], off
	s_waitcnt vmcnt(0)
	v_subrev_co_u32_e32 v6, vcc, s6, v10
	s_nop 1
	v_subbrev_co_u32_e32 v7, vcc, 0, v11, vcc
	v_lshl_add_u64 v[8:9], v[8:9], 0, v[4:5]
	v_cmp_lt_i64_e32 vcc, v[8:9], v[6:7]
	s_and_saveexec_b64 s[12:13], vcc
	s_cbranch_execz .LBB215_16
; %bb.18:                               ;   in Loop: Header=BB215_17 Depth=1
	v_lshl_add_u64 v[10:11], v[2:3], 3, s[20:21]
	global_load_dwordx2 v[10:11], v[10:11], off
	s_mov_b64 s[16:17], 0
	s_waitcnt vmcnt(0)
	v_mul_f32_e64 v15, v11, -s7
	v_mul_f32_e32 v16, s54, v11
	v_fmac_f32_e32 v15, s54, v10
	v_fmac_f32_e32 v16, s7, v10
	s_branch .LBB215_21
.LBB215_19:                             ;   in Loop: Header=BB215_21 Depth=2
	s_or_b64 exec, exec, s[30:31]
.LBB215_20:                             ;   in Loop: Header=BB215_21 Depth=2
	s_or_b64 exec, exec, s[28:29]
	s_waitcnt vmcnt(0)
	v_mul_f32_e64 v18, v11, -v16
	v_mul_f32_e32 v11, v15, v11
	v_fmac_f32_e32 v18, v15, v10
	v_fmac_f32_e32 v11, v16, v10
	v_lshl_add_u32 v10, v17, 3, 0
	v_add_u32_e32 v10, 0x10000, v10
	ds_add_f32 v10, v18
	ds_add_f32 v10, v11 offset:4
	v_lshl_add_u64 v[8:9], v[8:9], 0, 64
	v_cmp_ge_i64_e32 vcc, v[8:9], v[6:7]
	s_or_b64 s[16:17], vcc, s[16:17]
	s_andn2_b64 exec, exec, s[16:17]
	s_cbranch_execz .LBB215_16
.LBB215_21:                             ;   Parent Loop BB215_17 Depth=1
                                        ; =>  This Loop Header: Depth=2
                                        ;       Child Loop BB215_24 Depth 3
	v_lshl_add_u64 v[10:11], v[8:9], 2, s[8:9]
	global_load_dword v17, v[10:11], off
	v_lshl_add_u64 v[10:11], v[8:9], 3, s[10:11]
	global_load_dwordx2 v[10:11], v[10:11], off
	s_waitcnt vmcnt(1)
	v_subrev_u32_e32 v18, s37, v17
	v_mul_lo_u32 v17, v18, s43
	v_and_b32_e32 v17, 0x3fff, v17
	v_lshl_add_u32 v19, v17, 2, 0
	ds_read_b32 v20, v19
	s_waitcnt lgkmcnt(0)
	v_cmp_ne_u32_e32 vcc, v20, v18
	s_and_saveexec_b64 s[28:29], vcc
	s_cbranch_execz .LBB215_20
; %bb.22:                               ;   in Loop: Header=BB215_21 Depth=2
	s_mov_b64 s[30:31], 0
	s_branch .LBB215_24
.LBB215_23:                             ;   in Loop: Header=BB215_24 Depth=3
	s_or_b64 exec, exec, s[50:51]
	s_and_b64 s[46:47], exec, s[48:49]
	s_or_b64 s[30:31], s[46:47], s[30:31]
	s_andn2_b64 exec, exec, s[30:31]
	s_cbranch_execz .LBB215_19
.LBB215_24:                             ;   Parent Loop BB215_17 Depth=1
                                        ;     Parent Loop BB215_21 Depth=2
                                        ; =>    This Inner Loop Header: Depth=3
	v_cmp_ne_u32_e32 vcc, s33, v20
	s_mov_b64 s[46:47], 0
	s_and_saveexec_b64 s[48:49], vcc
	s_xor_b64 s[48:49], exec, s[48:49]
	s_cbranch_execz .LBB215_26
; %bb.25:                               ;   in Loop: Header=BB215_24 Depth=3
	v_add_u32_e32 v17, 1, v17
	s_mov_b64 s[46:47], exec
	v_and_b32_e32 v17, 0x3fff, v17
                                        ; implicit-def: $vgpr19
	s_andn2_saveexec_b64 s[48:49], s[48:49]
	s_cbranch_execz .LBB215_28
	s_branch .LBB215_27
.LBB215_26:                             ;   in Loop: Header=BB215_24 Depth=3
	s_andn2_saveexec_b64 s[48:49], s[48:49]
	s_cbranch_execz .LBB215_28
.LBB215_27:                             ;   in Loop: Header=BB215_24 Depth=3
	v_mov_b32_e32 v20, s33
	ds_cmpst_rtn_b32 v19, v19, v20, v18
	s_andn2_b64 s[46:47], s[46:47], exec
	s_waitcnt lgkmcnt(0)
	v_cmp_ne_u32_e32 vcc, s33, v19
	s_and_b64 s[50:51], vcc, exec
	s_or_b64 s[46:47], s[46:47], s[50:51]
.LBB215_28:                             ;   in Loop: Header=BB215_24 Depth=3
	s_or_b64 exec, exec, s[48:49]
	s_mov_b64 s[48:49], -1
                                        ; implicit-def: $vgpr19
                                        ; implicit-def: $vgpr20
	s_and_saveexec_b64 s[50:51], s[46:47]
	s_cbranch_execz .LBB215_23
; %bb.29:                               ;   in Loop: Header=BB215_24 Depth=3
	v_lshl_add_u32 v19, v17, 2, 0
	ds_read_b32 v20, v19
	s_waitcnt lgkmcnt(0)
	v_cmp_eq_u32_e32 vcc, v20, v18
	s_orn2_b64 s[48:49], vcc, exec
	s_branch .LBB215_23
.LBB215_30:
	s_or_b64 exec, exec, s[2:3]
.LBB215_31:
	s_andn2_b64 vcc, exec, s[44:45]
	s_cbranch_vccnz .LBB215_46
; %bb.32:
	s_waitcnt lgkmcnt(0)
	s_ashr_i32 s43, s42, 31
	s_lshl_b64 s[0:1], s[42:43], 3
	s_add_u32 s0, s14, s0
	s_addc_u32 s1, s15, s1
	s_load_dwordx4 s[4:7], s[0:1], 0x0
	v_subrev_co_u32_e32 v2, vcc, s39, v0
	s_nop 1
	v_subb_co_u32_e64 v3, s[0:1], 0, 0, vcc
	s_waitcnt lgkmcnt(0)
	s_sub_u32 s0, s6, s39
	s_subb_u32 s1, s7, 0
	v_lshl_add_u64 v[2:3], s[4:5], 0, v[2:3]
	v_cmp_gt_i64_e32 vcc, s[0:1], v[2:3]
	s_and_saveexec_b64 s[2:3], vcc
	s_cbranch_execz .LBB215_45
; %bb.33:
	s_mov_b64 s[4:5], 0
	s_movk_i32 s18, 0x89
	s_mov_b64 s[6:7], 0x400
	s_branch .LBB215_36
.LBB215_34:                             ;   in Loop: Header=BB215_36 Depth=1
	s_or_b64 exec, exec, s[10:11]
.LBB215_35:                             ;   in Loop: Header=BB215_36 Depth=1
	s_or_b64 exec, exec, s[8:9]
	s_waitcnt vmcnt(0)
	v_mul_f32_e64 v7, v5, -s53
	v_mul_f32_e32 v5, s52, v5
	v_fmac_f32_e32 v7, s52, v4
	v_fmac_f32_e32 v5, s53, v4
	v_lshl_add_u32 v4, v6, 3, 0
	v_add_u32_e32 v4, 0x10000, v4
	ds_add_f32 v4, v7
	ds_add_f32 v4, v5 offset:4
	v_lshl_add_u64 v[2:3], v[2:3], 0, s[6:7]
	v_cmp_le_i64_e32 vcc, s[0:1], v[2:3]
	s_or_b64 s[4:5], vcc, s[4:5]
	s_andn2_b64 exec, exec, s[4:5]
	s_cbranch_execz .LBB215_45
.LBB215_36:                             ; =>This Loop Header: Depth=1
                                        ;     Child Loop BB215_39 Depth 2
	v_lshl_add_u64 v[4:5], v[2:3], 2, s[24:25]
	global_load_dword v6, v[4:5], off
	v_lshl_add_u64 v[4:5], v[2:3], 3, s[26:27]
	global_load_dwordx2 v[4:5], v[4:5], off
	s_waitcnt vmcnt(1)
	v_subrev_u32_e32 v7, s39, v6
	v_mul_lo_u32 v6, v7, s18
	v_and_b32_e32 v6, 0x3fff, v6
	v_lshl_add_u32 v8, v6, 2, 0
	ds_read_b32 v9, v8
	s_waitcnt lgkmcnt(0)
	v_cmp_ne_u32_e32 vcc, v9, v7
	s_and_saveexec_b64 s[8:9], vcc
	s_cbranch_execz .LBB215_35
; %bb.37:                               ;   in Loop: Header=BB215_36 Depth=1
	s_mov_b64 s[10:11], 0
	s_branch .LBB215_39
.LBB215_38:                             ;   in Loop: Header=BB215_39 Depth=2
	s_or_b64 exec, exec, s[16:17]
	s_and_b64 s[12:13], exec, s[14:15]
	s_or_b64 s[10:11], s[12:13], s[10:11]
	s_andn2_b64 exec, exec, s[10:11]
	s_cbranch_execz .LBB215_34
.LBB215_39:                             ;   Parent Loop BB215_36 Depth=1
                                        ; =>  This Inner Loop Header: Depth=2
	v_cmp_ne_u32_e32 vcc, s33, v9
	s_mov_b64 s[12:13], 0
	s_and_saveexec_b64 s[14:15], vcc
	s_xor_b64 s[14:15], exec, s[14:15]
	s_cbranch_execz .LBB215_41
; %bb.40:                               ;   in Loop: Header=BB215_39 Depth=2
	v_add_u32_e32 v6, 1, v6
	s_mov_b64 s[12:13], exec
	v_and_b32_e32 v6, 0x3fff, v6
                                        ; implicit-def: $vgpr8
	s_andn2_saveexec_b64 s[14:15], s[14:15]
	s_cbranch_execz .LBB215_43
	s_branch .LBB215_42
.LBB215_41:                             ;   in Loop: Header=BB215_39 Depth=2
	s_andn2_saveexec_b64 s[14:15], s[14:15]
	s_cbranch_execz .LBB215_43
.LBB215_42:                             ;   in Loop: Header=BB215_39 Depth=2
	v_mov_b32_e32 v9, s33
	ds_cmpst_rtn_b32 v8, v8, v9, v7
	s_andn2_b64 s[12:13], s[12:13], exec
	s_waitcnt lgkmcnt(0)
	v_cmp_ne_u32_e32 vcc, s33, v8
	s_and_b64 s[16:17], vcc, exec
	s_or_b64 s[12:13], s[12:13], s[16:17]
.LBB215_43:                             ;   in Loop: Header=BB215_39 Depth=2
	s_or_b64 exec, exec, s[14:15]
	s_mov_b64 s[14:15], -1
                                        ; implicit-def: $vgpr8
                                        ; implicit-def: $vgpr9
	s_and_saveexec_b64 s[16:17], s[12:13]
	s_cbranch_execz .LBB215_38
; %bb.44:                               ;   in Loop: Header=BB215_39 Depth=2
	v_lshl_add_u32 v8, v6, 2, 0
	ds_read_b32 v9, v8
	s_waitcnt lgkmcnt(0)
	v_cmp_eq_u32_e32 vcc, v9, v7
	s_orn2_b64 s[14:15], vcc, exec
	s_branch .LBB215_38
.LBB215_45:
	s_or_b64 exec, exec, s[2:3]
.LBB215_46:
	v_mbcnt_lo_u32_b32 v2, -1, 0
	v_mbcnt_hi_u32_b32 v2, -1, v2
	v_sub_u32_e32 v2, 63, v2
	s_add_i32 s39, 0, 0x30000
	s_movk_i32 s0, 0x3ff
	s_movk_i32 s2, 0x7f
	;; [unrolled: 1-line block ×15, first 2 shown]
	s_add_i32 s59, 0, 0x3003c
	v_lshrrev_b64 v[2:3], v2, -1
	v_lshl_add_u32 v6, v14, 2, s39
	v_cmp_eq_u32_e32 vcc, s0, v0
	v_cmp_lt_u32_e64 s[0:1], 63, v0
	v_cmp_lt_u32_e64 s[2:3], s2, v0
	;; [unrolled: 1-line block ×15, first 2 shown]
	s_mov_b64 s[36:37], 0
	v_mov_b32_e32 v7, 0
	s_add_i32 s43, 0, 0x30004
	s_add_i32 s46, 0, 0x30008
	;; [unrolled: 1-line block ×14, first 2 shown]
	v_mov_b32_e32 v8, s59
	s_movk_i32 s60, 0x3bff
	s_waitcnt lgkmcnt(0)
	s_barrier
	s_branch .LBB215_48
.LBB215_47:                             ;   in Loop: Header=BB215_48 Depth=1
	s_or_b64 exec, exec, s[30:31]
	s_waitcnt lgkmcnt(0)
	s_barrier
	ds_read_b32 v4, v8
	v_add_u32_e32 v1, 0x400, v1
	v_cmp_lt_u32_e64 s[30:31], s60, v1
	v_add_u32_e32 v12, 0x2000, v12
	s_or_b64 s[36:37], s[30:31], s[36:37]
	s_waitcnt lgkmcnt(0)
	v_add_u32_e32 v7, v4, v7
	v_add_u32_e32 v13, 0x1000, v13
	s_andn2_b64 exec, exec, s[36:37]
	s_cbranch_execz .LBB215_82
.LBB215_48:                             ; =>This Inner Loop Header: Depth=1
	ds_read_b32 v9, v13
	ds_read2_b32 v[4:5], v12 offset1:1
	s_waitcnt lgkmcnt(0)
	s_barrier
	v_cmp_gt_i32_e64 s[30:31], s33, v9
	s_bcnt1_i32_b64 s44, s[30:31]
	s_nop 0
	v_and_b32_e32 v11, s30, v2
	v_and_b32_e32 v10, s31, v3
	v_bcnt_u32_b32 v11, v11, 0
	v_bcnt_u32_b32 v10, v10, v11
	v_mov_b32_e32 v11, s44
	ds_write_b32 v6, v11
	s_waitcnt lgkmcnt(0)
	s_barrier
	s_and_saveexec_b64 s[44:45], s[0:1]
	s_cbranch_execz .LBB215_65
; %bb.49:                               ;   in Loop: Header=BB215_48 Depth=1
	v_mov_b32_e32 v11, s39
	ds_read_b32 v11, v11
	s_waitcnt lgkmcnt(0)
	v_add_u32_e32 v10, v11, v10
	s_or_b64 exec, exec, s[44:45]
	s_and_saveexec_b64 s[44:45], s[2:3]
	s_cbranch_execnz .LBB215_66
.LBB215_50:                             ;   in Loop: Header=BB215_48 Depth=1
	s_or_b64 exec, exec, s[44:45]
	s_and_saveexec_b64 s[44:45], s[4:5]
	s_cbranch_execz .LBB215_67
.LBB215_51:                             ;   in Loop: Header=BB215_48 Depth=1
	v_mov_b32_e32 v11, s46
	ds_read_b32 v11, v11
	s_waitcnt lgkmcnt(0)
	v_add_u32_e32 v10, v11, v10
	s_or_b64 exec, exec, s[44:45]
	s_and_saveexec_b64 s[44:45], s[6:7]
	s_cbranch_execnz .LBB215_68
.LBB215_52:                             ;   in Loop: Header=BB215_48 Depth=1
	s_or_b64 exec, exec, s[44:45]
	s_and_saveexec_b64 s[44:45], s[8:9]
	s_cbranch_execz .LBB215_69
.LBB215_53:                             ;   in Loop: Header=BB215_48 Depth=1
	v_mov_b32_e32 v11, s48
	ds_read_b32 v11, v11
	s_waitcnt lgkmcnt(0)
	v_add_u32_e32 v10, v11, v10
	s_or_b64 exec, exec, s[44:45]
	s_and_saveexec_b64 s[44:45], s[10:11]
	s_cbranch_execnz .LBB215_70
.LBB215_54:                             ;   in Loop: Header=BB215_48 Depth=1
	s_or_b64 exec, exec, s[44:45]
	s_and_saveexec_b64 s[44:45], s[12:13]
	s_cbranch_execz .LBB215_71
.LBB215_55:                             ;   in Loop: Header=BB215_48 Depth=1
	v_mov_b32_e32 v11, s50
	ds_read_b32 v11, v11
	s_waitcnt lgkmcnt(0)
	v_add_u32_e32 v10, v11, v10
	s_or_b64 exec, exec, s[44:45]
	s_and_saveexec_b64 s[44:45], s[14:15]
	s_cbranch_execnz .LBB215_72
.LBB215_56:                             ;   in Loop: Header=BB215_48 Depth=1
	s_or_b64 exec, exec, s[44:45]
	s_and_saveexec_b64 s[44:45], s[16:17]
	s_cbranch_execz .LBB215_73
.LBB215_57:                             ;   in Loop: Header=BB215_48 Depth=1
	v_mov_b32_e32 v11, s52
	ds_read_b32 v11, v11
	s_waitcnt lgkmcnt(0)
	v_add_u32_e32 v10, v11, v10
	s_or_b64 exec, exec, s[44:45]
	s_and_saveexec_b64 s[44:45], s[18:19]
	s_cbranch_execnz .LBB215_74
.LBB215_58:                             ;   in Loop: Header=BB215_48 Depth=1
	s_or_b64 exec, exec, s[44:45]
	s_and_saveexec_b64 s[44:45], s[20:21]
	s_cbranch_execz .LBB215_75
.LBB215_59:                             ;   in Loop: Header=BB215_48 Depth=1
	v_mov_b32_e32 v11, s54
	ds_read_b32 v11, v11
	s_waitcnt lgkmcnt(0)
	v_add_u32_e32 v10, v11, v10
	s_or_b64 exec, exec, s[44:45]
	s_and_saveexec_b64 s[44:45], s[22:23]
	s_cbranch_execnz .LBB215_76
.LBB215_60:                             ;   in Loop: Header=BB215_48 Depth=1
	s_or_b64 exec, exec, s[44:45]
	s_and_saveexec_b64 s[44:45], s[24:25]
	s_cbranch_execz .LBB215_77
.LBB215_61:                             ;   in Loop: Header=BB215_48 Depth=1
	v_mov_b32_e32 v11, s56
	ds_read_b32 v11, v11
	s_waitcnt lgkmcnt(0)
	v_add_u32_e32 v10, v11, v10
	s_or_b64 exec, exec, s[44:45]
	s_and_saveexec_b64 s[44:45], s[26:27]
	s_cbranch_execnz .LBB215_78
.LBB215_62:                             ;   in Loop: Header=BB215_48 Depth=1
	s_or_b64 exec, exec, s[44:45]
	s_and_saveexec_b64 s[44:45], s[28:29]
	s_cbranch_execz .LBB215_79
.LBB215_63:                             ;   in Loop: Header=BB215_48 Depth=1
	v_mov_b32_e32 v11, s58
	ds_read_b32 v11, v11
	s_waitcnt lgkmcnt(0)
	v_add_u32_e32 v10, v11, v10
	s_or_b64 exec, exec, s[44:45]
	s_and_saveexec_b64 s[44:45], s[30:31]
	s_cbranch_execnz .LBB215_80
.LBB215_64:                             ;   in Loop: Header=BB215_48 Depth=1
	s_or_b64 exec, exec, s[44:45]
	s_and_saveexec_b64 s[30:31], vcc
	s_cbranch_execz .LBB215_47
	s_branch .LBB215_81
.LBB215_65:                             ;   in Loop: Header=BB215_48 Depth=1
	s_or_b64 exec, exec, s[44:45]
	s_and_saveexec_b64 s[44:45], s[2:3]
	s_cbranch_execz .LBB215_50
.LBB215_66:                             ;   in Loop: Header=BB215_48 Depth=1
	v_mov_b32_e32 v11, s43
	ds_read_b32 v11, v11
	s_waitcnt lgkmcnt(0)
	v_add_u32_e32 v10, v11, v10
	s_or_b64 exec, exec, s[44:45]
	s_and_saveexec_b64 s[44:45], s[4:5]
	s_cbranch_execnz .LBB215_51
.LBB215_67:                             ;   in Loop: Header=BB215_48 Depth=1
	s_or_b64 exec, exec, s[44:45]
	s_and_saveexec_b64 s[44:45], s[6:7]
	s_cbranch_execz .LBB215_52
.LBB215_68:                             ;   in Loop: Header=BB215_48 Depth=1
	v_mov_b32_e32 v11, s47
	ds_read_b32 v11, v11
	s_waitcnt lgkmcnt(0)
	v_add_u32_e32 v10, v11, v10
	s_or_b64 exec, exec, s[44:45]
	s_and_saveexec_b64 s[44:45], s[8:9]
	s_cbranch_execnz .LBB215_53
.LBB215_69:                             ;   in Loop: Header=BB215_48 Depth=1
	s_or_b64 exec, exec, s[44:45]
	s_and_saveexec_b64 s[44:45], s[10:11]
	s_cbranch_execz .LBB215_54
.LBB215_70:                             ;   in Loop: Header=BB215_48 Depth=1
	v_mov_b32_e32 v11, s49
	ds_read_b32 v11, v11
	s_waitcnt lgkmcnt(0)
	v_add_u32_e32 v10, v11, v10
	s_or_b64 exec, exec, s[44:45]
	s_and_saveexec_b64 s[44:45], s[12:13]
	s_cbranch_execnz .LBB215_55
.LBB215_71:                             ;   in Loop: Header=BB215_48 Depth=1
	s_or_b64 exec, exec, s[44:45]
	s_and_saveexec_b64 s[44:45], s[14:15]
	s_cbranch_execz .LBB215_56
.LBB215_72:                             ;   in Loop: Header=BB215_48 Depth=1
	v_mov_b32_e32 v11, s51
	ds_read_b32 v11, v11
	s_waitcnt lgkmcnt(0)
	v_add_u32_e32 v10, v11, v10
	s_or_b64 exec, exec, s[44:45]
	s_and_saveexec_b64 s[44:45], s[16:17]
	s_cbranch_execnz .LBB215_57
.LBB215_73:                             ;   in Loop: Header=BB215_48 Depth=1
	s_or_b64 exec, exec, s[44:45]
	s_and_saveexec_b64 s[44:45], s[18:19]
	s_cbranch_execz .LBB215_58
.LBB215_74:                             ;   in Loop: Header=BB215_48 Depth=1
	v_mov_b32_e32 v11, s53
	ds_read_b32 v11, v11
	s_waitcnt lgkmcnt(0)
	v_add_u32_e32 v10, v11, v10
	s_or_b64 exec, exec, s[44:45]
	s_and_saveexec_b64 s[44:45], s[20:21]
	s_cbranch_execnz .LBB215_59
.LBB215_75:                             ;   in Loop: Header=BB215_48 Depth=1
	s_or_b64 exec, exec, s[44:45]
	s_and_saveexec_b64 s[44:45], s[22:23]
	s_cbranch_execz .LBB215_60
.LBB215_76:                             ;   in Loop: Header=BB215_48 Depth=1
	v_mov_b32_e32 v11, s55
	ds_read_b32 v11, v11
	s_waitcnt lgkmcnt(0)
	v_add_u32_e32 v10, v11, v10
	s_or_b64 exec, exec, s[44:45]
	s_and_saveexec_b64 s[44:45], s[24:25]
	s_cbranch_execnz .LBB215_61
.LBB215_77:                             ;   in Loop: Header=BB215_48 Depth=1
	s_or_b64 exec, exec, s[44:45]
	s_and_saveexec_b64 s[44:45], s[26:27]
	s_cbranch_execz .LBB215_62
.LBB215_78:                             ;   in Loop: Header=BB215_48 Depth=1
	v_mov_b32_e32 v11, s57
	ds_read_b32 v11, v11
	s_waitcnt lgkmcnt(0)
	v_add_u32_e32 v10, v11, v10
	s_or_b64 exec, exec, s[44:45]
	s_and_saveexec_b64 s[44:45], s[28:29]
	s_cbranch_execnz .LBB215_63
.LBB215_79:                             ;   in Loop: Header=BB215_48 Depth=1
	s_or_b64 exec, exec, s[44:45]
	s_and_saveexec_b64 s[44:45], s[30:31]
	s_cbranch_execz .LBB215_64
.LBB215_80:                             ;   in Loop: Header=BB215_48 Depth=1
	v_add3_u32 v11, v7, -1, v10
	v_add_u32_e32 v14, v7, v10
	v_lshl_add_u32 v11, v11, 2, 0
	v_lshl_add_u32 v14, v14, 3, 0
	v_add_u32_e32 v14, 0xfff8, v14
	ds_write_b32 v11, v9
	ds_write2_b32 v14, v4, v5 offset1:1
	s_or_b64 exec, exec, s[44:45]
	s_and_saveexec_b64 s[30:31], vcc
	s_cbranch_execz .LBB215_47
.LBB215_81:                             ;   in Loop: Header=BB215_48 Depth=1
	v_mov_b32_e32 v4, s59
	ds_write_b32 v4, v10
	s_branch .LBB215_47
.LBB215_82:
	s_or_b64 exec, exec, s[36:37]
	s_ashr_i32 s43, s42, 31
	s_lshl_b64 s[0:1], s[42:43], 3
	s_add_u32 s4, s40, s0
	s_addc_u32 s5, s41, s1
	s_load_dwordx4 s[0:3], s[4:5], 0x0
	s_waitcnt lgkmcnt(0)
	s_sub_i32 s8, s2, s0
	v_cmp_gt_i32_e32 vcc, s8, v0
	s_and_saveexec_b64 s[4:5], vcc
	s_cbranch_execz .LBB215_92
; %bb.83:
	s_sub_u32 s4, s0, s38
	s_subb_u32 s5, s1, 0
	s_and_b32 s10, s8, 7
	s_sub_i32 s0, s0, s2
	s_cmp_lt_u32 s0, -7
	s_cselect_b64 s[0:1], -1, 0
	s_and_b32 s11, s8, -8
	s_cmp_lg_u32 s10, 0
	v_cndmask_b32_e64 v1, 0, 1, s[0:1]
	s_cselect_b64 s[2:3], -1, 0
	v_cmp_ne_u32_e64 s[0:1], 1, v1
	v_cndmask_b32_e64 v1, 0, 1, s[2:3]
	s_mov_b32 s9, 0
	s_mov_b64 s[6:7], 0
	v_cmp_ne_u32_e64 s[2:3], 1, v1
	s_branch .LBB215_85
.LBB215_84:                             ;   in Loop: Header=BB215_85 Depth=1
	v_add_u32_e32 v0, 0x400, v0
	v_cmp_le_i32_e32 vcc, s8, v0
	v_lshl_add_u64 v[4:5], v[4:5], 3, s[34:35]
	s_or_b64 s[6:7], vcc, s[6:7]
	s_waitcnt lgkmcnt(0)
	global_store_dwordx2 v[4:5], v[2:3], off
	s_andn2_b64 exec, exec, s[6:7]
	s_cbranch_execz .LBB215_92
.LBB215_85:                             ; =>This Loop Header: Depth=1
                                        ;     Child Loop BB215_87 Depth 2
                                        ;     Child Loop BB215_91 Depth 2
	v_lshl_add_u32 v2, v0, 3, 0
	v_lshl_add_u32 v1, v0, 2, 0
	v_add_u32_e32 v2, 0x10000, v2
	ds_read_b32 v1, v1
	ds_read2_b32 v[2:3], v2 offset1:1
	s_and_b64 vcc, exec, s[0:1]
	v_mov_b64_e32 v[4:5], s[4:5]
	s_mov_b32 s12, 0
	s_cbranch_vccnz .LBB215_89
; %bb.86:                               ;   in Loop: Header=BB215_85 Depth=1
	s_mov_b32 s13, 0
	v_mov_b64_e32 v[4:5], s[4:5]
.LBB215_87:                             ;   Parent Loop BB215_85 Depth=1
                                        ; =>  This Inner Loop Header: Depth=2
	v_mov_b32_e32 v6, s13
	ds_read2_b32 v[22:23], v6 offset1:1
	ds_read2_b32 v[24:25], v6 offset0:2 offset1:3
	ds_read2_b32 v[26:27], v6 offset0:4 offset1:5
	;; [unrolled: 1-line block ×3, first 2 shown]
	v_mov_b32_e32 v7, s9
	s_waitcnt lgkmcnt(3)
	v_cmp_gt_i32_e32 vcc, v1, v22
	v_mov_b32_e32 v9, s9
	v_mov_b32_e32 v11, s9
	v_cndmask_b32_e64 v6, 0, 1, vcc
	v_cmp_gt_i32_e32 vcc, v1, v23
	v_lshl_add_u64 v[4:5], v[4:5], 0, v[6:7]
	v_mov_b32_e32 v13, s9
	v_cndmask_b32_e64 v8, 0, 1, vcc
	s_waitcnt lgkmcnt(2)
	v_cmp_gt_i32_e32 vcc, v1, v24
	v_lshl_add_u64 v[4:5], v[4:5], 0, v[8:9]
	v_mov_b32_e32 v15, s9
	v_cndmask_b32_e64 v10, 0, 1, vcc
	v_cmp_gt_i32_e32 vcc, v1, v25
	v_lshl_add_u64 v[4:5], v[4:5], 0, v[10:11]
	v_mov_b32_e32 v17, s9
	v_cndmask_b32_e64 v12, 0, 1, vcc
	s_waitcnt lgkmcnt(1)
	v_cmp_gt_i32_e32 vcc, v1, v26
	v_lshl_add_u64 v[4:5], v[4:5], 0, v[12:13]
	;; [unrolled: 9-line block ×3, first 2 shown]
	s_add_i32 s12, s12, 8
	v_cndmask_b32_e64 v18, 0, 1, vcc
	v_cmp_gt_i32_e32 vcc, v1, v29
	s_add_i32 s13, s13, 32
	v_lshl_add_u64 v[4:5], v[4:5], 0, v[18:19]
	v_cndmask_b32_e64 v20, 0, 1, vcc
	s_cmp_eq_u32 s11, s12
	v_lshl_add_u64 v[4:5], v[4:5], 0, v[20:21]
	s_cbranch_scc0 .LBB215_87
; %bb.88:                               ;   in Loop: Header=BB215_85 Depth=1
	s_mov_b32 s12, s11
.LBB215_89:                             ;   in Loop: Header=BB215_85 Depth=1
	s_and_b64 vcc, exec, s[2:3]
	s_cbranch_vccnz .LBB215_84
; %bb.90:                               ;   in Loop: Header=BB215_85 Depth=1
	s_lshl_b32 s12, s12, 2
	s_add_i32 s12, s12, 0
	s_mov_b32 s13, s10
.LBB215_91:                             ;   Parent Loop BB215_85 Depth=1
                                        ; =>  This Inner Loop Header: Depth=2
	v_mov_b32_e32 v6, s12
	ds_read_b32 v6, v6
	v_mov_b32_e32 v7, s9
	s_add_i32 s12, s12, 4
	s_add_i32 s13, s13, -1
	s_cmp_lg_u32 s13, 0
	s_waitcnt lgkmcnt(0)
	v_cmp_gt_i32_e32 vcc, v1, v6
	s_nop 1
	v_cndmask_b32_e64 v6, 0, 1, vcc
	v_lshl_add_u64 v[4:5], v[4:5], 0, v[6:7]
	s_cbranch_scc1 .LBB215_91
	s_branch .LBB215_84
.LBB215_92:
	s_endpgm
	.section	.rodata,"a",@progbits
	.p2align	6, 0x0
	.amdhsa_kernel _ZN9rocsparseL41csrgemm_numeric_fill_block_per_row_kernelILj1024ELj64ELj16384ELj137ELj64Eli21rocsparse_complex_numIfEEEvT5_PKS3_S5_NS_24const_host_device_scalarIT6_EEPKT4_S5_PKS7_SB_S5_SD_S8_SB_S5_SD_SB_S5_PS7_21rocsparse_index_base_SF_SF_SF_bbb
		.amdhsa_group_segment_fixed_size 0
		.amdhsa_private_segment_fixed_size 0
		.amdhsa_kernarg_size 156
		.amdhsa_user_sgpr_count 2
		.amdhsa_user_sgpr_dispatch_ptr 0
		.amdhsa_user_sgpr_queue_ptr 0
		.amdhsa_user_sgpr_kernarg_segment_ptr 1
		.amdhsa_user_sgpr_dispatch_id 0
		.amdhsa_user_sgpr_kernarg_preload_length 0
		.amdhsa_user_sgpr_kernarg_preload_offset 0
		.amdhsa_user_sgpr_private_segment_size 0
		.amdhsa_uses_dynamic_stack 0
		.amdhsa_enable_private_segment 0
		.amdhsa_system_sgpr_workgroup_id_x 1
		.amdhsa_system_sgpr_workgroup_id_y 0
		.amdhsa_system_sgpr_workgroup_id_z 0
		.amdhsa_system_sgpr_workgroup_info 0
		.amdhsa_system_vgpr_workitem_id 0
		.amdhsa_next_free_vgpr 30
		.amdhsa_next_free_sgpr 61
		.amdhsa_accum_offset 32
		.amdhsa_reserve_vcc 1
		.amdhsa_float_round_mode_32 0
		.amdhsa_float_round_mode_16_64 0
		.amdhsa_float_denorm_mode_32 3
		.amdhsa_float_denorm_mode_16_64 3
		.amdhsa_dx10_clamp 1
		.amdhsa_ieee_mode 1
		.amdhsa_fp16_overflow 0
		.amdhsa_tg_split 0
		.amdhsa_exception_fp_ieee_invalid_op 0
		.amdhsa_exception_fp_denorm_src 0
		.amdhsa_exception_fp_ieee_div_zero 0
		.amdhsa_exception_fp_ieee_overflow 0
		.amdhsa_exception_fp_ieee_underflow 0
		.amdhsa_exception_fp_ieee_inexact 0
		.amdhsa_exception_int_div_zero 0
	.end_amdhsa_kernel
	.section	.text._ZN9rocsparseL41csrgemm_numeric_fill_block_per_row_kernelILj1024ELj64ELj16384ELj137ELj64Eli21rocsparse_complex_numIfEEEvT5_PKS3_S5_NS_24const_host_device_scalarIT6_EEPKT4_S5_PKS7_SB_S5_SD_S8_SB_S5_SD_SB_S5_PS7_21rocsparse_index_base_SF_SF_SF_bbb,"axG",@progbits,_ZN9rocsparseL41csrgemm_numeric_fill_block_per_row_kernelILj1024ELj64ELj16384ELj137ELj64Eli21rocsparse_complex_numIfEEEvT5_PKS3_S5_NS_24const_host_device_scalarIT6_EEPKT4_S5_PKS7_SB_S5_SD_S8_SB_S5_SD_SB_S5_PS7_21rocsparse_index_base_SF_SF_SF_bbb,comdat
.Lfunc_end215:
	.size	_ZN9rocsparseL41csrgemm_numeric_fill_block_per_row_kernelILj1024ELj64ELj16384ELj137ELj64Eli21rocsparse_complex_numIfEEEvT5_PKS3_S5_NS_24const_host_device_scalarIT6_EEPKT4_S5_PKS7_SB_S5_SD_S8_SB_S5_SD_SB_S5_PS7_21rocsparse_index_base_SF_SF_SF_bbb, .Lfunc_end215-_ZN9rocsparseL41csrgemm_numeric_fill_block_per_row_kernelILj1024ELj64ELj16384ELj137ELj64Eli21rocsparse_complex_numIfEEEvT5_PKS3_S5_NS_24const_host_device_scalarIT6_EEPKT4_S5_PKS7_SB_S5_SD_S8_SB_S5_SD_SB_S5_PS7_21rocsparse_index_base_SF_SF_SF_bbb
                                        ; -- End function
	.set _ZN9rocsparseL41csrgemm_numeric_fill_block_per_row_kernelILj1024ELj64ELj16384ELj137ELj64Eli21rocsparse_complex_numIfEEEvT5_PKS3_S5_NS_24const_host_device_scalarIT6_EEPKT4_S5_PKS7_SB_S5_SD_S8_SB_S5_SD_SB_S5_PS7_21rocsparse_index_base_SF_SF_SF_bbb.num_vgpr, 30
	.set _ZN9rocsparseL41csrgemm_numeric_fill_block_per_row_kernelILj1024ELj64ELj16384ELj137ELj64Eli21rocsparse_complex_numIfEEEvT5_PKS3_S5_NS_24const_host_device_scalarIT6_EEPKT4_S5_PKS7_SB_S5_SD_S8_SB_S5_SD_SB_S5_PS7_21rocsparse_index_base_SF_SF_SF_bbb.num_agpr, 0
	.set _ZN9rocsparseL41csrgemm_numeric_fill_block_per_row_kernelILj1024ELj64ELj16384ELj137ELj64Eli21rocsparse_complex_numIfEEEvT5_PKS3_S5_NS_24const_host_device_scalarIT6_EEPKT4_S5_PKS7_SB_S5_SD_S8_SB_S5_SD_SB_S5_PS7_21rocsparse_index_base_SF_SF_SF_bbb.numbered_sgpr, 61
	.set _ZN9rocsparseL41csrgemm_numeric_fill_block_per_row_kernelILj1024ELj64ELj16384ELj137ELj64Eli21rocsparse_complex_numIfEEEvT5_PKS3_S5_NS_24const_host_device_scalarIT6_EEPKT4_S5_PKS7_SB_S5_SD_S8_SB_S5_SD_SB_S5_PS7_21rocsparse_index_base_SF_SF_SF_bbb.num_named_barrier, 0
	.set _ZN9rocsparseL41csrgemm_numeric_fill_block_per_row_kernelILj1024ELj64ELj16384ELj137ELj64Eli21rocsparse_complex_numIfEEEvT5_PKS3_S5_NS_24const_host_device_scalarIT6_EEPKT4_S5_PKS7_SB_S5_SD_S8_SB_S5_SD_SB_S5_PS7_21rocsparse_index_base_SF_SF_SF_bbb.private_seg_size, 0
	.set _ZN9rocsparseL41csrgemm_numeric_fill_block_per_row_kernelILj1024ELj64ELj16384ELj137ELj64Eli21rocsparse_complex_numIfEEEvT5_PKS3_S5_NS_24const_host_device_scalarIT6_EEPKT4_S5_PKS7_SB_S5_SD_S8_SB_S5_SD_SB_S5_PS7_21rocsparse_index_base_SF_SF_SF_bbb.uses_vcc, 1
	.set _ZN9rocsparseL41csrgemm_numeric_fill_block_per_row_kernelILj1024ELj64ELj16384ELj137ELj64Eli21rocsparse_complex_numIfEEEvT5_PKS3_S5_NS_24const_host_device_scalarIT6_EEPKT4_S5_PKS7_SB_S5_SD_S8_SB_S5_SD_SB_S5_PS7_21rocsparse_index_base_SF_SF_SF_bbb.uses_flat_scratch, 0
	.set _ZN9rocsparseL41csrgemm_numeric_fill_block_per_row_kernelILj1024ELj64ELj16384ELj137ELj64Eli21rocsparse_complex_numIfEEEvT5_PKS3_S5_NS_24const_host_device_scalarIT6_EEPKT4_S5_PKS7_SB_S5_SD_S8_SB_S5_SD_SB_S5_PS7_21rocsparse_index_base_SF_SF_SF_bbb.has_dyn_sized_stack, 0
	.set _ZN9rocsparseL41csrgemm_numeric_fill_block_per_row_kernelILj1024ELj64ELj16384ELj137ELj64Eli21rocsparse_complex_numIfEEEvT5_PKS3_S5_NS_24const_host_device_scalarIT6_EEPKT4_S5_PKS7_SB_S5_SD_S8_SB_S5_SD_SB_S5_PS7_21rocsparse_index_base_SF_SF_SF_bbb.has_recursion, 0
	.set _ZN9rocsparseL41csrgemm_numeric_fill_block_per_row_kernelILj1024ELj64ELj16384ELj137ELj64Eli21rocsparse_complex_numIfEEEvT5_PKS3_S5_NS_24const_host_device_scalarIT6_EEPKT4_S5_PKS7_SB_S5_SD_S8_SB_S5_SD_SB_S5_PS7_21rocsparse_index_base_SF_SF_SF_bbb.has_indirect_call, 0
	.section	.AMDGPU.csdata,"",@progbits
; Kernel info:
; codeLenInByte = 3380
; TotalNumSgprs: 67
; NumVgprs: 30
; NumAgprs: 0
; TotalNumVgprs: 30
; ScratchSize: 0
; MemoryBound: 0
; FloatMode: 240
; IeeeMode: 1
; LDSByteSize: 0 bytes/workgroup (compile time only)
; SGPRBlocks: 8
; VGPRBlocks: 3
; NumSGPRsForWavesPerEU: 67
; NumVGPRsForWavesPerEU: 30
; AccumOffset: 32
; Occupancy: 8
; WaveLimiterHint : 1
; COMPUTE_PGM_RSRC2:SCRATCH_EN: 0
; COMPUTE_PGM_RSRC2:USER_SGPR: 2
; COMPUTE_PGM_RSRC2:TRAP_HANDLER: 0
; COMPUTE_PGM_RSRC2:TGID_X_EN: 1
; COMPUTE_PGM_RSRC2:TGID_Y_EN: 0
; COMPUTE_PGM_RSRC2:TGID_Z_EN: 0
; COMPUTE_PGM_RSRC2:TIDIG_COMP_CNT: 0
; COMPUTE_PGM_RSRC3_GFX90A:ACCUM_OFFSET: 7
; COMPUTE_PGM_RSRC3_GFX90A:TG_SPLIT: 0
	.section	.text._ZN9rocsparseL41csrgemm_numeric_fill_block_per_row_kernelILj1024ELj64ELj32768ELj137ELj32Eli21rocsparse_complex_numIfEEEvT5_PKS3_S5_NS_24const_host_device_scalarIT6_EEPKT4_S5_PKS7_SB_S5_SD_S8_SB_S5_SD_SB_S5_PS7_21rocsparse_index_base_SF_SF_SF_bbb,"axG",@progbits,_ZN9rocsparseL41csrgemm_numeric_fill_block_per_row_kernelILj1024ELj64ELj32768ELj137ELj32Eli21rocsparse_complex_numIfEEEvT5_PKS3_S5_NS_24const_host_device_scalarIT6_EEPKT4_S5_PKS7_SB_S5_SD_S8_SB_S5_SD_SB_S5_PS7_21rocsparse_index_base_SF_SF_SF_bbb,comdat
	.globl	_ZN9rocsparseL41csrgemm_numeric_fill_block_per_row_kernelILj1024ELj64ELj32768ELj137ELj32Eli21rocsparse_complex_numIfEEEvT5_PKS3_S5_NS_24const_host_device_scalarIT6_EEPKT4_S5_PKS7_SB_S5_SD_S8_SB_S5_SD_SB_S5_PS7_21rocsparse_index_base_SF_SF_SF_bbb ; -- Begin function _ZN9rocsparseL41csrgemm_numeric_fill_block_per_row_kernelILj1024ELj64ELj32768ELj137ELj32Eli21rocsparse_complex_numIfEEEvT5_PKS3_S5_NS_24const_host_device_scalarIT6_EEPKT4_S5_PKS7_SB_S5_SD_S8_SB_S5_SD_SB_S5_PS7_21rocsparse_index_base_SF_SF_SF_bbb
	.p2align	8
	.type	_ZN9rocsparseL41csrgemm_numeric_fill_block_per_row_kernelILj1024ELj64ELj32768ELj137ELj32Eli21rocsparse_complex_numIfEEEvT5_PKS3_S5_NS_24const_host_device_scalarIT6_EEPKT4_S5_PKS7_SB_S5_SD_S8_SB_S5_SD_SB_S5_PS7_21rocsparse_index_base_SF_SF_SF_bbb,@function
_ZN9rocsparseL41csrgemm_numeric_fill_block_per_row_kernelILj1024ELj64ELj32768ELj137ELj32Eli21rocsparse_complex_numIfEEEvT5_PKS3_S5_NS_24const_host_device_scalarIT6_EEPKT4_S5_PKS7_SB_S5_SD_S8_SB_S5_SD_SB_S5_PS7_21rocsparse_index_base_SF_SF_SF_bbb: ; @_ZN9rocsparseL41csrgemm_numeric_fill_block_per_row_kernelILj1024ELj64ELj32768ELj137ELj32Eli21rocsparse_complex_numIfEEEvT5_PKS3_S5_NS_24const_host_device_scalarIT6_EEPKT4_S5_PKS7_SB_S5_SD_S8_SB_S5_SD_SB_S5_PS7_21rocsparse_index_base_SF_SF_SF_bbb
; %bb.0:
	s_load_dwordx2 s[4:5], s[0:1], 0x70
	s_load_dwordx4 s[64:67], s[0:1], 0x88
                                        ; implicit-def: $vgpr30 : SGPR spill to VGPR lane
	s_mov_b32 s7, 0
	s_mov_b32 s44, 0
	s_waitcnt lgkmcnt(0)
	v_writelane_b32 v30, s4, 0
	s_nop 1
	v_writelane_b32 v30, s5, 1
	s_load_dwordx4 s[24:27], s[0:1], 0x60
	s_load_dwordx8 s[8:15], s[0:1], 0x40
	s_load_dword s3, s[0:1], 0x98
	s_load_dwordx4 s[28:31], s[0:1], 0x8
	s_load_dwordx8 s[16:23], s[0:1], 0x20
	s_load_dwordx2 s[4:5], s[0:1], 0x80
	s_waitcnt lgkmcnt(0)
	s_bitcmp1_b32 s3, 0
	s_cselect_b64 s[36:37], -1, 0
	s_bitcmp1_b32 s3, 16
	v_writelane_b32 v30, s4, 2
	s_nop 1
	v_writelane_b32 v30, s5, 3
	s_cselect_b64 s[4:5], -1, 0
	s_xor_b64 s[4:5], s[4:5], -1
	v_cndmask_b32_e64 v1, 0, 1, s[4:5]
	s_bitcmp0_b32 s3, 0
	v_cmp_ne_u32_e64 s[4:5], 1, v1
	s_cbranch_scc1 .LBB216_5
; %bb.1:
	s_load_dwordx2 s[6:7], s[0:1], 0x18
	s_and_b64 vcc, exec, s[4:5]
	s_waitcnt lgkmcnt(0)
	s_mov_b32 s44, s6
	s_cbranch_vccnz .LBB216_3
; %bb.2:
	s_load_dword s44, s[6:7], 0x0
.LBB216_3:
	s_and_b64 vcc, exec, s[4:5]
	s_cbranch_vccnz .LBB216_5
; %bb.4:
	s_load_dword s7, s[6:7], 0x4
.LBB216_5:
	s_bitcmp1_b32 s3, 8
	s_cselect_b64 s[34:35], -1, 0
	s_bfe_u32 s3, s3, 0x10008
	s_mov_b32 s42, 0
	s_cmp_eq_u32 s3, 0
	s_mov_b32 s43, 0
	s_cbranch_scc1 .LBB216_11
; %bb.6:
	s_and_b64 vcc, exec, s[4:5]
	s_mov_b32 s42, s12
	s_cbranch_vccnz .LBB216_8
; %bb.7:
	s_load_dword s42, s[12:13], 0x0
.LBB216_8:
	s_and_b64 vcc, exec, s[4:5]
	s_cbranch_vccnz .LBB216_10
; %bb.9:
	s_load_dword s13, s[12:13], 0x4
.LBB216_10:
	s_waitcnt lgkmcnt(0)
	s_mov_b32 s43, s13
.LBB216_11:
	s_load_dword s33, s[0:1], 0x0
	v_lshl_add_u32 v2, v0, 3, 0
	v_or_b32_e32 v1, 0xfffffc00, v0
	v_add_u32_e32 v12, 0x20000, v2
	v_lshl_add_u32 v13, v0, 2, 0
	s_mov_b64 s[0:1], 0
	s_waitcnt lgkmcnt(0)
	v_mov_b32_e32 v6, s33
	v_mov_b32_e32 v2, 0
	s_movk_i32 s3, 0x7bff
	v_mov_b32_e32 v3, v13
	v_mov_b32_e32 v4, v12
	;; [unrolled: 1-line block ×3, first 2 shown]
.LBB216_12:                             ; =>This Inner Loop Header: Depth=1
	v_add_u32_e32 v5, 0x400, v5
	v_cmp_lt_u32_e32 vcc, s3, v5
	ds_write_b32 v3, v6
	ds_write2_b32 v4, v2, v2 offset1:1
	v_add_u32_e32 v4, 0x2000, v4
	s_or_b64 s[0:1], vcc, s[0:1]
	v_add_u32_e32 v3, 0x1000, v3
	s_andn2_b64 exec, exec, s[0:1]
	s_cbranch_execnz .LBB216_12
; %bb.13:
	s_or_b64 exec, exec, s[0:1]
	s_waitcnt lgkmcnt(0)
	s_barrier
	s_load_dword s0, s[28:29], 0x0
	s_mov_b32 s1, 0
	s_waitcnt lgkmcnt(0)
	s_add_i32 s0, s0, s2
	s_lshl_b64 s[0:1], s[0:1], 2
	s_add_u32 s0, s30, s0
	s_addc_u32 s1, s31, s1
	s_load_dword s46, s[0:1], 0x0
	s_and_b64 vcc, exec, s[36:37]
	s_cbranch_vccz .LBB216_31
; %bb.14:
	s_waitcnt lgkmcnt(0)
	s_ashr_i32 s47, s46, 31
	s_lshl_b64 s[0:1], s[46:47], 3
	s_add_u32 s0, s16, s0
	s_addc_u32 s1, s17, s1
	s_load_dwordx4 s[28:31], s[0:1], 0x0
	v_lshrrev_b32_e32 v2, 6, v0
	v_subrev_co_u32_e32 v2, vcc, s64, v2
	s_waitcnt lgkmcnt(0)
	s_sub_u32 s0, s30, s64
	v_subb_co_u32_e64 v3, s[2:3], 0, 0, vcc
	s_subb_u32 s1, s31, 0
	v_lshl_add_u64 v[2:3], s[28:29], 0, v[2:3]
	v_cmp_gt_i64_e32 vcc, s[0:1], v[2:3]
	s_and_saveexec_b64 s[2:3], vcc
	s_cbranch_execz .LBB216_30
; %bb.15:
	v_and_b32_e32 v4, 63, v0
	v_subrev_co_u32_e32 v4, vcc, s65, v4
	s_mov_b32 s6, s65
	s_nop 0
	v_subb_co_u32_e64 v5, s[4:5], 0, 0, vcc
	s_mov_b64 s[4:5], 0
	s_movk_i32 s45, 0x89
	s_branch .LBB216_17
.LBB216_16:                             ;   in Loop: Header=BB216_17 Depth=1
	s_or_b64 exec, exec, s[12:13]
	v_lshl_add_u64 v[2:3], v[2:3], 0, 16
	v_cmp_le_i64_e32 vcc, s[0:1], v[2:3]
	s_or_b64 s[4:5], vcc, s[4:5]
	s_andn2_b64 exec, exec, s[4:5]
	s_cbranch_execz .LBB216_30
.LBB216_17:                             ; =>This Loop Header: Depth=1
                                        ;     Child Loop BB216_21 Depth 2
                                        ;       Child Loop BB216_24 Depth 3
	v_lshl_add_u64 v[6:7], v[2:3], 2, s[18:19]
	global_load_dword v6, v[6:7], off
	s_waitcnt vmcnt(0)
	v_subrev_u32_e32 v6, s64, v6
	v_ashrrev_i32_e32 v7, 31, v6
	v_lshl_add_u64 v[6:7], v[6:7], 3, s[22:23]
	global_load_dwordx4 v[8:11], v[6:7], off
	s_waitcnt vmcnt(0)
	v_subrev_co_u32_e32 v6, vcc, s6, v10
	s_nop 1
	v_subbrev_co_u32_e32 v7, vcc, 0, v11, vcc
	v_lshl_add_u64 v[8:9], v[8:9], 0, v[4:5]
	v_cmp_lt_i64_e32 vcc, v[8:9], v[6:7]
	s_and_saveexec_b64 s[12:13], vcc
	s_cbranch_execz .LBB216_16
; %bb.18:                               ;   in Loop: Header=BB216_17 Depth=1
	v_lshl_add_u64 v[10:11], v[2:3], 3, s[20:21]
	global_load_dwordx2 v[10:11], v[10:11], off
	s_mov_b64 s[16:17], 0
	s_waitcnt vmcnt(0)
	v_mul_f32_e64 v14, v11, -s7
	v_mul_f32_e32 v15, s44, v11
	v_fmac_f32_e32 v14, s44, v10
	v_fmac_f32_e32 v15, s7, v10
	s_branch .LBB216_21
.LBB216_19:                             ;   in Loop: Header=BB216_21 Depth=2
	s_or_b64 exec, exec, s[30:31]
.LBB216_20:                             ;   in Loop: Header=BB216_21 Depth=2
	s_or_b64 exec, exec, s[28:29]
	s_waitcnt vmcnt(0)
	v_mul_f32_e64 v17, v11, -v15
	v_mul_f32_e32 v11, v14, v11
	v_fmac_f32_e32 v17, v14, v10
	v_fmac_f32_e32 v11, v15, v10
	v_lshl_add_u32 v10, v16, 3, 0
	v_add_u32_e32 v10, 0x20000, v10
	ds_add_f32 v10, v17
	ds_add_f32 v10, v11 offset:4
	v_lshl_add_u64 v[8:9], v[8:9], 0, 64
	v_cmp_ge_i64_e32 vcc, v[8:9], v[6:7]
	s_or_b64 s[16:17], vcc, s[16:17]
	s_andn2_b64 exec, exec, s[16:17]
	s_cbranch_execz .LBB216_16
.LBB216_21:                             ;   Parent Loop BB216_17 Depth=1
                                        ; =>  This Loop Header: Depth=2
                                        ;       Child Loop BB216_24 Depth 3
	v_lshl_add_u64 v[10:11], v[8:9], 2, s[8:9]
	global_load_dword v16, v[10:11], off
	v_lshl_add_u64 v[10:11], v[8:9], 3, s[10:11]
	global_load_dwordx2 v[10:11], v[10:11], off
	s_waitcnt vmcnt(1)
	v_subrev_u32_e32 v17, s65, v16
	v_mul_lo_u32 v16, v17, s45
	v_and_b32_e32 v16, 0x7fff, v16
	v_lshl_add_u32 v18, v16, 2, 0
	ds_read_b32 v19, v18
	s_waitcnt lgkmcnt(0)
	v_cmp_ne_u32_e32 vcc, v19, v17
	s_and_saveexec_b64 s[28:29], vcc
	s_cbranch_execz .LBB216_20
; %bb.22:                               ;   in Loop: Header=BB216_21 Depth=2
	s_mov_b64 s[30:31], 0
	s_branch .LBB216_24
.LBB216_23:                             ;   in Loop: Header=BB216_24 Depth=3
	s_or_b64 exec, exec, s[40:41]
	s_and_b64 s[36:37], exec, s[38:39]
	s_or_b64 s[30:31], s[36:37], s[30:31]
	s_andn2_b64 exec, exec, s[30:31]
	s_cbranch_execz .LBB216_19
.LBB216_24:                             ;   Parent Loop BB216_17 Depth=1
                                        ;     Parent Loop BB216_21 Depth=2
                                        ; =>    This Inner Loop Header: Depth=3
	v_cmp_ne_u32_e32 vcc, s33, v19
	s_mov_b64 s[36:37], 0
	s_and_saveexec_b64 s[38:39], vcc
	s_xor_b64 s[38:39], exec, s[38:39]
	s_cbranch_execz .LBB216_26
; %bb.25:                               ;   in Loop: Header=BB216_24 Depth=3
	v_add_u32_e32 v16, 1, v16
	s_mov_b64 s[36:37], exec
	v_and_b32_e32 v16, 0x7fff, v16
                                        ; implicit-def: $vgpr18
	s_andn2_saveexec_b64 s[38:39], s[38:39]
	s_cbranch_execz .LBB216_28
	s_branch .LBB216_27
.LBB216_26:                             ;   in Loop: Header=BB216_24 Depth=3
	s_andn2_saveexec_b64 s[38:39], s[38:39]
	s_cbranch_execz .LBB216_28
.LBB216_27:                             ;   in Loop: Header=BB216_24 Depth=3
	v_mov_b32_e32 v19, s33
	ds_cmpst_rtn_b32 v18, v18, v19, v17
	s_andn2_b64 s[36:37], s[36:37], exec
	s_waitcnt lgkmcnt(0)
	v_cmp_ne_u32_e32 vcc, s33, v18
	s_and_b64 s[40:41], vcc, exec
	s_or_b64 s[36:37], s[36:37], s[40:41]
.LBB216_28:                             ;   in Loop: Header=BB216_24 Depth=3
	s_or_b64 exec, exec, s[38:39]
	s_mov_b64 s[38:39], -1
                                        ; implicit-def: $vgpr18
                                        ; implicit-def: $vgpr19
	s_and_saveexec_b64 s[40:41], s[36:37]
	s_cbranch_execz .LBB216_23
; %bb.29:                               ;   in Loop: Header=BB216_24 Depth=3
	v_lshl_add_u32 v18, v16, 2, 0
	ds_read_b32 v19, v18
	s_waitcnt lgkmcnt(0)
	v_cmp_eq_u32_e32 vcc, v19, v17
	s_orn2_b64 s[38:39], vcc, exec
	s_branch .LBB216_23
.LBB216_30:
	s_or_b64 exec, exec, s[2:3]
.LBB216_31:
	s_andn2_b64 vcc, exec, s[34:35]
	s_cbranch_vccnz .LBB216_46
; %bb.32:
	s_waitcnt lgkmcnt(0)
	s_ashr_i32 s47, s46, 31
	s_lshl_b64 s[0:1], s[46:47], 3
	s_add_u32 s0, s14, s0
	s_addc_u32 s1, s15, s1
	s_load_dwordx4 s[4:7], s[0:1], 0x0
	v_subrev_co_u32_e32 v2, vcc, s67, v0
	s_nop 1
	v_subb_co_u32_e64 v3, s[0:1], 0, 0, vcc
	s_waitcnt lgkmcnt(0)
	s_sub_u32 s0, s6, s67
	s_subb_u32 s1, s7, 0
	v_lshl_add_u64 v[2:3], s[4:5], 0, v[2:3]
	v_cmp_gt_i64_e32 vcc, s[0:1], v[2:3]
	s_and_saveexec_b64 s[2:3], vcc
	s_cbranch_execz .LBB216_45
; %bb.33:
	s_mov_b64 s[4:5], 0
	s_movk_i32 s18, 0x89
	s_mov_b64 s[6:7], 0x400
	s_branch .LBB216_36
.LBB216_34:                             ;   in Loop: Header=BB216_36 Depth=1
	s_or_b64 exec, exec, s[10:11]
.LBB216_35:                             ;   in Loop: Header=BB216_36 Depth=1
	s_or_b64 exec, exec, s[8:9]
	s_waitcnt vmcnt(0)
	v_mul_f32_e64 v7, v5, -s43
	v_mul_f32_e32 v5, s42, v5
	v_fmac_f32_e32 v7, s42, v4
	v_fmac_f32_e32 v5, s43, v4
	v_lshl_add_u32 v4, v6, 3, 0
	v_add_u32_e32 v4, 0x20000, v4
	ds_add_f32 v4, v7
	ds_add_f32 v4, v5 offset:4
	v_lshl_add_u64 v[2:3], v[2:3], 0, s[6:7]
	v_cmp_le_i64_e32 vcc, s[0:1], v[2:3]
	s_or_b64 s[4:5], vcc, s[4:5]
	s_andn2_b64 exec, exec, s[4:5]
	s_cbranch_execz .LBB216_45
.LBB216_36:                             ; =>This Loop Header: Depth=1
                                        ;     Child Loop BB216_39 Depth 2
	v_lshl_add_u64 v[4:5], v[2:3], 2, s[24:25]
	global_load_dword v6, v[4:5], off
	v_lshl_add_u64 v[4:5], v[2:3], 3, s[26:27]
	global_load_dwordx2 v[4:5], v[4:5], off
	s_waitcnt vmcnt(1)
	v_subrev_u32_e32 v7, s67, v6
	v_mul_lo_u32 v6, v7, s18
	v_and_b32_e32 v6, 0x7fff, v6
	v_lshl_add_u32 v8, v6, 2, 0
	ds_read_b32 v9, v8
	s_waitcnt lgkmcnt(0)
	v_cmp_ne_u32_e32 vcc, v9, v7
	s_and_saveexec_b64 s[8:9], vcc
	s_cbranch_execz .LBB216_35
; %bb.37:                               ;   in Loop: Header=BB216_36 Depth=1
	s_mov_b64 s[10:11], 0
	s_branch .LBB216_39
.LBB216_38:                             ;   in Loop: Header=BB216_39 Depth=2
	s_or_b64 exec, exec, s[16:17]
	s_and_b64 s[12:13], exec, s[14:15]
	s_or_b64 s[10:11], s[12:13], s[10:11]
	s_andn2_b64 exec, exec, s[10:11]
	s_cbranch_execz .LBB216_34
.LBB216_39:                             ;   Parent Loop BB216_36 Depth=1
                                        ; =>  This Inner Loop Header: Depth=2
	v_cmp_ne_u32_e32 vcc, s33, v9
	s_mov_b64 s[12:13], 0
	s_and_saveexec_b64 s[14:15], vcc
	s_xor_b64 s[14:15], exec, s[14:15]
	s_cbranch_execz .LBB216_41
; %bb.40:                               ;   in Loop: Header=BB216_39 Depth=2
	v_add_u32_e32 v6, 1, v6
	s_mov_b64 s[12:13], exec
	v_and_b32_e32 v6, 0x7fff, v6
                                        ; implicit-def: $vgpr8
	s_andn2_saveexec_b64 s[14:15], s[14:15]
	s_cbranch_execz .LBB216_43
	s_branch .LBB216_42
.LBB216_41:                             ;   in Loop: Header=BB216_39 Depth=2
	s_andn2_saveexec_b64 s[14:15], s[14:15]
	s_cbranch_execz .LBB216_43
.LBB216_42:                             ;   in Loop: Header=BB216_39 Depth=2
	v_mov_b32_e32 v9, s33
	ds_cmpst_rtn_b32 v8, v8, v9, v7
	s_andn2_b64 s[12:13], s[12:13], exec
	s_waitcnt lgkmcnt(0)
	v_cmp_ne_u32_e32 vcc, s33, v8
	s_and_b64 s[16:17], vcc, exec
	s_or_b64 s[12:13], s[12:13], s[16:17]
.LBB216_43:                             ;   in Loop: Header=BB216_39 Depth=2
	s_or_b64 exec, exec, s[14:15]
	s_mov_b64 s[14:15], -1
                                        ; implicit-def: $vgpr8
                                        ; implicit-def: $vgpr9
	s_and_saveexec_b64 s[16:17], s[12:13]
	s_cbranch_execz .LBB216_38
; %bb.44:                               ;   in Loop: Header=BB216_39 Depth=2
	v_lshl_add_u32 v8, v6, 2, 0
	ds_read_b32 v9, v8
	s_waitcnt lgkmcnt(0)
	v_cmp_eq_u32_e32 vcc, v9, v7
	s_orn2_b64 s[14:15], vcc, exec
	s_branch .LBB216_38
.LBB216_45:
	s_or_b64 exec, exec, s[2:3]
.LBB216_46:
	s_waitcnt lgkmcnt(0)
	v_writelane_b32 v30, s46, 4
	s_add_i32 s0, 0, 0x60000
	v_lshrrev_b32_e32 v4, 3, v0
	v_writelane_b32 v30, s47, 5
	v_writelane_b32 v30, s0, 6
	s_add_i32 s60, 0, 0x60004
	v_mbcnt_lo_u32_b32 v2, -1, 0
	v_and_b32_e32 v4, 0x7c, v4
	v_writelane_b32 v30, s60, 7
	s_add_i32 s60, 0, 0x60008
	v_mbcnt_hi_u32_b32 v2, -1, v2
	v_add_u32_e32 v6, s0, v4
	s_movk_i32 s0, 0x3ff
	v_writelane_b32 v30, s60, 8
	s_add_i32 s60, 0, 0x6000c
	v_sub_u32_e32 v2, 63, v2
	v_cmp_eq_u32_e32 vcc, s0, v0
	s_movk_i32 s0, 0x5f
	s_movk_i32 s2, 0x7f
	;; [unrolled: 1-line block ×29, first 2 shown]
	v_writelane_b32 v30, s60, 9
	s_add_i32 s60, 0, 0x60014
	v_lshrrev_b64 v[2:3], v2, -1
	v_cmp_lt_u32_e64 s[0:1], s0, v0
	v_cmp_lt_u32_e64 s[2:3], s2, v0
	;; [unrolled: 1-line block ×29, first 2 shown]
	v_mov_b32_e32 v7, 0
	s_add_i32 s79, 0, 0x60010
	v_writelane_b32 v30, s60, 10
	s_add_i32 s82, 0, 0x60018
	s_add_i32 s83, 0, 0x6001c
	;; [unrolled: 1-line block ×26, first 2 shown]
	v_cmp_lt_u32_e64 s[60:61], 31, v0
	v_cmp_lt_u32_e64 s[62:63], 63, v0
	s_mov_b64 s[74:75], 0
	s_barrier
	s_branch .LBB216_48
.LBB216_47:                             ;   in Loop: Header=BB216_48 Depth=1
	s_or_b64 exec, exec, s[64:65]
	v_mov_b32_e32 v4, s78
	s_waitcnt lgkmcnt(0)
	s_barrier
	ds_read_b32 v4, v4
	v_add_u32_e32 v1, 0x400, v1
	s_movk_i32 s64, 0x7bff
	v_cmp_lt_u32_e64 s[64:65], s64, v1
	v_add_u32_e32 v12, 0x2000, v12
	s_waitcnt lgkmcnt(0)
	v_add_u32_e32 v7, v4, v7
	s_or_b64 s[74:75], s[64:65], s[74:75]
	v_add_u32_e32 v13, 0x1000, v13
	s_andn2_b64 exec, exec, s[74:75]
	s_cbranch_execz .LBB216_114
.LBB216_48:                             ; =>This Inner Loop Header: Depth=1
	ds_read_b32 v8, v13
	ds_read2_b32 v[4:5], v12 offset1:1
	s_waitcnt lgkmcnt(0)
	s_barrier
	v_cmp_gt_i32_e64 s[64:65], s33, v8
	s_bcnt1_i32_b64 s76, s[64:65]
	s_nop 0
	v_and_b32_e32 v10, s64, v2
	v_and_b32_e32 v9, s65, v3
	v_bcnt_u32_b32 v10, v10, 0
	v_bcnt_u32_b32 v9, v9, v10
	v_mov_b32_e32 v10, s76
	ds_write_b32 v6, v10
	s_waitcnt lgkmcnt(0)
	s_barrier
	s_and_saveexec_b64 s[76:77], s[60:61]
	s_cbranch_execz .LBB216_81
; %bb.49:                               ;   in Loop: Header=BB216_48 Depth=1
	v_readlane_b32 s80, v30, 6
	s_nop 1
	v_mov_b32_e32 v10, s80
	ds_read_b32 v10, v10
	s_waitcnt lgkmcnt(0)
	v_add_u32_e32 v9, v10, v9
	s_or_b64 exec, exec, s[76:77]
	s_and_saveexec_b64 s[76:77], s[62:63]
	s_cbranch_execnz .LBB216_82
.LBB216_50:                             ;   in Loop: Header=BB216_48 Depth=1
	s_or_b64 exec, exec, s[76:77]
	s_and_saveexec_b64 s[76:77], s[0:1]
	s_cbranch_execz .LBB216_83
.LBB216_51:                             ;   in Loop: Header=BB216_48 Depth=1
	v_readlane_b32 s80, v30, 8
	s_nop 1
	v_mov_b32_e32 v10, s80
	ds_read_b32 v10, v10
	s_waitcnt lgkmcnt(0)
	v_add_u32_e32 v9, v10, v9
	s_or_b64 exec, exec, s[76:77]
	s_and_saveexec_b64 s[76:77], s[2:3]
	s_cbranch_execnz .LBB216_84
.LBB216_52:                             ;   in Loop: Header=BB216_48 Depth=1
	s_or_b64 exec, exec, s[76:77]
	s_and_saveexec_b64 s[76:77], s[4:5]
	s_cbranch_execz .LBB216_85
.LBB216_53:                             ;   in Loop: Header=BB216_48 Depth=1
	v_mov_b32_e32 v10, s79
	ds_read_b32 v10, v10
	s_waitcnt lgkmcnt(0)
	v_add_u32_e32 v9, v10, v9
	s_or_b64 exec, exec, s[76:77]
	s_and_saveexec_b64 s[76:77], s[6:7]
	s_cbranch_execnz .LBB216_86
.LBB216_54:                             ;   in Loop: Header=BB216_48 Depth=1
	s_or_b64 exec, exec, s[76:77]
	s_and_saveexec_b64 s[76:77], s[8:9]
	s_cbranch_execz .LBB216_87
.LBB216_55:                             ;   in Loop: Header=BB216_48 Depth=1
	v_mov_b32_e32 v10, s82
	ds_read_b32 v10, v10
	s_waitcnt lgkmcnt(0)
	v_add_u32_e32 v9, v10, v9
	s_or_b64 exec, exec, s[76:77]
	s_and_saveexec_b64 s[76:77], s[10:11]
	s_cbranch_execnz .LBB216_88
.LBB216_56:                             ;   in Loop: Header=BB216_48 Depth=1
	s_or_b64 exec, exec, s[76:77]
	s_and_saveexec_b64 s[76:77], s[12:13]
	s_cbranch_execz .LBB216_89
.LBB216_57:                             ;   in Loop: Header=BB216_48 Depth=1
	v_mov_b32_e32 v10, s84
	ds_read_b32 v10, v10
	s_waitcnt lgkmcnt(0)
	v_add_u32_e32 v9, v10, v9
	s_or_b64 exec, exec, s[76:77]
	s_and_saveexec_b64 s[76:77], s[14:15]
	s_cbranch_execnz .LBB216_90
.LBB216_58:                             ;   in Loop: Header=BB216_48 Depth=1
	s_or_b64 exec, exec, s[76:77]
	s_and_saveexec_b64 s[76:77], s[16:17]
	s_cbranch_execz .LBB216_91
.LBB216_59:                             ;   in Loop: Header=BB216_48 Depth=1
	v_mov_b32_e32 v10, s86
	ds_read_b32 v10, v10
	s_waitcnt lgkmcnt(0)
	v_add_u32_e32 v9, v10, v9
	s_or_b64 exec, exec, s[76:77]
	s_and_saveexec_b64 s[76:77], s[18:19]
	s_cbranch_execnz .LBB216_92
.LBB216_60:                             ;   in Loop: Header=BB216_48 Depth=1
	s_or_b64 exec, exec, s[76:77]
	s_and_saveexec_b64 s[76:77], s[20:21]
	s_cbranch_execz .LBB216_93
.LBB216_61:                             ;   in Loop: Header=BB216_48 Depth=1
	v_mov_b32_e32 v10, s88
	ds_read_b32 v10, v10
	s_waitcnt lgkmcnt(0)
	v_add_u32_e32 v9, v10, v9
	s_or_b64 exec, exec, s[76:77]
	s_and_saveexec_b64 s[76:77], s[22:23]
	s_cbranch_execnz .LBB216_94
.LBB216_62:                             ;   in Loop: Header=BB216_48 Depth=1
	s_or_b64 exec, exec, s[76:77]
	s_and_saveexec_b64 s[76:77], s[24:25]
	s_cbranch_execz .LBB216_95
.LBB216_63:                             ;   in Loop: Header=BB216_48 Depth=1
	v_mov_b32_e32 v10, s90
	ds_read_b32 v10, v10
	s_waitcnt lgkmcnt(0)
	v_add_u32_e32 v9, v10, v9
	s_or_b64 exec, exec, s[76:77]
	s_and_saveexec_b64 s[76:77], s[26:27]
	s_cbranch_execnz .LBB216_96
.LBB216_64:                             ;   in Loop: Header=BB216_48 Depth=1
	s_or_b64 exec, exec, s[76:77]
	s_and_saveexec_b64 s[76:77], s[28:29]
	s_cbranch_execz .LBB216_97
.LBB216_65:                             ;   in Loop: Header=BB216_48 Depth=1
	v_mov_b32_e32 v10, s92
	ds_read_b32 v10, v10
	s_waitcnt lgkmcnt(0)
	v_add_u32_e32 v9, v10, v9
	s_or_b64 exec, exec, s[76:77]
	s_and_saveexec_b64 s[76:77], s[30:31]
	s_cbranch_execnz .LBB216_98
.LBB216_66:                             ;   in Loop: Header=BB216_48 Depth=1
	s_or_b64 exec, exec, s[76:77]
	s_and_saveexec_b64 s[76:77], s[34:35]
	s_cbranch_execz .LBB216_99
.LBB216_67:                             ;   in Loop: Header=BB216_48 Depth=1
	v_mov_b32_e32 v10, s94
	ds_read_b32 v10, v10
	s_waitcnt lgkmcnt(0)
	v_add_u32_e32 v9, v10, v9
	s_or_b64 exec, exec, s[76:77]
	s_and_saveexec_b64 s[76:77], s[36:37]
	s_cbranch_execnz .LBB216_100
.LBB216_68:                             ;   in Loop: Header=BB216_48 Depth=1
	s_or_b64 exec, exec, s[76:77]
	s_and_saveexec_b64 s[76:77], s[38:39]
	s_cbranch_execz .LBB216_101
.LBB216_69:                             ;   in Loop: Header=BB216_48 Depth=1
	v_mov_b32_e32 v10, s96
	ds_read_b32 v10, v10
	s_waitcnt lgkmcnt(0)
	v_add_u32_e32 v9, v10, v9
	s_or_b64 exec, exec, s[76:77]
	s_and_saveexec_b64 s[76:77], s[40:41]
	s_cbranch_execnz .LBB216_102
.LBB216_70:                             ;   in Loop: Header=BB216_48 Depth=1
	s_or_b64 exec, exec, s[76:77]
	s_and_saveexec_b64 s[76:77], s[42:43]
	s_cbranch_execz .LBB216_103
.LBB216_71:                             ;   in Loop: Header=BB216_48 Depth=1
	v_mov_b32_e32 v10, s98
	ds_read_b32 v10, v10
	s_waitcnt lgkmcnt(0)
	v_add_u32_e32 v9, v10, v9
	s_or_b64 exec, exec, s[76:77]
	s_and_saveexec_b64 s[76:77], s[44:45]
	s_cbranch_execnz .LBB216_104
.LBB216_72:                             ;   in Loop: Header=BB216_48 Depth=1
	s_or_b64 exec, exec, s[76:77]
	s_and_saveexec_b64 s[76:77], s[46:47]
	s_cbranch_execz .LBB216_105
.LBB216_73:                             ;   in Loop: Header=BB216_48 Depth=1
	v_mov_b32_e32 v10, s70
	ds_read_b32 v10, v10
	s_waitcnt lgkmcnt(0)
	v_add_u32_e32 v9, v10, v9
	s_or_b64 exec, exec, s[76:77]
	s_and_saveexec_b64 s[76:77], s[48:49]
	s_cbranch_execnz .LBB216_106
.LBB216_74:                             ;   in Loop: Header=BB216_48 Depth=1
	s_or_b64 exec, exec, s[76:77]
	s_and_saveexec_b64 s[76:77], s[50:51]
	s_cbranch_execz .LBB216_107
.LBB216_75:                             ;   in Loop: Header=BB216_48 Depth=1
	v_mov_b32_e32 v10, s72
	ds_read_b32 v10, v10
	s_waitcnt lgkmcnt(0)
	v_add_u32_e32 v9, v10, v9
	s_or_b64 exec, exec, s[76:77]
	s_and_saveexec_b64 s[76:77], s[52:53]
	s_cbranch_execnz .LBB216_108
.LBB216_76:                             ;   in Loop: Header=BB216_48 Depth=1
	s_or_b64 exec, exec, s[76:77]
	s_and_saveexec_b64 s[76:77], s[54:55]
	s_cbranch_execz .LBB216_109
.LBB216_77:                             ;   in Loop: Header=BB216_48 Depth=1
	v_mov_b32_e32 v10, s69
	ds_read_b32 v10, v10
	s_waitcnt lgkmcnt(0)
	v_add_u32_e32 v9, v10, v9
	s_or_b64 exec, exec, s[76:77]
	s_and_saveexec_b64 s[76:77], s[56:57]
	s_cbranch_execnz .LBB216_110
.LBB216_78:                             ;   in Loop: Header=BB216_48 Depth=1
	s_or_b64 exec, exec, s[76:77]
	s_and_saveexec_b64 s[76:77], s[58:59]
	s_cbranch_execz .LBB216_111
.LBB216_79:                             ;   in Loop: Header=BB216_48 Depth=1
	v_mov_b32_e32 v10, s73
	ds_read_b32 v10, v10
	s_waitcnt lgkmcnt(0)
	v_add_u32_e32 v9, v10, v9
	s_or_b64 exec, exec, s[76:77]
	s_and_saveexec_b64 s[76:77], s[64:65]
	s_cbranch_execnz .LBB216_112
.LBB216_80:                             ;   in Loop: Header=BB216_48 Depth=1
	s_or_b64 exec, exec, s[76:77]
	s_and_saveexec_b64 s[64:65], vcc
	s_cbranch_execz .LBB216_47
	s_branch .LBB216_113
.LBB216_81:                             ;   in Loop: Header=BB216_48 Depth=1
	s_or_b64 exec, exec, s[76:77]
	s_and_saveexec_b64 s[76:77], s[62:63]
	s_cbranch_execz .LBB216_50
.LBB216_82:                             ;   in Loop: Header=BB216_48 Depth=1
	v_readlane_b32 s80, v30, 7
	s_nop 1
	v_mov_b32_e32 v10, s80
	ds_read_b32 v10, v10
	s_waitcnt lgkmcnt(0)
	v_add_u32_e32 v9, v10, v9
	s_or_b64 exec, exec, s[76:77]
	s_and_saveexec_b64 s[76:77], s[0:1]
	s_cbranch_execnz .LBB216_51
.LBB216_83:                             ;   in Loop: Header=BB216_48 Depth=1
	s_or_b64 exec, exec, s[76:77]
	s_and_saveexec_b64 s[76:77], s[2:3]
	s_cbranch_execz .LBB216_52
.LBB216_84:                             ;   in Loop: Header=BB216_48 Depth=1
	v_readlane_b32 s80, v30, 9
	s_nop 1
	v_mov_b32_e32 v10, s80
	ds_read_b32 v10, v10
	s_waitcnt lgkmcnt(0)
	v_add_u32_e32 v9, v10, v9
	s_or_b64 exec, exec, s[76:77]
	s_and_saveexec_b64 s[76:77], s[4:5]
	s_cbranch_execnz .LBB216_53
.LBB216_85:                             ;   in Loop: Header=BB216_48 Depth=1
	s_or_b64 exec, exec, s[76:77]
	s_and_saveexec_b64 s[76:77], s[6:7]
	s_cbranch_execz .LBB216_54
.LBB216_86:                             ;   in Loop: Header=BB216_48 Depth=1
	v_readlane_b32 s80, v30, 10
	s_nop 1
	v_mov_b32_e32 v10, s80
	ds_read_b32 v10, v10
	s_waitcnt lgkmcnt(0)
	v_add_u32_e32 v9, v10, v9
	s_or_b64 exec, exec, s[76:77]
	s_and_saveexec_b64 s[76:77], s[8:9]
	s_cbranch_execnz .LBB216_55
.LBB216_87:                             ;   in Loop: Header=BB216_48 Depth=1
	s_or_b64 exec, exec, s[76:77]
	s_and_saveexec_b64 s[76:77], s[10:11]
	s_cbranch_execz .LBB216_56
.LBB216_88:                             ;   in Loop: Header=BB216_48 Depth=1
	v_mov_b32_e32 v10, s83
	ds_read_b32 v10, v10
	s_waitcnt lgkmcnt(0)
	v_add_u32_e32 v9, v10, v9
	s_or_b64 exec, exec, s[76:77]
	s_and_saveexec_b64 s[76:77], s[12:13]
	s_cbranch_execnz .LBB216_57
.LBB216_89:                             ;   in Loop: Header=BB216_48 Depth=1
	s_or_b64 exec, exec, s[76:77]
	s_and_saveexec_b64 s[76:77], s[14:15]
	s_cbranch_execz .LBB216_58
.LBB216_90:                             ;   in Loop: Header=BB216_48 Depth=1
	v_mov_b32_e32 v10, s85
	ds_read_b32 v10, v10
	s_waitcnt lgkmcnt(0)
	v_add_u32_e32 v9, v10, v9
	s_or_b64 exec, exec, s[76:77]
	s_and_saveexec_b64 s[76:77], s[16:17]
	s_cbranch_execnz .LBB216_59
.LBB216_91:                             ;   in Loop: Header=BB216_48 Depth=1
	s_or_b64 exec, exec, s[76:77]
	s_and_saveexec_b64 s[76:77], s[18:19]
	s_cbranch_execz .LBB216_60
.LBB216_92:                             ;   in Loop: Header=BB216_48 Depth=1
	v_mov_b32_e32 v10, s87
	ds_read_b32 v10, v10
	s_waitcnt lgkmcnt(0)
	v_add_u32_e32 v9, v10, v9
	s_or_b64 exec, exec, s[76:77]
	s_and_saveexec_b64 s[76:77], s[20:21]
	s_cbranch_execnz .LBB216_61
.LBB216_93:                             ;   in Loop: Header=BB216_48 Depth=1
	s_or_b64 exec, exec, s[76:77]
	s_and_saveexec_b64 s[76:77], s[22:23]
	s_cbranch_execz .LBB216_62
.LBB216_94:                             ;   in Loop: Header=BB216_48 Depth=1
	v_mov_b32_e32 v10, s89
	ds_read_b32 v10, v10
	s_waitcnt lgkmcnt(0)
	v_add_u32_e32 v9, v10, v9
	s_or_b64 exec, exec, s[76:77]
	s_and_saveexec_b64 s[76:77], s[24:25]
	s_cbranch_execnz .LBB216_63
.LBB216_95:                             ;   in Loop: Header=BB216_48 Depth=1
	s_or_b64 exec, exec, s[76:77]
	s_and_saveexec_b64 s[76:77], s[26:27]
	s_cbranch_execz .LBB216_64
.LBB216_96:                             ;   in Loop: Header=BB216_48 Depth=1
	v_mov_b32_e32 v10, s91
	ds_read_b32 v10, v10
	s_waitcnt lgkmcnt(0)
	v_add_u32_e32 v9, v10, v9
	s_or_b64 exec, exec, s[76:77]
	s_and_saveexec_b64 s[76:77], s[28:29]
	s_cbranch_execnz .LBB216_65
.LBB216_97:                             ;   in Loop: Header=BB216_48 Depth=1
	s_or_b64 exec, exec, s[76:77]
	s_and_saveexec_b64 s[76:77], s[30:31]
	s_cbranch_execz .LBB216_66
.LBB216_98:                             ;   in Loop: Header=BB216_48 Depth=1
	v_mov_b32_e32 v10, s93
	ds_read_b32 v10, v10
	s_waitcnt lgkmcnt(0)
	v_add_u32_e32 v9, v10, v9
	s_or_b64 exec, exec, s[76:77]
	s_and_saveexec_b64 s[76:77], s[34:35]
	s_cbranch_execnz .LBB216_67
.LBB216_99:                             ;   in Loop: Header=BB216_48 Depth=1
	s_or_b64 exec, exec, s[76:77]
	s_and_saveexec_b64 s[76:77], s[36:37]
	s_cbranch_execz .LBB216_68
.LBB216_100:                            ;   in Loop: Header=BB216_48 Depth=1
	v_mov_b32_e32 v10, s95
	ds_read_b32 v10, v10
	s_waitcnt lgkmcnt(0)
	v_add_u32_e32 v9, v10, v9
	s_or_b64 exec, exec, s[76:77]
	s_and_saveexec_b64 s[76:77], s[38:39]
	s_cbranch_execnz .LBB216_69
.LBB216_101:                            ;   in Loop: Header=BB216_48 Depth=1
	s_or_b64 exec, exec, s[76:77]
	s_and_saveexec_b64 s[76:77], s[40:41]
	s_cbranch_execz .LBB216_70
.LBB216_102:                            ;   in Loop: Header=BB216_48 Depth=1
	v_mov_b32_e32 v10, s97
	ds_read_b32 v10, v10
	s_waitcnt lgkmcnt(0)
	v_add_u32_e32 v9, v10, v9
	s_or_b64 exec, exec, s[76:77]
	s_and_saveexec_b64 s[76:77], s[42:43]
	s_cbranch_execnz .LBB216_71
.LBB216_103:                            ;   in Loop: Header=BB216_48 Depth=1
	s_or_b64 exec, exec, s[76:77]
	s_and_saveexec_b64 s[76:77], s[44:45]
	s_cbranch_execz .LBB216_72
.LBB216_104:                            ;   in Loop: Header=BB216_48 Depth=1
	v_mov_b32_e32 v10, s99
	ds_read_b32 v10, v10
	s_waitcnt lgkmcnt(0)
	v_add_u32_e32 v9, v10, v9
	s_or_b64 exec, exec, s[76:77]
	s_and_saveexec_b64 s[76:77], s[46:47]
	s_cbranch_execnz .LBB216_73
.LBB216_105:                            ;   in Loop: Header=BB216_48 Depth=1
	s_or_b64 exec, exec, s[76:77]
	s_and_saveexec_b64 s[76:77], s[48:49]
	s_cbranch_execz .LBB216_74
.LBB216_106:                            ;   in Loop: Header=BB216_48 Depth=1
	v_mov_b32_e32 v10, s71
	ds_read_b32 v10, v10
	s_waitcnt lgkmcnt(0)
	v_add_u32_e32 v9, v10, v9
	s_or_b64 exec, exec, s[76:77]
	s_and_saveexec_b64 s[76:77], s[50:51]
	s_cbranch_execnz .LBB216_75
.LBB216_107:                            ;   in Loop: Header=BB216_48 Depth=1
	s_or_b64 exec, exec, s[76:77]
	s_and_saveexec_b64 s[76:77], s[52:53]
	s_cbranch_execz .LBB216_76
.LBB216_108:                            ;   in Loop: Header=BB216_48 Depth=1
	v_mov_b32_e32 v10, s68
	ds_read_b32 v10, v10
	s_waitcnt lgkmcnt(0)
	v_add_u32_e32 v9, v10, v9
	s_or_b64 exec, exec, s[76:77]
	s_and_saveexec_b64 s[76:77], s[54:55]
	s_cbranch_execnz .LBB216_77
.LBB216_109:                            ;   in Loop: Header=BB216_48 Depth=1
	s_or_b64 exec, exec, s[76:77]
	s_and_saveexec_b64 s[76:77], s[56:57]
	s_cbranch_execz .LBB216_78
.LBB216_110:                            ;   in Loop: Header=BB216_48 Depth=1
	v_mov_b32_e32 v10, s67
	ds_read_b32 v10, v10
	s_waitcnt lgkmcnt(0)
	v_add_u32_e32 v9, v10, v9
	s_or_b64 exec, exec, s[76:77]
	s_and_saveexec_b64 s[76:77], s[58:59]
	s_cbranch_execnz .LBB216_79
.LBB216_111:                            ;   in Loop: Header=BB216_48 Depth=1
	s_or_b64 exec, exec, s[76:77]
	s_and_saveexec_b64 s[76:77], s[64:65]
	s_cbranch_execz .LBB216_80
.LBB216_112:                            ;   in Loop: Header=BB216_48 Depth=1
	v_add3_u32 v10, v7, -1, v9
	v_lshl_add_u32 v11, v10, 2, 0
	v_lshl_add_u32 v10, v10, 3, 0
	v_add_u32_e32 v10, 0x20000, v10
	ds_write_b32 v11, v8
	ds_write2_b32 v10, v4, v5 offset1:1
	s_or_b64 exec, exec, s[76:77]
	s_and_saveexec_b64 s[64:65], vcc
	s_cbranch_execz .LBB216_47
.LBB216_113:                            ;   in Loop: Header=BB216_48 Depth=1
	v_mov_b32_e32 v4, s78
	ds_write_b32 v4, v9
	s_branch .LBB216_47
.LBB216_114:
	s_or_b64 exec, exec, s[74:75]
	v_readlane_b32 s0, v30, 4
	v_readlane_b32 s1, v30, 5
	s_ashr_i32 s1, s0, 31
	s_lshl_b64 s[0:1], s[0:1], 3
	v_readlane_b32 s2, v30, 0
	v_readlane_b32 s3, v30, 1
	s_add_u32 s4, s2, s0
	s_addc_u32 s5, s3, s1
	s_load_dwordx4 s[0:3], s[4:5], 0x0
	s_waitcnt lgkmcnt(0)
	s_sub_i32 s8, s2, s0
	v_cmp_gt_i32_e32 vcc, s8, v0
	s_and_saveexec_b64 s[4:5], vcc
	s_cbranch_execz .LBB216_124
; %bb.115:
	s_sub_u32 s4, s0, s66
	s_subb_u32 s5, s1, 0
	s_and_b32 s10, s8, 7
	s_sub_i32 s0, s0, s2
	s_cmp_lt_u32 s0, -7
	s_cselect_b64 s[0:1], -1, 0
	s_and_b32 s11, s8, -8
	s_cmp_lg_u32 s10, 0
	v_cndmask_b32_e64 v1, 0, 1, s[0:1]
	s_cselect_b64 s[2:3], -1, 0
	v_cmp_ne_u32_e64 s[0:1], 1, v1
	v_cndmask_b32_e64 v1, 0, 1, s[2:3]
	s_mov_b32 s9, 0
	s_mov_b64 s[6:7], 0
	v_cmp_ne_u32_e64 s[2:3], 1, v1
	s_branch .LBB216_117
.LBB216_116:                            ;   in Loop: Header=BB216_117 Depth=1
	v_readlane_b32 s12, v30, 2
	v_add_u32_e32 v0, 0x400, v0
	v_readlane_b32 s13, v30, 3
	v_cmp_le_i32_e32 vcc, s8, v0
	s_or_b64 s[6:7], vcc, s[6:7]
	v_lshl_add_u64 v[4:5], v[4:5], 3, s[12:13]
	s_waitcnt lgkmcnt(0)
	global_store_dwordx2 v[4:5], v[2:3], off
	s_andn2_b64 exec, exec, s[6:7]
	s_cbranch_execz .LBB216_124
.LBB216_117:                            ; =>This Loop Header: Depth=1
                                        ;     Child Loop BB216_119 Depth 2
                                        ;     Child Loop BB216_123 Depth 2
	v_lshl_add_u32 v2, v0, 3, 0
	v_lshl_add_u32 v1, v0, 2, 0
	v_add_u32_e32 v2, 0x20000, v2
	ds_read_b32 v1, v1
	ds_read2_b32 v[2:3], v2 offset1:1
	s_and_b64 vcc, exec, s[0:1]
	v_mov_b64_e32 v[4:5], s[4:5]
	s_mov_b32 s12, 0
	s_cbranch_vccnz .LBB216_121
; %bb.118:                              ;   in Loop: Header=BB216_117 Depth=1
	s_mov_b32 s13, 0
	v_mov_b64_e32 v[4:5], s[4:5]
.LBB216_119:                            ;   Parent Loop BB216_117 Depth=1
                                        ; =>  This Inner Loop Header: Depth=2
	v_mov_b32_e32 v6, s13
	ds_read2_b32 v[22:23], v6 offset1:1
	ds_read2_b32 v[24:25], v6 offset0:2 offset1:3
	ds_read2_b32 v[26:27], v6 offset0:4 offset1:5
	;; [unrolled: 1-line block ×3, first 2 shown]
	v_mov_b32_e32 v7, s9
	s_waitcnt lgkmcnt(3)
	v_cmp_gt_i32_e32 vcc, v1, v22
	v_mov_b32_e32 v9, s9
	v_mov_b32_e32 v11, s9
	v_cndmask_b32_e64 v6, 0, 1, vcc
	v_cmp_gt_i32_e32 vcc, v1, v23
	v_lshl_add_u64 v[4:5], v[4:5], 0, v[6:7]
	v_mov_b32_e32 v13, s9
	v_cndmask_b32_e64 v8, 0, 1, vcc
	s_waitcnt lgkmcnt(2)
	v_cmp_gt_i32_e32 vcc, v1, v24
	v_lshl_add_u64 v[4:5], v[4:5], 0, v[8:9]
	v_mov_b32_e32 v15, s9
	v_cndmask_b32_e64 v10, 0, 1, vcc
	v_cmp_gt_i32_e32 vcc, v1, v25
	v_lshl_add_u64 v[4:5], v[4:5], 0, v[10:11]
	v_mov_b32_e32 v17, s9
	v_cndmask_b32_e64 v12, 0, 1, vcc
	s_waitcnt lgkmcnt(1)
	v_cmp_gt_i32_e32 vcc, v1, v26
	v_lshl_add_u64 v[4:5], v[4:5], 0, v[12:13]
	v_mov_b32_e32 v19, s9
	v_cndmask_b32_e64 v14, 0, 1, vcc
	v_cmp_gt_i32_e32 vcc, v1, v27
	v_lshl_add_u64 v[4:5], v[4:5], 0, v[14:15]
	v_mov_b32_e32 v21, s9
	v_cndmask_b32_e64 v16, 0, 1, vcc
	s_waitcnt lgkmcnt(0)
	v_cmp_gt_i32_e32 vcc, v1, v28
	v_lshl_add_u64 v[4:5], v[4:5], 0, v[16:17]
	s_add_i32 s12, s12, 8
	v_cndmask_b32_e64 v18, 0, 1, vcc
	v_cmp_gt_i32_e32 vcc, v1, v29
	s_add_i32 s13, s13, 32
	v_lshl_add_u64 v[4:5], v[4:5], 0, v[18:19]
	v_cndmask_b32_e64 v20, 0, 1, vcc
	s_cmp_eq_u32 s11, s12
	v_lshl_add_u64 v[4:5], v[4:5], 0, v[20:21]
	s_cbranch_scc0 .LBB216_119
; %bb.120:                              ;   in Loop: Header=BB216_117 Depth=1
	s_mov_b32 s12, s11
.LBB216_121:                            ;   in Loop: Header=BB216_117 Depth=1
	s_and_b64 vcc, exec, s[2:3]
	s_cbranch_vccnz .LBB216_116
; %bb.122:                              ;   in Loop: Header=BB216_117 Depth=1
	s_lshl_b32 s12, s12, 2
	s_add_i32 s12, s12, 0
	s_mov_b32 s13, s10
.LBB216_123:                            ;   Parent Loop BB216_117 Depth=1
                                        ; =>  This Inner Loop Header: Depth=2
	v_mov_b32_e32 v6, s12
	ds_read_b32 v6, v6
	v_mov_b32_e32 v7, s9
	s_add_i32 s12, s12, 4
	s_add_i32 s13, s13, -1
	s_cmp_lg_u32 s13, 0
	s_waitcnt lgkmcnt(0)
	v_cmp_gt_i32_e32 vcc, v1, v6
	s_nop 1
	v_cndmask_b32_e64 v6, 0, 1, vcc
	v_lshl_add_u64 v[4:5], v[4:5], 0, v[6:7]
	s_cbranch_scc1 .LBB216_123
	s_branch .LBB216_116
.LBB216_124:
	s_endpgm
	.section	.rodata,"a",@progbits
	.p2align	6, 0x0
	.amdhsa_kernel _ZN9rocsparseL41csrgemm_numeric_fill_block_per_row_kernelILj1024ELj64ELj32768ELj137ELj32Eli21rocsparse_complex_numIfEEEvT5_PKS3_S5_NS_24const_host_device_scalarIT6_EEPKT4_S5_PKS7_SB_S5_SD_S8_SB_S5_SD_SB_S5_PS7_21rocsparse_index_base_SF_SF_SF_bbb
		.amdhsa_group_segment_fixed_size 0
		.amdhsa_private_segment_fixed_size 0
		.amdhsa_kernarg_size 156
		.amdhsa_user_sgpr_count 2
		.amdhsa_user_sgpr_dispatch_ptr 0
		.amdhsa_user_sgpr_queue_ptr 0
		.amdhsa_user_sgpr_kernarg_segment_ptr 1
		.amdhsa_user_sgpr_dispatch_id 0
		.amdhsa_user_sgpr_kernarg_preload_length 0
		.amdhsa_user_sgpr_kernarg_preload_offset 0
		.amdhsa_user_sgpr_private_segment_size 0
		.amdhsa_uses_dynamic_stack 0
		.amdhsa_enable_private_segment 0
		.amdhsa_system_sgpr_workgroup_id_x 1
		.amdhsa_system_sgpr_workgroup_id_y 0
		.amdhsa_system_sgpr_workgroup_id_z 0
		.amdhsa_system_sgpr_workgroup_info 0
		.amdhsa_system_vgpr_workitem_id 0
		.amdhsa_next_free_vgpr 31
		.amdhsa_next_free_sgpr 100
		.amdhsa_accum_offset 32
		.amdhsa_reserve_vcc 1
		.amdhsa_float_round_mode_32 0
		.amdhsa_float_round_mode_16_64 0
		.amdhsa_float_denorm_mode_32 3
		.amdhsa_float_denorm_mode_16_64 3
		.amdhsa_dx10_clamp 1
		.amdhsa_ieee_mode 1
		.amdhsa_fp16_overflow 0
		.amdhsa_tg_split 0
		.amdhsa_exception_fp_ieee_invalid_op 0
		.amdhsa_exception_fp_denorm_src 0
		.amdhsa_exception_fp_ieee_div_zero 0
		.amdhsa_exception_fp_ieee_overflow 0
		.amdhsa_exception_fp_ieee_underflow 0
		.amdhsa_exception_fp_ieee_inexact 0
		.amdhsa_exception_int_div_zero 0
	.end_amdhsa_kernel
	.section	.text._ZN9rocsparseL41csrgemm_numeric_fill_block_per_row_kernelILj1024ELj64ELj32768ELj137ELj32Eli21rocsparse_complex_numIfEEEvT5_PKS3_S5_NS_24const_host_device_scalarIT6_EEPKT4_S5_PKS7_SB_S5_SD_S8_SB_S5_SD_SB_S5_PS7_21rocsparse_index_base_SF_SF_SF_bbb,"axG",@progbits,_ZN9rocsparseL41csrgemm_numeric_fill_block_per_row_kernelILj1024ELj64ELj32768ELj137ELj32Eli21rocsparse_complex_numIfEEEvT5_PKS3_S5_NS_24const_host_device_scalarIT6_EEPKT4_S5_PKS7_SB_S5_SD_S8_SB_S5_SD_SB_S5_PS7_21rocsparse_index_base_SF_SF_SF_bbb,comdat
.Lfunc_end216:
	.size	_ZN9rocsparseL41csrgemm_numeric_fill_block_per_row_kernelILj1024ELj64ELj32768ELj137ELj32Eli21rocsparse_complex_numIfEEEvT5_PKS3_S5_NS_24const_host_device_scalarIT6_EEPKT4_S5_PKS7_SB_S5_SD_S8_SB_S5_SD_SB_S5_PS7_21rocsparse_index_base_SF_SF_SF_bbb, .Lfunc_end216-_ZN9rocsparseL41csrgemm_numeric_fill_block_per_row_kernelILj1024ELj64ELj32768ELj137ELj32Eli21rocsparse_complex_numIfEEEvT5_PKS3_S5_NS_24const_host_device_scalarIT6_EEPKT4_S5_PKS7_SB_S5_SD_S8_SB_S5_SD_SB_S5_PS7_21rocsparse_index_base_SF_SF_SF_bbb
                                        ; -- End function
	.set _ZN9rocsparseL41csrgemm_numeric_fill_block_per_row_kernelILj1024ELj64ELj32768ELj137ELj32Eli21rocsparse_complex_numIfEEEvT5_PKS3_S5_NS_24const_host_device_scalarIT6_EEPKT4_S5_PKS7_SB_S5_SD_S8_SB_S5_SD_SB_S5_PS7_21rocsparse_index_base_SF_SF_SF_bbb.num_vgpr, 31
	.set _ZN9rocsparseL41csrgemm_numeric_fill_block_per_row_kernelILj1024ELj64ELj32768ELj137ELj32Eli21rocsparse_complex_numIfEEEvT5_PKS3_S5_NS_24const_host_device_scalarIT6_EEPKT4_S5_PKS7_SB_S5_SD_S8_SB_S5_SD_SB_S5_PS7_21rocsparse_index_base_SF_SF_SF_bbb.num_agpr, 0
	.set _ZN9rocsparseL41csrgemm_numeric_fill_block_per_row_kernelILj1024ELj64ELj32768ELj137ELj32Eli21rocsparse_complex_numIfEEEvT5_PKS3_S5_NS_24const_host_device_scalarIT6_EEPKT4_S5_PKS7_SB_S5_SD_S8_SB_S5_SD_SB_S5_PS7_21rocsparse_index_base_SF_SF_SF_bbb.numbered_sgpr, 100
	.set _ZN9rocsparseL41csrgemm_numeric_fill_block_per_row_kernelILj1024ELj64ELj32768ELj137ELj32Eli21rocsparse_complex_numIfEEEvT5_PKS3_S5_NS_24const_host_device_scalarIT6_EEPKT4_S5_PKS7_SB_S5_SD_S8_SB_S5_SD_SB_S5_PS7_21rocsparse_index_base_SF_SF_SF_bbb.num_named_barrier, 0
	.set _ZN9rocsparseL41csrgemm_numeric_fill_block_per_row_kernelILj1024ELj64ELj32768ELj137ELj32Eli21rocsparse_complex_numIfEEEvT5_PKS3_S5_NS_24const_host_device_scalarIT6_EEPKT4_S5_PKS7_SB_S5_SD_S8_SB_S5_SD_SB_S5_PS7_21rocsparse_index_base_SF_SF_SF_bbb.private_seg_size, 0
	.set _ZN9rocsparseL41csrgemm_numeric_fill_block_per_row_kernelILj1024ELj64ELj32768ELj137ELj32Eli21rocsparse_complex_numIfEEEvT5_PKS3_S5_NS_24const_host_device_scalarIT6_EEPKT4_S5_PKS7_SB_S5_SD_S8_SB_S5_SD_SB_S5_PS7_21rocsparse_index_base_SF_SF_SF_bbb.uses_vcc, 1
	.set _ZN9rocsparseL41csrgemm_numeric_fill_block_per_row_kernelILj1024ELj64ELj32768ELj137ELj32Eli21rocsparse_complex_numIfEEEvT5_PKS3_S5_NS_24const_host_device_scalarIT6_EEPKT4_S5_PKS7_SB_S5_SD_S8_SB_S5_SD_SB_S5_PS7_21rocsparse_index_base_SF_SF_SF_bbb.uses_flat_scratch, 0
	.set _ZN9rocsparseL41csrgemm_numeric_fill_block_per_row_kernelILj1024ELj64ELj32768ELj137ELj32Eli21rocsparse_complex_numIfEEEvT5_PKS3_S5_NS_24const_host_device_scalarIT6_EEPKT4_S5_PKS7_SB_S5_SD_S8_SB_S5_SD_SB_S5_PS7_21rocsparse_index_base_SF_SF_SF_bbb.has_dyn_sized_stack, 0
	.set _ZN9rocsparseL41csrgemm_numeric_fill_block_per_row_kernelILj1024ELj64ELj32768ELj137ELj32Eli21rocsparse_complex_numIfEEEvT5_PKS3_S5_NS_24const_host_device_scalarIT6_EEPKT4_S5_PKS7_SB_S5_SD_S8_SB_S5_SD_SB_S5_PS7_21rocsparse_index_base_SF_SF_SF_bbb.has_recursion, 0
	.set _ZN9rocsparseL41csrgemm_numeric_fill_block_per_row_kernelILj1024ELj64ELj32768ELj137ELj32Eli21rocsparse_complex_numIfEEEvT5_PKS3_S5_NS_24const_host_device_scalarIT6_EEPKT4_S5_PKS7_SB_S5_SD_S8_SB_S5_SD_SB_S5_PS7_21rocsparse_index_base_SF_SF_SF_bbb.has_indirect_call, 0
	.section	.AMDGPU.csdata,"",@progbits
; Kernel info:
; codeLenInByte = 4608
; TotalNumSgprs: 106
; NumVgprs: 31
; NumAgprs: 0
; TotalNumVgprs: 31
; ScratchSize: 0
; MemoryBound: 0
; FloatMode: 240
; IeeeMode: 1
; LDSByteSize: 0 bytes/workgroup (compile time only)
; SGPRBlocks: 13
; VGPRBlocks: 3
; NumSGPRsForWavesPerEU: 106
; NumVGPRsForWavesPerEU: 31
; AccumOffset: 32
; Occupancy: 7
; WaveLimiterHint : 1
; COMPUTE_PGM_RSRC2:SCRATCH_EN: 0
; COMPUTE_PGM_RSRC2:USER_SGPR: 2
; COMPUTE_PGM_RSRC2:TRAP_HANDLER: 0
; COMPUTE_PGM_RSRC2:TGID_X_EN: 1
; COMPUTE_PGM_RSRC2:TGID_Y_EN: 0
; COMPUTE_PGM_RSRC2:TGID_Z_EN: 0
; COMPUTE_PGM_RSRC2:TIDIG_COMP_CNT: 0
; COMPUTE_PGM_RSRC3_GFX90A:ACCUM_OFFSET: 7
; COMPUTE_PGM_RSRC3_GFX90A:TG_SPLIT: 0
	.section	.text._ZN9rocsparseL41csrgemm_numeric_fill_block_per_row_kernelILj1024ELj64ELj32768ELj137ELj64Eli21rocsparse_complex_numIfEEEvT5_PKS3_S5_NS_24const_host_device_scalarIT6_EEPKT4_S5_PKS7_SB_S5_SD_S8_SB_S5_SD_SB_S5_PS7_21rocsparse_index_base_SF_SF_SF_bbb,"axG",@progbits,_ZN9rocsparseL41csrgemm_numeric_fill_block_per_row_kernelILj1024ELj64ELj32768ELj137ELj64Eli21rocsparse_complex_numIfEEEvT5_PKS3_S5_NS_24const_host_device_scalarIT6_EEPKT4_S5_PKS7_SB_S5_SD_S8_SB_S5_SD_SB_S5_PS7_21rocsparse_index_base_SF_SF_SF_bbb,comdat
	.globl	_ZN9rocsparseL41csrgemm_numeric_fill_block_per_row_kernelILj1024ELj64ELj32768ELj137ELj64Eli21rocsparse_complex_numIfEEEvT5_PKS3_S5_NS_24const_host_device_scalarIT6_EEPKT4_S5_PKS7_SB_S5_SD_S8_SB_S5_SD_SB_S5_PS7_21rocsparse_index_base_SF_SF_SF_bbb ; -- Begin function _ZN9rocsparseL41csrgemm_numeric_fill_block_per_row_kernelILj1024ELj64ELj32768ELj137ELj64Eli21rocsparse_complex_numIfEEEvT5_PKS3_S5_NS_24const_host_device_scalarIT6_EEPKT4_S5_PKS7_SB_S5_SD_S8_SB_S5_SD_SB_S5_PS7_21rocsparse_index_base_SF_SF_SF_bbb
	.p2align	8
	.type	_ZN9rocsparseL41csrgemm_numeric_fill_block_per_row_kernelILj1024ELj64ELj32768ELj137ELj64Eli21rocsparse_complex_numIfEEEvT5_PKS3_S5_NS_24const_host_device_scalarIT6_EEPKT4_S5_PKS7_SB_S5_SD_S8_SB_S5_SD_SB_S5_PS7_21rocsparse_index_base_SF_SF_SF_bbb,@function
_ZN9rocsparseL41csrgemm_numeric_fill_block_per_row_kernelILj1024ELj64ELj32768ELj137ELj64Eli21rocsparse_complex_numIfEEEvT5_PKS3_S5_NS_24const_host_device_scalarIT6_EEPKT4_S5_PKS7_SB_S5_SD_S8_SB_S5_SD_SB_S5_PS7_21rocsparse_index_base_SF_SF_SF_bbb: ; @_ZN9rocsparseL41csrgemm_numeric_fill_block_per_row_kernelILj1024ELj64ELj32768ELj137ELj64Eli21rocsparse_complex_numIfEEEvT5_PKS3_S5_NS_24const_host_device_scalarIT6_EEPKT4_S5_PKS7_SB_S5_SD_S8_SB_S5_SD_SB_S5_PS7_21rocsparse_index_base_SF_SF_SF_bbb
; %bb.0:
	s_load_dwordx2 s[40:41], s[0:1], 0x70
	s_load_dwordx4 s[24:27], s[0:1], 0x60
	s_load_dwordx8 s[8:15], s[0:1], 0x40
	s_load_dword s3, s[0:1], 0x98
	s_load_dwordx4 s[28:31], s[0:1], 0x8
	s_load_dwordx8 s[16:23], s[0:1], 0x20
	s_load_dwordx2 s[34:35], s[0:1], 0x80
	s_load_dwordx4 s[36:39], s[0:1], 0x88
	s_waitcnt lgkmcnt(0)
	s_bitcmp1_b32 s3, 0
	s_cselect_b64 s[46:47], -1, 0
	s_bitcmp1_b32 s3, 16
	s_cselect_b64 s[4:5], -1, 0
	s_xor_b64 s[4:5], s[4:5], -1
	v_cndmask_b32_e64 v1, 0, 1, s[4:5]
	s_mov_b32 s7, 0
	s_bitcmp0_b32 s3, 0
	v_cmp_ne_u32_e64 s[4:5], 1, v1
	s_mov_b32 s54, 0
	s_cbranch_scc1 .LBB217_5
; %bb.1:
	s_load_dwordx2 s[6:7], s[0:1], 0x18
	s_and_b64 vcc, exec, s[4:5]
	s_waitcnt lgkmcnt(0)
	s_mov_b32 s54, s6
	s_cbranch_vccnz .LBB217_3
; %bb.2:
	s_load_dword s54, s[6:7], 0x0
.LBB217_3:
	s_and_b64 vcc, exec, s[4:5]
	s_cbranch_vccnz .LBB217_5
; %bb.4:
	s_load_dword s7, s[6:7], 0x4
.LBB217_5:
	s_bitcmp1_b32 s3, 8
	s_cselect_b64 s[44:45], -1, 0
	s_bfe_u32 s3, s3, 0x10008
	s_mov_b32 s52, 0
	s_cmp_eq_u32 s3, 0
	s_mov_b32 s53, 0
	s_cbranch_scc1 .LBB217_11
; %bb.6:
	s_and_b64 vcc, exec, s[4:5]
	s_mov_b32 s52, s12
	s_cbranch_vccnz .LBB217_8
; %bb.7:
	s_load_dword s52, s[12:13], 0x0
.LBB217_8:
	s_and_b64 vcc, exec, s[4:5]
	s_cbranch_vccnz .LBB217_10
; %bb.9:
	s_load_dword s13, s[12:13], 0x4
.LBB217_10:
	s_waitcnt lgkmcnt(0)
	s_mov_b32 s53, s13
.LBB217_11:
	s_load_dword s33, s[0:1], 0x0
	v_lshl_add_u32 v2, v0, 3, 0
	v_or_b32_e32 v1, 0xfffffc00, v0
	v_add_u32_e32 v12, 0x20000, v2
	v_lshl_add_u32 v13, v0, 2, 0
	s_mov_b64 s[0:1], 0
	s_waitcnt lgkmcnt(0)
	v_mov_b32_e32 v6, s33
	v_mov_b32_e32 v2, 0
	s_movk_i32 s3, 0x7bff
	v_mov_b32_e32 v3, v13
	v_mov_b32_e32 v4, v12
	;; [unrolled: 1-line block ×3, first 2 shown]
.LBB217_12:                             ; =>This Inner Loop Header: Depth=1
	v_add_u32_e32 v5, 0x400, v5
	v_cmp_lt_u32_e32 vcc, s3, v5
	ds_write_b32 v3, v6
	ds_write2_b32 v4, v2, v2 offset1:1
	v_add_u32_e32 v4, 0x2000, v4
	s_or_b64 s[0:1], vcc, s[0:1]
	v_add_u32_e32 v3, 0x1000, v3
	s_andn2_b64 exec, exec, s[0:1]
	s_cbranch_execnz .LBB217_12
; %bb.13:
	s_or_b64 exec, exec, s[0:1]
	s_waitcnt lgkmcnt(0)
	s_barrier
	s_load_dword s0, s[28:29], 0x0
	s_mov_b32 s1, 0
	v_lshrrev_b32_e32 v14, 6, v0
	s_waitcnt lgkmcnt(0)
	s_add_i32 s0, s0, s2
	s_lshl_b64 s[0:1], s[0:1], 2
	s_add_u32 s0, s30, s0
	s_addc_u32 s1, s31, s1
	s_load_dword s42, s[0:1], 0x0
	s_and_b64 vcc, exec, s[46:47]
	s_cbranch_vccz .LBB217_31
; %bb.14:
	s_waitcnt lgkmcnt(0)
	s_ashr_i32 s43, s42, 31
	s_lshl_b64 s[0:1], s[42:43], 3
	s_add_u32 s0, s16, s0
	s_addc_u32 s1, s17, s1
	s_load_dwordx4 s[28:31], s[0:1], 0x0
	v_subrev_co_u32_e32 v2, vcc, s36, v14
	s_nop 1
	v_subb_co_u32_e64 v3, s[0:1], 0, 0, vcc
	s_waitcnt lgkmcnt(0)
	s_sub_u32 s0, s30, s36
	s_subb_u32 s1, s31, 0
	v_lshl_add_u64 v[2:3], s[28:29], 0, v[2:3]
	v_cmp_gt_i64_e32 vcc, s[0:1], v[2:3]
	s_and_saveexec_b64 s[2:3], vcc
	s_cbranch_execz .LBB217_30
; %bb.15:
	v_and_b32_e32 v4, 63, v0
	v_subrev_co_u32_e32 v4, vcc, s37, v4
	s_mov_b32 s6, s37
	s_nop 0
	v_subb_co_u32_e64 v5, s[4:5], 0, 0, vcc
	s_mov_b64 s[4:5], 0
	s_movk_i32 s43, 0x89
	s_branch .LBB217_17
.LBB217_16:                             ;   in Loop: Header=BB217_17 Depth=1
	s_or_b64 exec, exec, s[12:13]
	v_lshl_add_u64 v[2:3], v[2:3], 0, 16
	v_cmp_le_i64_e32 vcc, s[0:1], v[2:3]
	s_or_b64 s[4:5], vcc, s[4:5]
	s_andn2_b64 exec, exec, s[4:5]
	s_cbranch_execz .LBB217_30
.LBB217_17:                             ; =>This Loop Header: Depth=1
                                        ;     Child Loop BB217_21 Depth 2
                                        ;       Child Loop BB217_24 Depth 3
	v_lshl_add_u64 v[6:7], v[2:3], 2, s[18:19]
	global_load_dword v6, v[6:7], off
	s_waitcnt vmcnt(0)
	v_subrev_u32_e32 v6, s36, v6
	v_ashrrev_i32_e32 v7, 31, v6
	v_lshl_add_u64 v[6:7], v[6:7], 3, s[22:23]
	global_load_dwordx4 v[8:11], v[6:7], off
	s_waitcnt vmcnt(0)
	v_subrev_co_u32_e32 v6, vcc, s6, v10
	s_nop 1
	v_subbrev_co_u32_e32 v7, vcc, 0, v11, vcc
	v_lshl_add_u64 v[8:9], v[8:9], 0, v[4:5]
	v_cmp_lt_i64_e32 vcc, v[8:9], v[6:7]
	s_and_saveexec_b64 s[12:13], vcc
	s_cbranch_execz .LBB217_16
; %bb.18:                               ;   in Loop: Header=BB217_17 Depth=1
	v_lshl_add_u64 v[10:11], v[2:3], 3, s[20:21]
	global_load_dwordx2 v[10:11], v[10:11], off
	s_mov_b64 s[16:17], 0
	s_waitcnt vmcnt(0)
	v_mul_f32_e64 v15, v11, -s7
	v_mul_f32_e32 v16, s54, v11
	v_fmac_f32_e32 v15, s54, v10
	v_fmac_f32_e32 v16, s7, v10
	s_branch .LBB217_21
.LBB217_19:                             ;   in Loop: Header=BB217_21 Depth=2
	s_or_b64 exec, exec, s[30:31]
.LBB217_20:                             ;   in Loop: Header=BB217_21 Depth=2
	s_or_b64 exec, exec, s[28:29]
	s_waitcnt vmcnt(0)
	v_mul_f32_e64 v18, v11, -v16
	v_mul_f32_e32 v11, v15, v11
	v_fmac_f32_e32 v18, v15, v10
	v_fmac_f32_e32 v11, v16, v10
	v_lshl_add_u32 v10, v17, 3, 0
	v_add_u32_e32 v10, 0x20000, v10
	ds_add_f32 v10, v18
	ds_add_f32 v10, v11 offset:4
	v_lshl_add_u64 v[8:9], v[8:9], 0, 64
	v_cmp_ge_i64_e32 vcc, v[8:9], v[6:7]
	s_or_b64 s[16:17], vcc, s[16:17]
	s_andn2_b64 exec, exec, s[16:17]
	s_cbranch_execz .LBB217_16
.LBB217_21:                             ;   Parent Loop BB217_17 Depth=1
                                        ; =>  This Loop Header: Depth=2
                                        ;       Child Loop BB217_24 Depth 3
	v_lshl_add_u64 v[10:11], v[8:9], 2, s[8:9]
	global_load_dword v17, v[10:11], off
	v_lshl_add_u64 v[10:11], v[8:9], 3, s[10:11]
	global_load_dwordx2 v[10:11], v[10:11], off
	s_waitcnt vmcnt(1)
	v_subrev_u32_e32 v18, s37, v17
	v_mul_lo_u32 v17, v18, s43
	v_and_b32_e32 v17, 0x7fff, v17
	v_lshl_add_u32 v19, v17, 2, 0
	ds_read_b32 v20, v19
	s_waitcnt lgkmcnt(0)
	v_cmp_ne_u32_e32 vcc, v20, v18
	s_and_saveexec_b64 s[28:29], vcc
	s_cbranch_execz .LBB217_20
; %bb.22:                               ;   in Loop: Header=BB217_21 Depth=2
	s_mov_b64 s[30:31], 0
	s_branch .LBB217_24
.LBB217_23:                             ;   in Loop: Header=BB217_24 Depth=3
	s_or_b64 exec, exec, s[50:51]
	s_and_b64 s[46:47], exec, s[48:49]
	s_or_b64 s[30:31], s[46:47], s[30:31]
	s_andn2_b64 exec, exec, s[30:31]
	s_cbranch_execz .LBB217_19
.LBB217_24:                             ;   Parent Loop BB217_17 Depth=1
                                        ;     Parent Loop BB217_21 Depth=2
                                        ; =>    This Inner Loop Header: Depth=3
	v_cmp_ne_u32_e32 vcc, s33, v20
	s_mov_b64 s[46:47], 0
	s_and_saveexec_b64 s[48:49], vcc
	s_xor_b64 s[48:49], exec, s[48:49]
	s_cbranch_execz .LBB217_26
; %bb.25:                               ;   in Loop: Header=BB217_24 Depth=3
	v_add_u32_e32 v17, 1, v17
	s_mov_b64 s[46:47], exec
	v_and_b32_e32 v17, 0x7fff, v17
                                        ; implicit-def: $vgpr19
	s_andn2_saveexec_b64 s[48:49], s[48:49]
	s_cbranch_execz .LBB217_28
	s_branch .LBB217_27
.LBB217_26:                             ;   in Loop: Header=BB217_24 Depth=3
	s_andn2_saveexec_b64 s[48:49], s[48:49]
	s_cbranch_execz .LBB217_28
.LBB217_27:                             ;   in Loop: Header=BB217_24 Depth=3
	v_mov_b32_e32 v20, s33
	ds_cmpst_rtn_b32 v19, v19, v20, v18
	s_andn2_b64 s[46:47], s[46:47], exec
	s_waitcnt lgkmcnt(0)
	v_cmp_ne_u32_e32 vcc, s33, v19
	s_and_b64 s[50:51], vcc, exec
	s_or_b64 s[46:47], s[46:47], s[50:51]
.LBB217_28:                             ;   in Loop: Header=BB217_24 Depth=3
	s_or_b64 exec, exec, s[48:49]
	s_mov_b64 s[48:49], -1
                                        ; implicit-def: $vgpr19
                                        ; implicit-def: $vgpr20
	s_and_saveexec_b64 s[50:51], s[46:47]
	s_cbranch_execz .LBB217_23
; %bb.29:                               ;   in Loop: Header=BB217_24 Depth=3
	v_lshl_add_u32 v19, v17, 2, 0
	ds_read_b32 v20, v19
	s_waitcnt lgkmcnt(0)
	v_cmp_eq_u32_e32 vcc, v20, v18
	s_orn2_b64 s[48:49], vcc, exec
	s_branch .LBB217_23
.LBB217_30:
	s_or_b64 exec, exec, s[2:3]
.LBB217_31:
	s_andn2_b64 vcc, exec, s[44:45]
	s_cbranch_vccnz .LBB217_46
; %bb.32:
	s_waitcnt lgkmcnt(0)
	s_ashr_i32 s43, s42, 31
	s_lshl_b64 s[0:1], s[42:43], 3
	s_add_u32 s0, s14, s0
	s_addc_u32 s1, s15, s1
	s_load_dwordx4 s[4:7], s[0:1], 0x0
	v_subrev_co_u32_e32 v2, vcc, s39, v0
	s_nop 1
	v_subb_co_u32_e64 v3, s[0:1], 0, 0, vcc
	s_waitcnt lgkmcnt(0)
	s_sub_u32 s0, s6, s39
	s_subb_u32 s1, s7, 0
	v_lshl_add_u64 v[2:3], s[4:5], 0, v[2:3]
	v_cmp_gt_i64_e32 vcc, s[0:1], v[2:3]
	s_and_saveexec_b64 s[2:3], vcc
	s_cbranch_execz .LBB217_45
; %bb.33:
	s_mov_b64 s[4:5], 0
	s_movk_i32 s18, 0x89
	s_mov_b64 s[6:7], 0x400
	s_branch .LBB217_36
.LBB217_34:                             ;   in Loop: Header=BB217_36 Depth=1
	s_or_b64 exec, exec, s[10:11]
.LBB217_35:                             ;   in Loop: Header=BB217_36 Depth=1
	s_or_b64 exec, exec, s[8:9]
	s_waitcnt vmcnt(0)
	v_mul_f32_e64 v7, v5, -s53
	v_mul_f32_e32 v5, s52, v5
	v_fmac_f32_e32 v7, s52, v4
	v_fmac_f32_e32 v5, s53, v4
	v_lshl_add_u32 v4, v6, 3, 0
	v_add_u32_e32 v4, 0x20000, v4
	ds_add_f32 v4, v7
	ds_add_f32 v4, v5 offset:4
	v_lshl_add_u64 v[2:3], v[2:3], 0, s[6:7]
	v_cmp_le_i64_e32 vcc, s[0:1], v[2:3]
	s_or_b64 s[4:5], vcc, s[4:5]
	s_andn2_b64 exec, exec, s[4:5]
	s_cbranch_execz .LBB217_45
.LBB217_36:                             ; =>This Loop Header: Depth=1
                                        ;     Child Loop BB217_39 Depth 2
	v_lshl_add_u64 v[4:5], v[2:3], 2, s[24:25]
	global_load_dword v6, v[4:5], off
	v_lshl_add_u64 v[4:5], v[2:3], 3, s[26:27]
	global_load_dwordx2 v[4:5], v[4:5], off
	s_waitcnt vmcnt(1)
	v_subrev_u32_e32 v7, s39, v6
	v_mul_lo_u32 v6, v7, s18
	v_and_b32_e32 v6, 0x7fff, v6
	v_lshl_add_u32 v8, v6, 2, 0
	ds_read_b32 v9, v8
	s_waitcnt lgkmcnt(0)
	v_cmp_ne_u32_e32 vcc, v9, v7
	s_and_saveexec_b64 s[8:9], vcc
	s_cbranch_execz .LBB217_35
; %bb.37:                               ;   in Loop: Header=BB217_36 Depth=1
	s_mov_b64 s[10:11], 0
	s_branch .LBB217_39
.LBB217_38:                             ;   in Loop: Header=BB217_39 Depth=2
	s_or_b64 exec, exec, s[16:17]
	s_and_b64 s[12:13], exec, s[14:15]
	s_or_b64 s[10:11], s[12:13], s[10:11]
	s_andn2_b64 exec, exec, s[10:11]
	s_cbranch_execz .LBB217_34
.LBB217_39:                             ;   Parent Loop BB217_36 Depth=1
                                        ; =>  This Inner Loop Header: Depth=2
	v_cmp_ne_u32_e32 vcc, s33, v9
	s_mov_b64 s[12:13], 0
	s_and_saveexec_b64 s[14:15], vcc
	s_xor_b64 s[14:15], exec, s[14:15]
	s_cbranch_execz .LBB217_41
; %bb.40:                               ;   in Loop: Header=BB217_39 Depth=2
	v_add_u32_e32 v6, 1, v6
	s_mov_b64 s[12:13], exec
	v_and_b32_e32 v6, 0x7fff, v6
                                        ; implicit-def: $vgpr8
	s_andn2_saveexec_b64 s[14:15], s[14:15]
	s_cbranch_execz .LBB217_43
	s_branch .LBB217_42
.LBB217_41:                             ;   in Loop: Header=BB217_39 Depth=2
	s_andn2_saveexec_b64 s[14:15], s[14:15]
	s_cbranch_execz .LBB217_43
.LBB217_42:                             ;   in Loop: Header=BB217_39 Depth=2
	v_mov_b32_e32 v9, s33
	ds_cmpst_rtn_b32 v8, v8, v9, v7
	s_andn2_b64 s[12:13], s[12:13], exec
	s_waitcnt lgkmcnt(0)
	v_cmp_ne_u32_e32 vcc, s33, v8
	s_and_b64 s[16:17], vcc, exec
	s_or_b64 s[12:13], s[12:13], s[16:17]
.LBB217_43:                             ;   in Loop: Header=BB217_39 Depth=2
	s_or_b64 exec, exec, s[14:15]
	s_mov_b64 s[14:15], -1
                                        ; implicit-def: $vgpr8
                                        ; implicit-def: $vgpr9
	s_and_saveexec_b64 s[16:17], s[12:13]
	s_cbranch_execz .LBB217_38
; %bb.44:                               ;   in Loop: Header=BB217_39 Depth=2
	v_lshl_add_u32 v8, v6, 2, 0
	ds_read_b32 v9, v8
	s_waitcnt lgkmcnt(0)
	v_cmp_eq_u32_e32 vcc, v9, v7
	s_orn2_b64 s[14:15], vcc, exec
	s_branch .LBB217_38
.LBB217_45:
	s_or_b64 exec, exec, s[2:3]
.LBB217_46:
	v_mbcnt_lo_u32_b32 v2, -1, 0
	v_mbcnt_hi_u32_b32 v2, -1, v2
	v_sub_u32_e32 v2, 63, v2
	s_add_i32 s39, 0, 0x60000
	s_movk_i32 s0, 0x3ff
	s_movk_i32 s2, 0x7f
	;; [unrolled: 1-line block ×15, first 2 shown]
	s_add_i32 s59, 0, 0x6003c
	v_lshrrev_b64 v[2:3], v2, -1
	v_lshl_add_u32 v6, v14, 2, s39
	v_cmp_eq_u32_e32 vcc, s0, v0
	v_cmp_lt_u32_e64 s[0:1], 63, v0
	v_cmp_lt_u32_e64 s[2:3], s2, v0
	;; [unrolled: 1-line block ×15, first 2 shown]
	s_mov_b64 s[36:37], 0
	v_mov_b32_e32 v7, 0
	s_add_i32 s43, 0, 0x60004
	s_add_i32 s46, 0, 0x60008
	;; [unrolled: 1-line block ×14, first 2 shown]
	v_mov_b32_e32 v8, s59
	s_movk_i32 s60, 0x7bff
	s_waitcnt lgkmcnt(0)
	s_barrier
	s_branch .LBB217_48
.LBB217_47:                             ;   in Loop: Header=BB217_48 Depth=1
	s_or_b64 exec, exec, s[30:31]
	s_waitcnt lgkmcnt(0)
	s_barrier
	ds_read_b32 v4, v8
	v_add_u32_e32 v1, 0x400, v1
	v_cmp_lt_u32_e64 s[30:31], s60, v1
	v_add_u32_e32 v12, 0x2000, v12
	s_or_b64 s[36:37], s[30:31], s[36:37]
	s_waitcnt lgkmcnt(0)
	v_add_u32_e32 v7, v4, v7
	v_add_u32_e32 v13, 0x1000, v13
	s_andn2_b64 exec, exec, s[36:37]
	s_cbranch_execz .LBB217_82
.LBB217_48:                             ; =>This Inner Loop Header: Depth=1
	ds_read_b32 v9, v13
	ds_read2_b32 v[4:5], v12 offset1:1
	s_waitcnt lgkmcnt(0)
	s_barrier
	v_cmp_gt_i32_e64 s[30:31], s33, v9
	s_bcnt1_i32_b64 s44, s[30:31]
	s_nop 0
	v_and_b32_e32 v11, s30, v2
	v_and_b32_e32 v10, s31, v3
	v_bcnt_u32_b32 v11, v11, 0
	v_bcnt_u32_b32 v10, v10, v11
	v_mov_b32_e32 v11, s44
	ds_write_b32 v6, v11
	s_waitcnt lgkmcnt(0)
	s_barrier
	s_and_saveexec_b64 s[44:45], s[0:1]
	s_cbranch_execz .LBB217_65
; %bb.49:                               ;   in Loop: Header=BB217_48 Depth=1
	v_mov_b32_e32 v11, s39
	ds_read_b32 v11, v11
	s_waitcnt lgkmcnt(0)
	v_add_u32_e32 v10, v11, v10
	s_or_b64 exec, exec, s[44:45]
	s_and_saveexec_b64 s[44:45], s[2:3]
	s_cbranch_execnz .LBB217_66
.LBB217_50:                             ;   in Loop: Header=BB217_48 Depth=1
	s_or_b64 exec, exec, s[44:45]
	s_and_saveexec_b64 s[44:45], s[4:5]
	s_cbranch_execz .LBB217_67
.LBB217_51:                             ;   in Loop: Header=BB217_48 Depth=1
	v_mov_b32_e32 v11, s46
	ds_read_b32 v11, v11
	s_waitcnt lgkmcnt(0)
	v_add_u32_e32 v10, v11, v10
	s_or_b64 exec, exec, s[44:45]
	s_and_saveexec_b64 s[44:45], s[6:7]
	s_cbranch_execnz .LBB217_68
.LBB217_52:                             ;   in Loop: Header=BB217_48 Depth=1
	s_or_b64 exec, exec, s[44:45]
	s_and_saveexec_b64 s[44:45], s[8:9]
	s_cbranch_execz .LBB217_69
.LBB217_53:                             ;   in Loop: Header=BB217_48 Depth=1
	v_mov_b32_e32 v11, s48
	ds_read_b32 v11, v11
	s_waitcnt lgkmcnt(0)
	v_add_u32_e32 v10, v11, v10
	s_or_b64 exec, exec, s[44:45]
	s_and_saveexec_b64 s[44:45], s[10:11]
	s_cbranch_execnz .LBB217_70
.LBB217_54:                             ;   in Loop: Header=BB217_48 Depth=1
	s_or_b64 exec, exec, s[44:45]
	s_and_saveexec_b64 s[44:45], s[12:13]
	s_cbranch_execz .LBB217_71
.LBB217_55:                             ;   in Loop: Header=BB217_48 Depth=1
	v_mov_b32_e32 v11, s50
	ds_read_b32 v11, v11
	s_waitcnt lgkmcnt(0)
	v_add_u32_e32 v10, v11, v10
	s_or_b64 exec, exec, s[44:45]
	s_and_saveexec_b64 s[44:45], s[14:15]
	s_cbranch_execnz .LBB217_72
.LBB217_56:                             ;   in Loop: Header=BB217_48 Depth=1
	s_or_b64 exec, exec, s[44:45]
	s_and_saveexec_b64 s[44:45], s[16:17]
	s_cbranch_execz .LBB217_73
.LBB217_57:                             ;   in Loop: Header=BB217_48 Depth=1
	v_mov_b32_e32 v11, s52
	ds_read_b32 v11, v11
	s_waitcnt lgkmcnt(0)
	v_add_u32_e32 v10, v11, v10
	s_or_b64 exec, exec, s[44:45]
	s_and_saveexec_b64 s[44:45], s[18:19]
	s_cbranch_execnz .LBB217_74
.LBB217_58:                             ;   in Loop: Header=BB217_48 Depth=1
	s_or_b64 exec, exec, s[44:45]
	s_and_saveexec_b64 s[44:45], s[20:21]
	s_cbranch_execz .LBB217_75
.LBB217_59:                             ;   in Loop: Header=BB217_48 Depth=1
	v_mov_b32_e32 v11, s54
	ds_read_b32 v11, v11
	s_waitcnt lgkmcnt(0)
	v_add_u32_e32 v10, v11, v10
	s_or_b64 exec, exec, s[44:45]
	s_and_saveexec_b64 s[44:45], s[22:23]
	s_cbranch_execnz .LBB217_76
.LBB217_60:                             ;   in Loop: Header=BB217_48 Depth=1
	s_or_b64 exec, exec, s[44:45]
	s_and_saveexec_b64 s[44:45], s[24:25]
	s_cbranch_execz .LBB217_77
.LBB217_61:                             ;   in Loop: Header=BB217_48 Depth=1
	v_mov_b32_e32 v11, s56
	ds_read_b32 v11, v11
	s_waitcnt lgkmcnt(0)
	v_add_u32_e32 v10, v11, v10
	s_or_b64 exec, exec, s[44:45]
	s_and_saveexec_b64 s[44:45], s[26:27]
	s_cbranch_execnz .LBB217_78
.LBB217_62:                             ;   in Loop: Header=BB217_48 Depth=1
	s_or_b64 exec, exec, s[44:45]
	s_and_saveexec_b64 s[44:45], s[28:29]
	s_cbranch_execz .LBB217_79
.LBB217_63:                             ;   in Loop: Header=BB217_48 Depth=1
	v_mov_b32_e32 v11, s58
	ds_read_b32 v11, v11
	s_waitcnt lgkmcnt(0)
	v_add_u32_e32 v10, v11, v10
	s_or_b64 exec, exec, s[44:45]
	s_and_saveexec_b64 s[44:45], s[30:31]
	s_cbranch_execnz .LBB217_80
.LBB217_64:                             ;   in Loop: Header=BB217_48 Depth=1
	s_or_b64 exec, exec, s[44:45]
	s_and_saveexec_b64 s[30:31], vcc
	s_cbranch_execz .LBB217_47
	s_branch .LBB217_81
.LBB217_65:                             ;   in Loop: Header=BB217_48 Depth=1
	s_or_b64 exec, exec, s[44:45]
	s_and_saveexec_b64 s[44:45], s[2:3]
	s_cbranch_execz .LBB217_50
.LBB217_66:                             ;   in Loop: Header=BB217_48 Depth=1
	v_mov_b32_e32 v11, s43
	ds_read_b32 v11, v11
	s_waitcnt lgkmcnt(0)
	v_add_u32_e32 v10, v11, v10
	s_or_b64 exec, exec, s[44:45]
	s_and_saveexec_b64 s[44:45], s[4:5]
	s_cbranch_execnz .LBB217_51
.LBB217_67:                             ;   in Loop: Header=BB217_48 Depth=1
	s_or_b64 exec, exec, s[44:45]
	s_and_saveexec_b64 s[44:45], s[6:7]
	s_cbranch_execz .LBB217_52
.LBB217_68:                             ;   in Loop: Header=BB217_48 Depth=1
	v_mov_b32_e32 v11, s47
	ds_read_b32 v11, v11
	s_waitcnt lgkmcnt(0)
	v_add_u32_e32 v10, v11, v10
	s_or_b64 exec, exec, s[44:45]
	s_and_saveexec_b64 s[44:45], s[8:9]
	s_cbranch_execnz .LBB217_53
.LBB217_69:                             ;   in Loop: Header=BB217_48 Depth=1
	s_or_b64 exec, exec, s[44:45]
	s_and_saveexec_b64 s[44:45], s[10:11]
	s_cbranch_execz .LBB217_54
.LBB217_70:                             ;   in Loop: Header=BB217_48 Depth=1
	v_mov_b32_e32 v11, s49
	ds_read_b32 v11, v11
	s_waitcnt lgkmcnt(0)
	v_add_u32_e32 v10, v11, v10
	s_or_b64 exec, exec, s[44:45]
	s_and_saveexec_b64 s[44:45], s[12:13]
	s_cbranch_execnz .LBB217_55
.LBB217_71:                             ;   in Loop: Header=BB217_48 Depth=1
	s_or_b64 exec, exec, s[44:45]
	s_and_saveexec_b64 s[44:45], s[14:15]
	s_cbranch_execz .LBB217_56
.LBB217_72:                             ;   in Loop: Header=BB217_48 Depth=1
	v_mov_b32_e32 v11, s51
	ds_read_b32 v11, v11
	s_waitcnt lgkmcnt(0)
	v_add_u32_e32 v10, v11, v10
	s_or_b64 exec, exec, s[44:45]
	s_and_saveexec_b64 s[44:45], s[16:17]
	s_cbranch_execnz .LBB217_57
.LBB217_73:                             ;   in Loop: Header=BB217_48 Depth=1
	s_or_b64 exec, exec, s[44:45]
	s_and_saveexec_b64 s[44:45], s[18:19]
	s_cbranch_execz .LBB217_58
.LBB217_74:                             ;   in Loop: Header=BB217_48 Depth=1
	v_mov_b32_e32 v11, s53
	ds_read_b32 v11, v11
	s_waitcnt lgkmcnt(0)
	v_add_u32_e32 v10, v11, v10
	s_or_b64 exec, exec, s[44:45]
	s_and_saveexec_b64 s[44:45], s[20:21]
	s_cbranch_execnz .LBB217_59
.LBB217_75:                             ;   in Loop: Header=BB217_48 Depth=1
	s_or_b64 exec, exec, s[44:45]
	s_and_saveexec_b64 s[44:45], s[22:23]
	s_cbranch_execz .LBB217_60
.LBB217_76:                             ;   in Loop: Header=BB217_48 Depth=1
	v_mov_b32_e32 v11, s55
	ds_read_b32 v11, v11
	s_waitcnt lgkmcnt(0)
	v_add_u32_e32 v10, v11, v10
	s_or_b64 exec, exec, s[44:45]
	s_and_saveexec_b64 s[44:45], s[24:25]
	s_cbranch_execnz .LBB217_61
.LBB217_77:                             ;   in Loop: Header=BB217_48 Depth=1
	s_or_b64 exec, exec, s[44:45]
	s_and_saveexec_b64 s[44:45], s[26:27]
	s_cbranch_execz .LBB217_62
.LBB217_78:                             ;   in Loop: Header=BB217_48 Depth=1
	v_mov_b32_e32 v11, s57
	ds_read_b32 v11, v11
	s_waitcnt lgkmcnt(0)
	v_add_u32_e32 v10, v11, v10
	s_or_b64 exec, exec, s[44:45]
	s_and_saveexec_b64 s[44:45], s[28:29]
	s_cbranch_execnz .LBB217_63
.LBB217_79:                             ;   in Loop: Header=BB217_48 Depth=1
	s_or_b64 exec, exec, s[44:45]
	s_and_saveexec_b64 s[44:45], s[30:31]
	s_cbranch_execz .LBB217_64
.LBB217_80:                             ;   in Loop: Header=BB217_48 Depth=1
	v_add3_u32 v11, v7, -1, v10
	v_lshl_add_u32 v14, v11, 2, 0
	v_lshl_add_u32 v11, v11, 3, 0
	v_add_u32_e32 v11, 0x20000, v11
	ds_write_b32 v14, v9
	ds_write2_b32 v11, v4, v5 offset1:1
	s_or_b64 exec, exec, s[44:45]
	s_and_saveexec_b64 s[30:31], vcc
	s_cbranch_execz .LBB217_47
.LBB217_81:                             ;   in Loop: Header=BB217_48 Depth=1
	v_mov_b32_e32 v4, s59
	ds_write_b32 v4, v10
	s_branch .LBB217_47
.LBB217_82:
	s_or_b64 exec, exec, s[36:37]
	s_ashr_i32 s43, s42, 31
	s_lshl_b64 s[0:1], s[42:43], 3
	s_add_u32 s4, s40, s0
	s_addc_u32 s5, s41, s1
	s_load_dwordx4 s[0:3], s[4:5], 0x0
	s_waitcnt lgkmcnt(0)
	s_sub_i32 s8, s2, s0
	v_cmp_gt_i32_e32 vcc, s8, v0
	s_and_saveexec_b64 s[4:5], vcc
	s_cbranch_execz .LBB217_92
; %bb.83:
	s_sub_u32 s4, s0, s38
	s_subb_u32 s5, s1, 0
	s_and_b32 s10, s8, 7
	s_sub_i32 s0, s0, s2
	s_cmp_lt_u32 s0, -7
	s_cselect_b64 s[0:1], -1, 0
	s_and_b32 s11, s8, -8
	s_cmp_lg_u32 s10, 0
	v_cndmask_b32_e64 v1, 0, 1, s[0:1]
	s_cselect_b64 s[2:3], -1, 0
	v_cmp_ne_u32_e64 s[0:1], 1, v1
	v_cndmask_b32_e64 v1, 0, 1, s[2:3]
	s_mov_b32 s9, 0
	s_mov_b64 s[6:7], 0
	v_cmp_ne_u32_e64 s[2:3], 1, v1
	s_branch .LBB217_85
.LBB217_84:                             ;   in Loop: Header=BB217_85 Depth=1
	v_add_u32_e32 v0, 0x400, v0
	v_cmp_le_i32_e32 vcc, s8, v0
	v_lshl_add_u64 v[4:5], v[4:5], 3, s[34:35]
	s_or_b64 s[6:7], vcc, s[6:7]
	s_waitcnt lgkmcnt(0)
	global_store_dwordx2 v[4:5], v[2:3], off
	s_andn2_b64 exec, exec, s[6:7]
	s_cbranch_execz .LBB217_92
.LBB217_85:                             ; =>This Loop Header: Depth=1
                                        ;     Child Loop BB217_87 Depth 2
                                        ;     Child Loop BB217_91 Depth 2
	v_lshl_add_u32 v2, v0, 3, 0
	v_lshl_add_u32 v1, v0, 2, 0
	v_add_u32_e32 v2, 0x20000, v2
	ds_read_b32 v1, v1
	ds_read2_b32 v[2:3], v2 offset1:1
	s_and_b64 vcc, exec, s[0:1]
	v_mov_b64_e32 v[4:5], s[4:5]
	s_mov_b32 s12, 0
	s_cbranch_vccnz .LBB217_89
; %bb.86:                               ;   in Loop: Header=BB217_85 Depth=1
	s_mov_b32 s13, 0
	v_mov_b64_e32 v[4:5], s[4:5]
.LBB217_87:                             ;   Parent Loop BB217_85 Depth=1
                                        ; =>  This Inner Loop Header: Depth=2
	v_mov_b32_e32 v6, s13
	ds_read2_b32 v[22:23], v6 offset1:1
	ds_read2_b32 v[24:25], v6 offset0:2 offset1:3
	ds_read2_b32 v[26:27], v6 offset0:4 offset1:5
	;; [unrolled: 1-line block ×3, first 2 shown]
	v_mov_b32_e32 v7, s9
	s_waitcnt lgkmcnt(3)
	v_cmp_gt_i32_e32 vcc, v1, v22
	v_mov_b32_e32 v9, s9
	v_mov_b32_e32 v11, s9
	v_cndmask_b32_e64 v6, 0, 1, vcc
	v_cmp_gt_i32_e32 vcc, v1, v23
	v_lshl_add_u64 v[4:5], v[4:5], 0, v[6:7]
	v_mov_b32_e32 v13, s9
	v_cndmask_b32_e64 v8, 0, 1, vcc
	s_waitcnt lgkmcnt(2)
	v_cmp_gt_i32_e32 vcc, v1, v24
	v_lshl_add_u64 v[4:5], v[4:5], 0, v[8:9]
	v_mov_b32_e32 v15, s9
	v_cndmask_b32_e64 v10, 0, 1, vcc
	v_cmp_gt_i32_e32 vcc, v1, v25
	v_lshl_add_u64 v[4:5], v[4:5], 0, v[10:11]
	v_mov_b32_e32 v17, s9
	v_cndmask_b32_e64 v12, 0, 1, vcc
	s_waitcnt lgkmcnt(1)
	v_cmp_gt_i32_e32 vcc, v1, v26
	v_lshl_add_u64 v[4:5], v[4:5], 0, v[12:13]
	;; [unrolled: 9-line block ×3, first 2 shown]
	s_add_i32 s12, s12, 8
	v_cndmask_b32_e64 v18, 0, 1, vcc
	v_cmp_gt_i32_e32 vcc, v1, v29
	s_add_i32 s13, s13, 32
	v_lshl_add_u64 v[4:5], v[4:5], 0, v[18:19]
	v_cndmask_b32_e64 v20, 0, 1, vcc
	s_cmp_eq_u32 s11, s12
	v_lshl_add_u64 v[4:5], v[4:5], 0, v[20:21]
	s_cbranch_scc0 .LBB217_87
; %bb.88:                               ;   in Loop: Header=BB217_85 Depth=1
	s_mov_b32 s12, s11
.LBB217_89:                             ;   in Loop: Header=BB217_85 Depth=1
	s_and_b64 vcc, exec, s[2:3]
	s_cbranch_vccnz .LBB217_84
; %bb.90:                               ;   in Loop: Header=BB217_85 Depth=1
	s_lshl_b32 s12, s12, 2
	s_add_i32 s12, s12, 0
	s_mov_b32 s13, s10
.LBB217_91:                             ;   Parent Loop BB217_85 Depth=1
                                        ; =>  This Inner Loop Header: Depth=2
	v_mov_b32_e32 v6, s12
	ds_read_b32 v6, v6
	v_mov_b32_e32 v7, s9
	s_add_i32 s12, s12, 4
	s_add_i32 s13, s13, -1
	s_cmp_lg_u32 s13, 0
	s_waitcnt lgkmcnt(0)
	v_cmp_gt_i32_e32 vcc, v1, v6
	s_nop 1
	v_cndmask_b32_e64 v6, 0, 1, vcc
	v_lshl_add_u64 v[4:5], v[4:5], 0, v[6:7]
	s_cbranch_scc1 .LBB217_91
	s_branch .LBB217_84
.LBB217_92:
	s_endpgm
	.section	.rodata,"a",@progbits
	.p2align	6, 0x0
	.amdhsa_kernel _ZN9rocsparseL41csrgemm_numeric_fill_block_per_row_kernelILj1024ELj64ELj32768ELj137ELj64Eli21rocsparse_complex_numIfEEEvT5_PKS3_S5_NS_24const_host_device_scalarIT6_EEPKT4_S5_PKS7_SB_S5_SD_S8_SB_S5_SD_SB_S5_PS7_21rocsparse_index_base_SF_SF_SF_bbb
		.amdhsa_group_segment_fixed_size 0
		.amdhsa_private_segment_fixed_size 0
		.amdhsa_kernarg_size 156
		.amdhsa_user_sgpr_count 2
		.amdhsa_user_sgpr_dispatch_ptr 0
		.amdhsa_user_sgpr_queue_ptr 0
		.amdhsa_user_sgpr_kernarg_segment_ptr 1
		.amdhsa_user_sgpr_dispatch_id 0
		.amdhsa_user_sgpr_kernarg_preload_length 0
		.amdhsa_user_sgpr_kernarg_preload_offset 0
		.amdhsa_user_sgpr_private_segment_size 0
		.amdhsa_uses_dynamic_stack 0
		.amdhsa_enable_private_segment 0
		.amdhsa_system_sgpr_workgroup_id_x 1
		.amdhsa_system_sgpr_workgroup_id_y 0
		.amdhsa_system_sgpr_workgroup_id_z 0
		.amdhsa_system_sgpr_workgroup_info 0
		.amdhsa_system_vgpr_workitem_id 0
		.amdhsa_next_free_vgpr 30
		.amdhsa_next_free_sgpr 61
		.amdhsa_accum_offset 32
		.amdhsa_reserve_vcc 1
		.amdhsa_float_round_mode_32 0
		.amdhsa_float_round_mode_16_64 0
		.amdhsa_float_denorm_mode_32 3
		.amdhsa_float_denorm_mode_16_64 3
		.amdhsa_dx10_clamp 1
		.amdhsa_ieee_mode 1
		.amdhsa_fp16_overflow 0
		.amdhsa_tg_split 0
		.amdhsa_exception_fp_ieee_invalid_op 0
		.amdhsa_exception_fp_denorm_src 0
		.amdhsa_exception_fp_ieee_div_zero 0
		.amdhsa_exception_fp_ieee_overflow 0
		.amdhsa_exception_fp_ieee_underflow 0
		.amdhsa_exception_fp_ieee_inexact 0
		.amdhsa_exception_int_div_zero 0
	.end_amdhsa_kernel
	.section	.text._ZN9rocsparseL41csrgemm_numeric_fill_block_per_row_kernelILj1024ELj64ELj32768ELj137ELj64Eli21rocsparse_complex_numIfEEEvT5_PKS3_S5_NS_24const_host_device_scalarIT6_EEPKT4_S5_PKS7_SB_S5_SD_S8_SB_S5_SD_SB_S5_PS7_21rocsparse_index_base_SF_SF_SF_bbb,"axG",@progbits,_ZN9rocsparseL41csrgemm_numeric_fill_block_per_row_kernelILj1024ELj64ELj32768ELj137ELj64Eli21rocsparse_complex_numIfEEEvT5_PKS3_S5_NS_24const_host_device_scalarIT6_EEPKT4_S5_PKS7_SB_S5_SD_S8_SB_S5_SD_SB_S5_PS7_21rocsparse_index_base_SF_SF_SF_bbb,comdat
.Lfunc_end217:
	.size	_ZN9rocsparseL41csrgemm_numeric_fill_block_per_row_kernelILj1024ELj64ELj32768ELj137ELj64Eli21rocsparse_complex_numIfEEEvT5_PKS3_S5_NS_24const_host_device_scalarIT6_EEPKT4_S5_PKS7_SB_S5_SD_S8_SB_S5_SD_SB_S5_PS7_21rocsparse_index_base_SF_SF_SF_bbb, .Lfunc_end217-_ZN9rocsparseL41csrgemm_numeric_fill_block_per_row_kernelILj1024ELj64ELj32768ELj137ELj64Eli21rocsparse_complex_numIfEEEvT5_PKS3_S5_NS_24const_host_device_scalarIT6_EEPKT4_S5_PKS7_SB_S5_SD_S8_SB_S5_SD_SB_S5_PS7_21rocsparse_index_base_SF_SF_SF_bbb
                                        ; -- End function
	.set _ZN9rocsparseL41csrgemm_numeric_fill_block_per_row_kernelILj1024ELj64ELj32768ELj137ELj64Eli21rocsparse_complex_numIfEEEvT5_PKS3_S5_NS_24const_host_device_scalarIT6_EEPKT4_S5_PKS7_SB_S5_SD_S8_SB_S5_SD_SB_S5_PS7_21rocsparse_index_base_SF_SF_SF_bbb.num_vgpr, 30
	.set _ZN9rocsparseL41csrgemm_numeric_fill_block_per_row_kernelILj1024ELj64ELj32768ELj137ELj64Eli21rocsparse_complex_numIfEEEvT5_PKS3_S5_NS_24const_host_device_scalarIT6_EEPKT4_S5_PKS7_SB_S5_SD_S8_SB_S5_SD_SB_S5_PS7_21rocsparse_index_base_SF_SF_SF_bbb.num_agpr, 0
	.set _ZN9rocsparseL41csrgemm_numeric_fill_block_per_row_kernelILj1024ELj64ELj32768ELj137ELj64Eli21rocsparse_complex_numIfEEEvT5_PKS3_S5_NS_24const_host_device_scalarIT6_EEPKT4_S5_PKS7_SB_S5_SD_S8_SB_S5_SD_SB_S5_PS7_21rocsparse_index_base_SF_SF_SF_bbb.numbered_sgpr, 61
	.set _ZN9rocsparseL41csrgemm_numeric_fill_block_per_row_kernelILj1024ELj64ELj32768ELj137ELj64Eli21rocsparse_complex_numIfEEEvT5_PKS3_S5_NS_24const_host_device_scalarIT6_EEPKT4_S5_PKS7_SB_S5_SD_S8_SB_S5_SD_SB_S5_PS7_21rocsparse_index_base_SF_SF_SF_bbb.num_named_barrier, 0
	.set _ZN9rocsparseL41csrgemm_numeric_fill_block_per_row_kernelILj1024ELj64ELj32768ELj137ELj64Eli21rocsparse_complex_numIfEEEvT5_PKS3_S5_NS_24const_host_device_scalarIT6_EEPKT4_S5_PKS7_SB_S5_SD_S8_SB_S5_SD_SB_S5_PS7_21rocsparse_index_base_SF_SF_SF_bbb.private_seg_size, 0
	.set _ZN9rocsparseL41csrgemm_numeric_fill_block_per_row_kernelILj1024ELj64ELj32768ELj137ELj64Eli21rocsparse_complex_numIfEEEvT5_PKS3_S5_NS_24const_host_device_scalarIT6_EEPKT4_S5_PKS7_SB_S5_SD_S8_SB_S5_SD_SB_S5_PS7_21rocsparse_index_base_SF_SF_SF_bbb.uses_vcc, 1
	.set _ZN9rocsparseL41csrgemm_numeric_fill_block_per_row_kernelILj1024ELj64ELj32768ELj137ELj64Eli21rocsparse_complex_numIfEEEvT5_PKS3_S5_NS_24const_host_device_scalarIT6_EEPKT4_S5_PKS7_SB_S5_SD_S8_SB_S5_SD_SB_S5_PS7_21rocsparse_index_base_SF_SF_SF_bbb.uses_flat_scratch, 0
	.set _ZN9rocsparseL41csrgemm_numeric_fill_block_per_row_kernelILj1024ELj64ELj32768ELj137ELj64Eli21rocsparse_complex_numIfEEEvT5_PKS3_S5_NS_24const_host_device_scalarIT6_EEPKT4_S5_PKS7_SB_S5_SD_S8_SB_S5_SD_SB_S5_PS7_21rocsparse_index_base_SF_SF_SF_bbb.has_dyn_sized_stack, 0
	.set _ZN9rocsparseL41csrgemm_numeric_fill_block_per_row_kernelILj1024ELj64ELj32768ELj137ELj64Eli21rocsparse_complex_numIfEEEvT5_PKS3_S5_NS_24const_host_device_scalarIT6_EEPKT4_S5_PKS7_SB_S5_SD_S8_SB_S5_SD_SB_S5_PS7_21rocsparse_index_base_SF_SF_SF_bbb.has_recursion, 0
	.set _ZN9rocsparseL41csrgemm_numeric_fill_block_per_row_kernelILj1024ELj64ELj32768ELj137ELj64Eli21rocsparse_complex_numIfEEEvT5_PKS3_S5_NS_24const_host_device_scalarIT6_EEPKT4_S5_PKS7_SB_S5_SD_S8_SB_S5_SD_SB_S5_PS7_21rocsparse_index_base_SF_SF_SF_bbb.has_indirect_call, 0
	.section	.AMDGPU.csdata,"",@progbits
; Kernel info:
; codeLenInByte = 3376
; TotalNumSgprs: 67
; NumVgprs: 30
; NumAgprs: 0
; TotalNumVgprs: 30
; ScratchSize: 0
; MemoryBound: 0
; FloatMode: 240
; IeeeMode: 1
; LDSByteSize: 0 bytes/workgroup (compile time only)
; SGPRBlocks: 8
; VGPRBlocks: 3
; NumSGPRsForWavesPerEU: 67
; NumVGPRsForWavesPerEU: 30
; AccumOffset: 32
; Occupancy: 8
; WaveLimiterHint : 1
; COMPUTE_PGM_RSRC2:SCRATCH_EN: 0
; COMPUTE_PGM_RSRC2:USER_SGPR: 2
; COMPUTE_PGM_RSRC2:TRAP_HANDLER: 0
; COMPUTE_PGM_RSRC2:TGID_X_EN: 1
; COMPUTE_PGM_RSRC2:TGID_Y_EN: 0
; COMPUTE_PGM_RSRC2:TGID_Z_EN: 0
; COMPUTE_PGM_RSRC2:TIDIG_COMP_CNT: 0
; COMPUTE_PGM_RSRC3_GFX90A:ACCUM_OFFSET: 7
; COMPUTE_PGM_RSRC3_GFX90A:TG_SPLIT: 0
	.section	.text._ZN9rocsparseL51csrgemm_numeric_fill_block_per_row_multipass_kernelILj512ELj16ELj2048ELj32Eli21rocsparse_complex_numIfEEEvT4_PKS3_S5_NS_24const_host_device_scalarIT5_EEPKT3_S5_PKS7_SB_S5_SD_S8_SB_S5_SD_SB_S5_PS7_PS9_21rocsparse_index_base_SG_SG_SG_bbb,"axG",@progbits,_ZN9rocsparseL51csrgemm_numeric_fill_block_per_row_multipass_kernelILj512ELj16ELj2048ELj32Eli21rocsparse_complex_numIfEEEvT4_PKS3_S5_NS_24const_host_device_scalarIT5_EEPKT3_S5_PKS7_SB_S5_SD_S8_SB_S5_SD_SB_S5_PS7_PS9_21rocsparse_index_base_SG_SG_SG_bbb,comdat
	.globl	_ZN9rocsparseL51csrgemm_numeric_fill_block_per_row_multipass_kernelILj512ELj16ELj2048ELj32Eli21rocsparse_complex_numIfEEEvT4_PKS3_S5_NS_24const_host_device_scalarIT5_EEPKT3_S5_PKS7_SB_S5_SD_S8_SB_S5_SD_SB_S5_PS7_PS9_21rocsparse_index_base_SG_SG_SG_bbb ; -- Begin function _ZN9rocsparseL51csrgemm_numeric_fill_block_per_row_multipass_kernelILj512ELj16ELj2048ELj32Eli21rocsparse_complex_numIfEEEvT4_PKS3_S5_NS_24const_host_device_scalarIT5_EEPKT3_S5_PKS7_SB_S5_SD_S8_SB_S5_SD_SB_S5_PS7_PS9_21rocsparse_index_base_SG_SG_SG_bbb
	.p2align	8
	.type	_ZN9rocsparseL51csrgemm_numeric_fill_block_per_row_multipass_kernelILj512ELj16ELj2048ELj32Eli21rocsparse_complex_numIfEEEvT4_PKS3_S5_NS_24const_host_device_scalarIT5_EEPKT3_S5_PKS7_SB_S5_SD_S8_SB_S5_SD_SB_S5_PS7_PS9_21rocsparse_index_base_SG_SG_SG_bbb,@function
_ZN9rocsparseL51csrgemm_numeric_fill_block_per_row_multipass_kernelILj512ELj16ELj2048ELj32Eli21rocsparse_complex_numIfEEEvT4_PKS3_S5_NS_24const_host_device_scalarIT5_EEPKT3_S5_PKS7_SB_S5_SD_S8_SB_S5_SD_SB_S5_PS7_PS9_21rocsparse_index_base_SG_SG_SG_bbb: ; @_ZN9rocsparseL51csrgemm_numeric_fill_block_per_row_multipass_kernelILj512ELj16ELj2048ELj32Eli21rocsparse_complex_numIfEEEvT4_PKS3_S5_NS_24const_host_device_scalarIT5_EEPKT3_S5_PKS7_SB_S5_SD_S8_SB_S5_SD_SB_S5_PS7_PS9_21rocsparse_index_base_SG_SG_SG_bbb
; %bb.0:
	s_load_dwordx8 s[44:51], s[0:1], 0x80
	s_load_dword s3, s[0:1], 0xa0
	s_load_dwordx2 s[12:13], s[0:1], 0x70
	s_load_dwordx4 s[4:7], s[0:1], 0x60
                                        ; implicit-def: $vgpr43 : SGPR spill to VGPR lane
	s_load_dwordx8 s[52:59], s[0:1], 0x40
	s_load_dwordx4 s[8:11], s[0:1], 0x8
	s_load_dwordx8 s[60:67], s[0:1], 0x20
	s_mov_b32 s43, 0
	s_waitcnt lgkmcnt(0)
	s_bitcmp1_b32 s3, 0
	s_mov_b32 s33, 0
	v_writelane_b32 v43, s4, 0
	s_nop 1
	v_writelane_b32 v43, s5, 1
	v_writelane_b32 v43, s6, 2
	;; [unrolled: 1-line block ×3, first 2 shown]
	s_cselect_b64 s[6:7], -1, 0
	s_bitcmp1_b32 s3, 16
	s_cselect_b64 s[4:5], -1, 0
	s_xor_b64 s[14:15], s[4:5], -1
	s_bitcmp0_b32 s3, 0
	s_cbranch_scc1 .LBB218_5
; %bb.1:
	s_load_dwordx2 s[42:43], s[0:1], 0x18
	v_cndmask_b32_e64 v1, 0, 1, s[14:15]
	v_cmp_ne_u32_e64 s[4:5], 1, v1
	s_andn2_b64 vcc, exec, s[14:15]
	s_waitcnt lgkmcnt(0)
	s_mov_b32 s33, s42
	s_cbranch_vccnz .LBB218_3
; %bb.2:
	s_load_dword s33, s[42:43], 0x0
.LBB218_3:
	s_and_b64 vcc, exec, s[4:5]
	s_cbranch_vccnz .LBB218_5
; %bb.4:
	s_load_dword s43, s[42:43], 0x4
.LBB218_5:
	s_bitcmp1_b32 s3, 8
	s_cselect_b64 s[72:73], -1, 0
	s_bfe_u32 s3, s3, 0x10008
	s_mov_b32 s42, 0
	s_cmp_eq_u32 s3, 0
	s_mov_b32 s98, 0
	s_cbranch_scc1 .LBB218_11
; %bb.6:
	v_cndmask_b32_e64 v1, 0, 1, s[14:15]
	v_cmp_ne_u32_e64 s[4:5], 1, v1
	s_andn2_b64 vcc, exec, s[14:15]
	s_mov_b32 s42, s56
	s_cbranch_vccnz .LBB218_8
; %bb.7:
	s_load_dword s42, s[56:57], 0x0
.LBB218_8:
	s_and_b64 vcc, exec, s[4:5]
	s_cbranch_vccnz .LBB218_10
; %bb.9:
	s_load_dword s57, s[56:57], 0x4
.LBB218_10:
	s_waitcnt lgkmcnt(0)
	s_mov_b32 s98, s57
.LBB218_11:
	s_load_dword s4, s[8:9], 0x0
	s_mov_b32 s3, 0
	v_cndmask_b32_e64 v1, 0, 1, s[6:7]
	s_mov_b64 s[56:57], 0
	s_waitcnt lgkmcnt(0)
	s_add_i32 s2, s4, s2
	s_lshl_b64 s[2:3], s[2:3], 2
	s_add_u32 s2, s10, s2
	s_addc_u32 s3, s11, s3
	s_load_dword s8, s[2:3], 0x0
	v_cmp_ne_u32_e64 s[2:3], 1, v1
	s_andn2_b64 vcc, exec, s[6:7]
	s_mov_b64 s[4:5], 0
	s_cbranch_vccz .LBB218_14
; %bb.12:
	s_and_b64 vcc, exec, s[2:3]
	s_cbranch_vccz .LBB218_15
.LBB218_13:
	s_load_dword s99, s[0:1], 0x0
	s_waitcnt lgkmcnt(0)
	s_cmp_lt_i32 s99, 1
	s_cbranch_scc0 .LBB218_16
	s_branch .LBB218_69
.LBB218_14:
	s_waitcnt lgkmcnt(0)
	s_ashr_i32 s9, s8, 31
	s_lshl_b64 s[4:5], s[8:9], 3
	s_add_u32 s4, s60, s4
	s_addc_u32 s5, s61, s5
	s_load_dwordx2 s[4:5], s[4:5], 0x0
	s_waitcnt lgkmcnt(0)
	s_sub_u32 s4, s4, s48
	s_subb_u32 s5, s5, 0
	s_and_b64 vcc, exec, s[2:3]
	s_cbranch_vccnz .LBB218_13
.LBB218_15:
	s_waitcnt lgkmcnt(0)
	s_ashr_i32 s9, s8, 31
	s_lshl_b64 s[2:3], s[8:9], 3
	s_add_u32 s2, s60, s2
	s_addc_u32 s3, s61, s3
	s_load_dwordx2 s[2:3], s[2:3], 0x8
	s_waitcnt lgkmcnt(0)
	s_sub_u32 s56, s2, s48
	s_subb_u32 s57, s3, 0
	s_load_dword s99, s[0:1], 0x0
	s_waitcnt lgkmcnt(0)
	s_cmp_lt_i32 s99, 1
	s_cbranch_scc1 .LBB218_69
.LBB218_16:
	s_ashr_i32 s9, s8, 31
	s_lshl_b64 s[8:9], s[8:9], 3
	s_add_u32 s0, s12, s8
	s_addc_u32 s1, s13, s9
	s_load_dwordx2 s[2:3], s[0:1], 0x0
	v_lshrrev_b32_e32 v2, 4, v0
	v_mov_b32_e32 v3, 0
	v_lshl_add_u64 v[4:5], s[4:5], 0, v[2:3]
	v_and_b32_e32 v1, 15, v0
	s_waitcnt lgkmcnt(0)
	s_sub_u32 s38, s2, s50
	s_subb_u32 s39, s3, 0
	v_cmp_gt_i64_e32 vcc, s[56:57], v[4:5]
	s_add_u32 s58, s58, s8
	v_mov_b32_e32 v2, v1
	v_cmp_eq_u32_e64 s[2:3], 15, v1
	s_addc_u32 s59, s59, s9
	v_mbcnt_lo_u32_b32 v1, -1, 0
	s_and_b64 s[60:61], s[6:7], vcc
	v_subrev_co_u32_e64 v6, s[4:5], s51, v0
	v_mbcnt_hi_u32_b32 v1, -1, v1
	s_add_u32 s54, s54, 4
	v_readlane_b32 s76, v43, 0
	v_subb_co_u32_e64 v7, s[4:5], 0, 0, s[4:5]
	v_sub_u32_e32 v1, 63, v1
	s_addc_u32 s55, s55, 0
	v_readlane_b32 s78, v43, 2
	v_lshrrev_b64 v[8:9], v1, -1
	v_lshrrev_b32_e32 v1, 3, v0
	s_movk_i32 s4, 0x1ff
	s_movk_i32 s10, 0x60
	;; [unrolled: 1-line block ×14, first 2 shown]
	v_readlane_b32 s77, v43, 1
	v_readlane_b32 s79, v43, 3
	s_add_u32 s70, s78, 4
	v_cmp_eq_u32_e64 s[0:1], 0, v0
	s_mov_b32 s50, s49
	s_mov_b32 s68, s51
	v_and_b32_e32 v26, 60, v1
	v_cmp_eq_u32_e64 s[4:5], s4, v0
	v_cmp_gt_u32_e64 s[6:7], 32, v0
	v_cmp_gt_u32_e64 s[8:9], 64, v0
	;; [unrolled: 1-line block ×15, first 2 shown]
	v_or_b32_e32 v27, 0xfffffe00, v0
	v_lshlrev_b32_e32 v28, 3, v0
	s_addc_u32 s71, s79, 0
	v_mov_b32_e32 v30, 0x800
	v_mov_b64_e32 v[0:1], s[38:39]
	v_mov_b32_e32 v36, v3
	v_mov_b32_e32 v37, v3
	s_movk_i32 s69, 0x5ff
	v_mov_b32_e32 v38, s99
	v_mov_b32_e32 v29, 1
	s_mov_b64 s[74:75], 0x80
	s_mov_b64 s[76:77], 0x200
	;; [unrolled: 1-line block ×3, first 2 shown]
	v_mov_b32_e32 v31, v3
	s_mov_b64 s[80:81], 0x1000
	s_branch .LBB218_18
.LBB218_17:                             ;   in Loop: Header=BB218_18 Depth=1
	s_or_b64 exec, exec, s[38:39]
	ds_read_b32 v31, v3 offset:18432
	s_waitcnt lgkmcnt(0)
	s_barrier
	v_cmp_le_i32_e32 vcc, s99, v31
	v_add_u32_e32 v30, 0x800, v31
	s_cbranch_vccnz .LBB218_69
.LBB218_18:                             ; =>This Loop Header: Depth=1
                                        ;     Child Loop BB218_19 Depth 2
                                        ;     Child Loop BB218_25 Depth 2
                                        ;       Child Loop BB218_31 Depth 3
                                        ;     Child Loop BB218_48 Depth 2
                                        ;     Child Loop BB218_60 Depth 2
	;; [unrolled: 1-line block ×3, first 2 shown]
	s_mov_b64 s[38:39], 0
	v_mov_b32_e32 v10, v28
	v_mov_b32_e32 v11, v27
.LBB218_19:                             ;   Parent Loop BB218_18 Depth=1
                                        ; =>  This Inner Loop Header: Depth=2
	ds_write_b8 v11, v3 offset:16896
	ds_write_b64 v10, v[36:37]
	v_add_u32_e32 v11, 0x200, v11
	v_cmp_lt_u32_e32 vcc, s69, v11
	s_or_b64 s[38:39], vcc, s[38:39]
	v_add_u32_e32 v10, 0x1000, v10
	s_andn2_b64 exec, exec, s[38:39]
	s_cbranch_execnz .LBB218_19
; %bb.20:                               ;   in Loop: Header=BB218_18 Depth=1
	s_or_b64 exec, exec, s[38:39]
	s_and_saveexec_b64 s[38:39], s[0:1]
; %bb.21:                               ;   in Loop: Header=BB218_18 Depth=1
	ds_write_b32 v3, v38 offset:18432
; %bb.22:                               ;   in Loop: Header=BB218_18 Depth=1
	s_or_b64 exec, exec, s[38:39]
	v_mov_b32_e32 v32, s99
	s_waitcnt lgkmcnt(0)
	s_barrier
	s_and_saveexec_b64 s[82:83], s[60:61]
	s_cbranch_execz .LBB218_44
; %bb.23:                               ;   in Loop: Header=BB218_18 Depth=1
	s_mov_b64 s[84:85], 0
	v_cmp_ne_u32_e64 s[38:39], 0, v31
	v_mov_b32_e32 v32, s99
	v_mov_b64_e32 v[10:11], v[4:5]
	s_branch .LBB218_25
.LBB218_24:                             ;   in Loop: Header=BB218_25 Depth=2
	s_or_b64 exec, exec, s[40:41]
	v_lshl_add_u64 v[10:11], v[10:11], 0, 32
	v_cmp_le_i64_e32 vcc, s[56:57], v[10:11]
	s_or_b64 s[84:85], vcc, s[84:85]
	s_andn2_b64 exec, exec, s[84:85]
	s_cbranch_execz .LBB218_43
.LBB218_25:                             ;   Parent Loop BB218_18 Depth=1
                                        ; =>  This Loop Header: Depth=2
                                        ;       Child Loop BB218_31 Depth 3
	v_lshl_add_u64 v[12:13], v[10:11], 2, s[62:63]
	global_load_dword v14, v[12:13], off
	v_lshl_add_u64 v[12:13], v[10:11], 3, s[64:65]
	global_load_dwordx2 v[18:19], v[12:13], off
	s_and_b64 vcc, exec, s[38:39]
	v_lshl_add_u64 v[12:13], v[10:11], 3, s[46:47]
	s_waitcnt vmcnt(1)
	v_subrev_u32_e32 v14, s48, v14
	v_ashrrev_i32_e32 v15, 31, v14
	s_cbranch_vccz .LBB218_42
; %bb.26:                               ;   in Loop: Header=BB218_25 Depth=2
	global_load_dwordx2 v[20:21], v[12:13], off
	s_cbranch_execnz .LBB218_28
.LBB218_27:                             ;   in Loop: Header=BB218_25 Depth=2
	v_lshl_add_u64 v[16:17], v[14:15], 3, s[66:67]
	global_load_dwordx2 v[16:17], v[16:17], off
	s_waitcnt vmcnt(0)
	v_subrev_co_u32_e32 v20, vcc, s50, v16
	s_nop 1
	v_subbrev_co_u32_e32 v21, vcc, 0, v17, vcc
.LBB218_28:                             ;   in Loop: Header=BB218_25 Depth=2
	v_lshl_add_u64 v[14:15], v[14:15], 3, s[66:67]
	global_load_dwordx2 v[14:15], v[14:15], off offset:8
	s_waitcnt vmcnt(0)
	v_subrev_co_u32_e32 v16, vcc, s50, v14
	s_nop 1
	v_subbrev_co_u32_e32 v17, vcc, 0, v15, vcc
	v_lshl_add_u64 v[14:15], v[20:21], 0, v[2:3]
	v_cmp_lt_i64_e32 vcc, v[14:15], v[16:17]
	s_and_saveexec_b64 s[86:87], vcc
	s_cbranch_execz .LBB218_40
; %bb.29:                               ;   in Loop: Header=BB218_25 Depth=2
	v_mul_f32_e64 v33, v19, -s43
	v_mul_f32_e32 v34, s33, v19
	v_fmac_f32_e32 v33, s33, v18
	v_fmac_f32_e32 v34, s43, v18
	v_lshl_add_u64 v[18:19], v[14:15], 2, s[52:53]
	v_lshl_add_u64 v[20:21], v[14:15], 3, s[54:55]
	s_mov_b64 s[90:91], 0
	v_mov_b64_e32 v[24:25], v[14:15]
                                        ; implicit-def: $sgpr88_sgpr89
                                        ; implicit-def: $sgpr92_sgpr93
	s_branch .LBB218_31
.LBB218_30:                             ;   in Loop: Header=BB218_31 Depth=3
	s_or_b64 exec, exec, s[96:97]
	s_and_b64 s[40:41], exec, s[94:95]
	s_or_b64 s[90:91], s[40:41], s[90:91]
	s_andn2_b64 s[40:41], s[88:89], exec
	s_and_b64 s[88:89], s[92:93], exec
	s_or_b64 s[88:89], s[40:41], s[88:89]
	s_andn2_b64 exec, exec, s[90:91]
	s_cbranch_execz .LBB218_37
.LBB218_31:                             ;   Parent Loop BB218_18 Depth=1
                                        ;     Parent Loop BB218_25 Depth=2
                                        ; =>    This Inner Loop Header: Depth=3
	global_load_dword v35, v[18:19], off
	v_mov_b64_e32 v[22:23], v[24:25]
	s_waitcnt vmcnt(0)
	v_subrev_u32_e32 v35, s49, v35
	v_cmp_lt_i32_e32 vcc, v35, v31
	v_cmp_ge_i32_e64 s[40:41], v35, v30
	s_or_b64 s[94:95], vcc, s[40:41]
	s_mov_b64 s[40:41], 0
	s_and_saveexec_b64 s[96:97], s[94:95]
	s_xor_b64 s[94:95], exec, s[96:97]
; %bb.32:                               ;   in Loop: Header=BB218_31 Depth=3
	v_cmp_lt_i32_e32 vcc, v35, v30
	s_and_b64 s[40:41], vcc, exec
; %bb.33:                               ;   in Loop: Header=BB218_31 Depth=3
	s_andn2_saveexec_b64 s[94:95], s[94:95]
	s_cbranch_execz .LBB218_35
; %bb.34:                               ;   in Loop: Header=BB218_31 Depth=3
	global_load_dwordx2 v[24:25], v[20:21], off offset:-4
	v_sub_u32_e32 v39, v35, v31
	ds_write_b8 v39, v29 offset:16384
	v_lshlrev_b32_e32 v39, 3, v39
	s_or_b64 s[40:41], s[40:41], exec
	s_waitcnt vmcnt(0)
	v_mul_f32_e64 v40, v25, -v34
	v_mul_f32_e32 v25, v33, v25
	v_fmac_f32_e32 v40, v33, v24
	v_fmac_f32_e32 v25, v34, v24
	ds_add_f32 v39, v40
	ds_add_f32 v39, v25 offset:4
.LBB218_35:                             ;   in Loop: Header=BB218_31 Depth=3
	s_or_b64 exec, exec, s[94:95]
	s_mov_b64 s[94:95], -1
	s_or_b64 s[92:93], s[92:93], exec
                                        ; implicit-def: $vgpr24_vgpr25
	s_and_saveexec_b64 s[96:97], s[40:41]
	s_cbranch_execz .LBB218_30
; %bb.36:                               ;   in Loop: Header=BB218_31 Depth=3
	v_lshl_add_u64 v[24:25], v[22:23], 0, 16
	v_cmp_ge_i64_e32 vcc, v[24:25], v[16:17]
	v_lshl_add_u64 v[18:19], v[18:19], 0, 64
	v_lshl_add_u64 v[20:21], v[20:21], 0, s[74:75]
	s_andn2_b64 s[92:93], s[92:93], exec
	s_orn2_b64 s[94:95], vcc, exec
	s_branch .LBB218_30
.LBB218_37:                             ;   in Loop: Header=BB218_25 Depth=2
	s_or_b64 exec, exec, s[90:91]
	s_and_saveexec_b64 s[40:41], s[88:89]
	s_xor_b64 s[40:41], exec, s[40:41]
; %bb.38:                               ;   in Loop: Header=BB218_25 Depth=2
	v_min_i32_e32 v32, v35, v32
	v_mov_b64_e32 v[14:15], v[22:23]
; %bb.39:                               ;   in Loop: Header=BB218_25 Depth=2
	s_or_b64 exec, exec, s[40:41]
.LBB218_40:                             ;   in Loop: Header=BB218_25 Depth=2
	s_or_b64 exec, exec, s[86:87]
	v_mov_b32_dpp v16, v14 row_shr:1 row_mask:0xf bank_mask:0xf
	v_mov_b32_dpp v17, v15 row_shr:1 row_mask:0xf bank_mask:0xf
	v_cmp_lt_i64_e32 vcc, v[16:17], v[14:15]
	s_nop 1
	v_cndmask_b32_e32 v15, v15, v17, vcc
	v_cndmask_b32_e32 v14, v14, v16, vcc
	s_nop 0
	v_mov_b32_dpp v17, v15 row_shr:2 row_mask:0xf bank_mask:0xf
	v_mov_b32_dpp v16, v14 row_shr:2 row_mask:0xf bank_mask:0xf
	v_cmp_lt_i64_e32 vcc, v[16:17], v[14:15]
	s_nop 1
	v_cndmask_b32_e32 v15, v15, v17, vcc
	v_cndmask_b32_e32 v14, v14, v16, vcc
	s_nop 0
	v_mov_b32_dpp v17, v15 row_shr:4 row_mask:0xf bank_mask:0xe
	v_mov_b32_dpp v16, v14 row_shr:4 row_mask:0xf bank_mask:0xe
	v_cmp_lt_i64_e32 vcc, v[16:17], v[14:15]
	s_nop 1
	v_cndmask_b32_e32 v15, v15, v17, vcc
	v_cndmask_b32_e32 v14, v14, v16, vcc
	s_nop 0
	v_mov_b32_dpp v18, v15 row_shr:8 row_mask:0xf bank_mask:0xc
	v_mov_b32_dpp v16, v14 row_shr:8 row_mask:0xf bank_mask:0xc
	s_and_saveexec_b64 s[40:41], s[2:3]
	s_cbranch_execz .LBB218_24
; %bb.41:                               ;   in Loop: Header=BB218_25 Depth=2
	v_mov_b32_e32 v17, v18
	v_cmp_lt_i64_e32 vcc, v[16:17], v[14:15]
	s_nop 1
	v_cndmask_b32_e32 v15, v15, v18, vcc
	v_cndmask_b32_e32 v14, v14, v16, vcc
	global_store_dwordx2 v[12:13], v[14:15], off
	s_branch .LBB218_24
.LBB218_42:                             ;   in Loop: Header=BB218_25 Depth=2
                                        ; implicit-def: $vgpr20_vgpr21
	s_branch .LBB218_27
.LBB218_43:                             ;   in Loop: Header=BB218_18 Depth=1
	s_or_b64 exec, exec, s[84:85]
.LBB218_44:                             ;   in Loop: Header=BB218_18 Depth=1
	s_or_b64 exec, exec, s[82:83]
	s_andn2_b64 vcc, exec, s[72:73]
	s_cbranch_vccnz .LBB218_58
; %bb.45:                               ;   in Loop: Header=BB218_18 Depth=1
	s_load_dwordx4 s[84:87], s[58:59], 0x0
	s_waitcnt lgkmcnt(0)
	s_sub_u32 s82, s86, s68
	s_subb_u32 s83, s87, 0
	v_lshl_add_u64 v[10:11], s[84:85], 0, v[6:7]
	v_cmp_gt_i64_e32 vcc, s[82:83], v[10:11]
	s_and_saveexec_b64 s[40:41], vcc
	s_cbranch_execz .LBB218_57
; %bb.46:                               ;   in Loop: Header=BB218_18 Depth=1
	v_readlane_b32 s84, v43, 0
	v_readlane_b32 s85, v43, 1
	;; [unrolled: 1-line block ×4, first 2 shown]
	v_lshl_add_u64 v[12:13], v[10:11], 2, s[84:85]
	v_lshl_add_u64 v[14:15], v[10:11], 3, s[70:71]
	s_mov_b64 s[84:85], 0
                                        ; implicit-def: $sgpr86_sgpr87
                                        ; implicit-def: $sgpr88_sgpr89
	s_branch .LBB218_48
.LBB218_47:                             ;   in Loop: Header=BB218_48 Depth=2
	s_or_b64 exec, exec, s[92:93]
	s_and_b64 s[38:39], exec, s[90:91]
	s_or_b64 s[84:85], s[38:39], s[84:85]
	s_andn2_b64 s[38:39], s[86:87], exec
	s_and_b64 s[86:87], s[88:89], exec
	s_or_b64 s[86:87], s[38:39], s[86:87]
	s_andn2_b64 exec, exec, s[84:85]
	s_cbranch_execz .LBB218_54
.LBB218_48:                             ;   Parent Loop BB218_18 Depth=1
                                        ; =>  This Inner Loop Header: Depth=2
	global_load_dword v16, v[12:13], off
	s_waitcnt vmcnt(0)
	v_subrev_u32_e32 v16, s51, v16
	v_cmp_lt_i32_e32 vcc, v16, v31
	v_cmp_ge_i32_e64 s[38:39], v16, v30
	s_or_b64 s[90:91], vcc, s[38:39]
	s_mov_b64 s[38:39], 0
	s_and_saveexec_b64 s[92:93], s[90:91]
	s_xor_b64 s[90:91], exec, s[92:93]
; %bb.49:                               ;   in Loop: Header=BB218_48 Depth=2
	v_cmp_lt_i32_e32 vcc, v16, v30
	s_and_b64 s[38:39], vcc, exec
; %bb.50:                               ;   in Loop: Header=BB218_48 Depth=2
	s_andn2_saveexec_b64 s[90:91], s[90:91]
	s_cbranch_execz .LBB218_52
; %bb.51:                               ;   in Loop: Header=BB218_48 Depth=2
	global_load_dwordx2 v[18:19], v[14:15], off offset:-4
	v_sub_u32_e32 v17, v16, v31
	ds_write_b8 v17, v29 offset:16384
	v_lshlrev_b32_e32 v17, 3, v17
	s_or_b64 s[38:39], s[38:39], exec
	s_waitcnt vmcnt(0)
	v_mul_f32_e64 v20, v19, -s98
	v_mul_f32_e32 v19, s42, v19
	v_fmac_f32_e32 v20, s42, v18
	v_fmac_f32_e32 v19, s98, v18
	ds_add_f32 v17, v20
	ds_add_f32 v17, v19 offset:4
.LBB218_52:                             ;   in Loop: Header=BB218_48 Depth=2
	s_or_b64 exec, exec, s[90:91]
	s_mov_b64 s[90:91], -1
	s_or_b64 s[88:89], s[88:89], exec
	s_and_saveexec_b64 s[92:93], s[38:39]
	s_cbranch_execz .LBB218_47
; %bb.53:                               ;   in Loop: Header=BB218_48 Depth=2
	v_lshl_add_u64 v[10:11], v[10:11], 0, s[76:77]
	v_cmp_le_i64_e32 vcc, s[82:83], v[10:11]
	v_lshl_add_u64 v[12:13], v[12:13], 0, s[78:79]
	v_lshl_add_u64 v[14:15], v[14:15], 0, s[80:81]
	s_andn2_b64 s[88:89], s[88:89], exec
	s_orn2_b64 s[90:91], vcc, exec
	s_branch .LBB218_47
.LBB218_54:                             ;   in Loop: Header=BB218_18 Depth=1
	s_or_b64 exec, exec, s[84:85]
	s_and_saveexec_b64 s[38:39], s[86:87]
	s_xor_b64 s[38:39], exec, s[38:39]
; %bb.55:                               ;   in Loop: Header=BB218_18 Depth=1
	v_min_i32_e32 v32, v16, v32
; %bb.56:                               ;   in Loop: Header=BB218_18 Depth=1
	s_or_b64 exec, exec, s[38:39]
.LBB218_57:                             ;   in Loop: Header=BB218_18 Depth=1
	s_or_b64 exec, exec, s[40:41]
.LBB218_58:                             ;   in Loop: Header=BB218_18 Depth=1
	v_mov_b32_dpp v10, v32 row_shr:1 row_mask:0xf bank_mask:0xf
	v_min_i32_e32 v10, v10, v32
	s_nop 1
	v_mov_b32_dpp v11, v10 row_shr:2 row_mask:0xf bank_mask:0xf
	v_min_i32_e32 v10, v11, v10
	s_nop 1
	;; [unrolled: 3-line block ×3, first 2 shown]
	v_mov_b32_dpp v11, v10 row_shr:8 row_mask:0xf bank_mask:0xc
	s_and_saveexec_b64 s[38:39], s[2:3]
	s_cbranch_execz .LBB218_63
; %bb.59:                               ;   in Loop: Header=BB218_18 Depth=1
	s_mov_b64 s[40:41], exec
	v_min_i32_e32 v10, v11, v10
	s_brev_b32 s82, -2
.LBB218_60:                             ;   Parent Loop BB218_18 Depth=1
                                        ; =>  This Inner Loop Header: Depth=2
	s_ff1_i32_b64 s83, s[40:41]
	v_readlane_b32 s86, v10, s83
	s_lshl_b64 s[84:85], 1, s83
	s_min_i32 s82, s82, s86
	s_andn2_b64 s[40:41], s[40:41], s[84:85]
	s_cmp_lg_u64 s[40:41], 0
	s_cbranch_scc1 .LBB218_60
; %bb.61:                               ;   in Loop: Header=BB218_18 Depth=1
	v_mbcnt_lo_u32_b32 v10, exec_lo, 0
	v_mbcnt_hi_u32_b32 v10, exec_hi, v10
	v_cmp_eq_u32_e32 vcc, 0, v10
	s_and_saveexec_b64 s[40:41], vcc
	s_xor_b64 s[40:41], exec, s[40:41]
; %bb.62:                               ;   in Loop: Header=BB218_18 Depth=1
	v_mov_b32_e32 v10, s82
	ds_min_i32 v3, v10 offset:18432
.LBB218_63:                             ;   in Loop: Header=BB218_18 Depth=1
	s_or_b64 exec, exec, s[38:39]
	s_mov_b64 s[38:39], 0
	v_mov_b32_e32 v14, v28
	v_mov_b32_e32 v15, v27
	s_waitcnt lgkmcnt(0)
	s_barrier
	s_branch .LBB218_65
.LBB218_64:                             ;   in Loop: Header=BB218_65 Depth=2
	s_or_b64 exec, exec, s[40:41]
	s_waitcnt lgkmcnt(0)
	s_barrier
	ds_read_b32 v10, v3 offset:60
	v_add_u32_e32 v15, 0x200, v15
	v_cmp_lt_u32_e32 vcc, s69, v15
	s_or_b64 s[38:39], vcc, s[38:39]
	v_add_u32_e32 v14, 0x1000, v14
	s_waitcnt lgkmcnt(0)
	v_ashrrev_i32_e32 v11, 31, v10
	v_lshl_add_u64 v[0:1], v[0:1], 0, v[10:11]
	s_andn2_b64 exec, exec, s[38:39]
	s_cbranch_execz .LBB218_17
.LBB218_65:                             ;   Parent Loop BB218_18 Depth=1
                                        ; =>  This Inner Loop Header: Depth=2
	ds_read_u8 v13, v15 offset:16896
	ds_read_b64 v[10:11], v14
	s_waitcnt lgkmcnt(0)
	s_barrier
	v_cmp_ne_u16_e32 vcc, 0, v13
	s_bcnt1_i32_b64 s40, vcc
	v_and_b32_e32 v13, 1, v13
	v_and_b32_e32 v16, vcc_lo, v8
	v_bcnt_u32_b32 v20, v16, 0
	v_mov_b32_e32 v16, s40
	ds_write_b32 v26, v16
	s_waitcnt lgkmcnt(0)
	s_barrier
	ds_read_b128 v[16:19], v3
	v_and_b32_e32 v12, vcc_hi, v9
	v_bcnt_u32_b32 v12, v12, v20
	ds_read_b128 v[20:23], v3 offset:16
	ds_read_b128 v[30:33], v3 offset:32
	ds_read_b96 v[40:42], v3 offset:48
	v_cmp_eq_u32_e32 vcc, 1, v13
	s_waitcnt lgkmcnt(3)
	v_cndmask_b32_e64 v16, v16, 0, s[6:7]
	v_add_u32_e32 v12, v16, v12
	v_cndmask_b32_e64 v16, v17, 0, s[8:9]
	v_cndmask_b32_e64 v17, v18, 0, s[10:11]
	v_add3_u32 v12, v12, v16, v17
	v_cndmask_b32_e64 v16, v19, 0, s[12:13]
	s_waitcnt lgkmcnt(2)
	v_cndmask_b32_e64 v17, v20, 0, s[14:15]
	v_add3_u32 v12, v12, v16, v17
	v_cndmask_b32_e64 v16, v21, 0, s[16:17]
	v_cndmask_b32_e64 v17, v22, 0, s[18:19]
	v_add3_u32 v12, v12, v16, v17
	v_cndmask_b32_e64 v16, v23, 0, s[20:21]
	s_waitcnt lgkmcnt(1)
	v_cndmask_b32_e64 v17, v30, 0, s[22:23]
	v_add3_u32 v12, v12, v16, v17
	;; [unrolled: 7-line block ×3, first 2 shown]
	v_cndmask_b32_e64 v16, v41, 0, s[34:35]
	v_cndmask_b32_e64 v17, v42, 0, s[36:37]
	v_add3_u32 v12, v12, v16, v17
	s_and_saveexec_b64 s[40:41], vcc
	s_cbranch_execz .LBB218_67
; %bb.66:                               ;   in Loop: Header=BB218_65 Depth=2
	v_lshl_add_u64 v[16:17], v[0:1], 3, s[44:45]
	v_ashrrev_i32_e32 v13, 31, v12
	v_lshl_add_u64 v[16:17], v[12:13], 3, v[16:17]
	global_store_dwordx2 v[16:17], v[10:11], off offset:-8
.LBB218_67:                             ;   in Loop: Header=BB218_65 Depth=2
	s_or_b64 exec, exec, s[40:41]
	s_and_saveexec_b64 s[40:41], s[4:5]
	s_cbranch_execz .LBB218_64
; %bb.68:                               ;   in Loop: Header=BB218_65 Depth=2
	ds_write_b32 v3, v12 offset:60
	s_branch .LBB218_64
.LBB218_69:
	s_endpgm
	.section	.rodata,"a",@progbits
	.p2align	6, 0x0
	.amdhsa_kernel _ZN9rocsparseL51csrgemm_numeric_fill_block_per_row_multipass_kernelILj512ELj16ELj2048ELj32Eli21rocsparse_complex_numIfEEEvT4_PKS3_S5_NS_24const_host_device_scalarIT5_EEPKT3_S5_PKS7_SB_S5_SD_S8_SB_S5_SD_SB_S5_PS7_PS9_21rocsparse_index_base_SG_SG_SG_bbb
		.amdhsa_group_segment_fixed_size 18436
		.amdhsa_private_segment_fixed_size 0
		.amdhsa_kernarg_size 164
		.amdhsa_user_sgpr_count 2
		.amdhsa_user_sgpr_dispatch_ptr 0
		.amdhsa_user_sgpr_queue_ptr 0
		.amdhsa_user_sgpr_kernarg_segment_ptr 1
		.amdhsa_user_sgpr_dispatch_id 0
		.amdhsa_user_sgpr_kernarg_preload_length 0
		.amdhsa_user_sgpr_kernarg_preload_offset 0
		.amdhsa_user_sgpr_private_segment_size 0
		.amdhsa_uses_dynamic_stack 0
		.amdhsa_enable_private_segment 0
		.amdhsa_system_sgpr_workgroup_id_x 1
		.amdhsa_system_sgpr_workgroup_id_y 0
		.amdhsa_system_sgpr_workgroup_id_z 0
		.amdhsa_system_sgpr_workgroup_info 0
		.amdhsa_system_vgpr_workitem_id 0
		.amdhsa_next_free_vgpr 44
		.amdhsa_next_free_sgpr 100
		.amdhsa_accum_offset 44
		.amdhsa_reserve_vcc 1
		.amdhsa_float_round_mode_32 0
		.amdhsa_float_round_mode_16_64 0
		.amdhsa_float_denorm_mode_32 3
		.amdhsa_float_denorm_mode_16_64 3
		.amdhsa_dx10_clamp 1
		.amdhsa_ieee_mode 1
		.amdhsa_fp16_overflow 0
		.amdhsa_tg_split 0
		.amdhsa_exception_fp_ieee_invalid_op 0
		.amdhsa_exception_fp_denorm_src 0
		.amdhsa_exception_fp_ieee_div_zero 0
		.amdhsa_exception_fp_ieee_overflow 0
		.amdhsa_exception_fp_ieee_underflow 0
		.amdhsa_exception_fp_ieee_inexact 0
		.amdhsa_exception_int_div_zero 0
	.end_amdhsa_kernel
	.section	.text._ZN9rocsparseL51csrgemm_numeric_fill_block_per_row_multipass_kernelILj512ELj16ELj2048ELj32Eli21rocsparse_complex_numIfEEEvT4_PKS3_S5_NS_24const_host_device_scalarIT5_EEPKT3_S5_PKS7_SB_S5_SD_S8_SB_S5_SD_SB_S5_PS7_PS9_21rocsparse_index_base_SG_SG_SG_bbb,"axG",@progbits,_ZN9rocsparseL51csrgemm_numeric_fill_block_per_row_multipass_kernelILj512ELj16ELj2048ELj32Eli21rocsparse_complex_numIfEEEvT4_PKS3_S5_NS_24const_host_device_scalarIT5_EEPKT3_S5_PKS7_SB_S5_SD_S8_SB_S5_SD_SB_S5_PS7_PS9_21rocsparse_index_base_SG_SG_SG_bbb,comdat
.Lfunc_end218:
	.size	_ZN9rocsparseL51csrgemm_numeric_fill_block_per_row_multipass_kernelILj512ELj16ELj2048ELj32Eli21rocsparse_complex_numIfEEEvT4_PKS3_S5_NS_24const_host_device_scalarIT5_EEPKT3_S5_PKS7_SB_S5_SD_S8_SB_S5_SD_SB_S5_PS7_PS9_21rocsparse_index_base_SG_SG_SG_bbb, .Lfunc_end218-_ZN9rocsparseL51csrgemm_numeric_fill_block_per_row_multipass_kernelILj512ELj16ELj2048ELj32Eli21rocsparse_complex_numIfEEEvT4_PKS3_S5_NS_24const_host_device_scalarIT5_EEPKT3_S5_PKS7_SB_S5_SD_S8_SB_S5_SD_SB_S5_PS7_PS9_21rocsparse_index_base_SG_SG_SG_bbb
                                        ; -- End function
	.set _ZN9rocsparseL51csrgemm_numeric_fill_block_per_row_multipass_kernelILj512ELj16ELj2048ELj32Eli21rocsparse_complex_numIfEEEvT4_PKS3_S5_NS_24const_host_device_scalarIT5_EEPKT3_S5_PKS7_SB_S5_SD_S8_SB_S5_SD_SB_S5_PS7_PS9_21rocsparse_index_base_SG_SG_SG_bbb.num_vgpr, 44
	.set _ZN9rocsparseL51csrgemm_numeric_fill_block_per_row_multipass_kernelILj512ELj16ELj2048ELj32Eli21rocsparse_complex_numIfEEEvT4_PKS3_S5_NS_24const_host_device_scalarIT5_EEPKT3_S5_PKS7_SB_S5_SD_S8_SB_S5_SD_SB_S5_PS7_PS9_21rocsparse_index_base_SG_SG_SG_bbb.num_agpr, 0
	.set _ZN9rocsparseL51csrgemm_numeric_fill_block_per_row_multipass_kernelILj512ELj16ELj2048ELj32Eli21rocsparse_complex_numIfEEEvT4_PKS3_S5_NS_24const_host_device_scalarIT5_EEPKT3_S5_PKS7_SB_S5_SD_S8_SB_S5_SD_SB_S5_PS7_PS9_21rocsparse_index_base_SG_SG_SG_bbb.numbered_sgpr, 100
	.set _ZN9rocsparseL51csrgemm_numeric_fill_block_per_row_multipass_kernelILj512ELj16ELj2048ELj32Eli21rocsparse_complex_numIfEEEvT4_PKS3_S5_NS_24const_host_device_scalarIT5_EEPKT3_S5_PKS7_SB_S5_SD_S8_SB_S5_SD_SB_S5_PS7_PS9_21rocsparse_index_base_SG_SG_SG_bbb.num_named_barrier, 0
	.set _ZN9rocsparseL51csrgemm_numeric_fill_block_per_row_multipass_kernelILj512ELj16ELj2048ELj32Eli21rocsparse_complex_numIfEEEvT4_PKS3_S5_NS_24const_host_device_scalarIT5_EEPKT3_S5_PKS7_SB_S5_SD_S8_SB_S5_SD_SB_S5_PS7_PS9_21rocsparse_index_base_SG_SG_SG_bbb.private_seg_size, 0
	.set _ZN9rocsparseL51csrgemm_numeric_fill_block_per_row_multipass_kernelILj512ELj16ELj2048ELj32Eli21rocsparse_complex_numIfEEEvT4_PKS3_S5_NS_24const_host_device_scalarIT5_EEPKT3_S5_PKS7_SB_S5_SD_S8_SB_S5_SD_SB_S5_PS7_PS9_21rocsparse_index_base_SG_SG_SG_bbb.uses_vcc, 1
	.set _ZN9rocsparseL51csrgemm_numeric_fill_block_per_row_multipass_kernelILj512ELj16ELj2048ELj32Eli21rocsparse_complex_numIfEEEvT4_PKS3_S5_NS_24const_host_device_scalarIT5_EEPKT3_S5_PKS7_SB_S5_SD_S8_SB_S5_SD_SB_S5_PS7_PS9_21rocsparse_index_base_SG_SG_SG_bbb.uses_flat_scratch, 0
	.set _ZN9rocsparseL51csrgemm_numeric_fill_block_per_row_multipass_kernelILj512ELj16ELj2048ELj32Eli21rocsparse_complex_numIfEEEvT4_PKS3_S5_NS_24const_host_device_scalarIT5_EEPKT3_S5_PKS7_SB_S5_SD_S8_SB_S5_SD_SB_S5_PS7_PS9_21rocsparse_index_base_SG_SG_SG_bbb.has_dyn_sized_stack, 0
	.set _ZN9rocsparseL51csrgemm_numeric_fill_block_per_row_multipass_kernelILj512ELj16ELj2048ELj32Eli21rocsparse_complex_numIfEEEvT4_PKS3_S5_NS_24const_host_device_scalarIT5_EEPKT3_S5_PKS7_SB_S5_SD_S8_SB_S5_SD_SB_S5_PS7_PS9_21rocsparse_index_base_SG_SG_SG_bbb.has_recursion, 0
	.set _ZN9rocsparseL51csrgemm_numeric_fill_block_per_row_multipass_kernelILj512ELj16ELj2048ELj32Eli21rocsparse_complex_numIfEEEvT4_PKS3_S5_NS_24const_host_device_scalarIT5_EEPKT3_S5_PKS7_SB_S5_SD_S8_SB_S5_SD_SB_S5_PS7_PS9_21rocsparse_index_base_SG_SG_SG_bbb.has_indirect_call, 0
	.section	.AMDGPU.csdata,"",@progbits
; Kernel info:
; codeLenInByte = 2756
; TotalNumSgprs: 106
; NumVgprs: 44
; NumAgprs: 0
; TotalNumVgprs: 44
; ScratchSize: 0
; MemoryBound: 0
; FloatMode: 240
; IeeeMode: 1
; LDSByteSize: 18436 bytes/workgroup (compile time only)
; SGPRBlocks: 13
; VGPRBlocks: 5
; NumSGPRsForWavesPerEU: 106
; NumVGPRsForWavesPerEU: 44
; AccumOffset: 44
; Occupancy: 7
; WaveLimiterHint : 1
; COMPUTE_PGM_RSRC2:SCRATCH_EN: 0
; COMPUTE_PGM_RSRC2:USER_SGPR: 2
; COMPUTE_PGM_RSRC2:TRAP_HANDLER: 0
; COMPUTE_PGM_RSRC2:TGID_X_EN: 1
; COMPUTE_PGM_RSRC2:TGID_Y_EN: 0
; COMPUTE_PGM_RSRC2:TGID_Z_EN: 0
; COMPUTE_PGM_RSRC2:TIDIG_COMP_CNT: 0
; COMPUTE_PGM_RSRC3_GFX90A:ACCUM_OFFSET: 10
; COMPUTE_PGM_RSRC3_GFX90A:TG_SPLIT: 0
	.section	.text._ZN9rocsparseL51csrgemm_numeric_fill_block_per_row_multipass_kernelILj512ELj16ELj2048ELj64Eli21rocsparse_complex_numIfEEEvT4_PKS3_S5_NS_24const_host_device_scalarIT5_EEPKT3_S5_PKS7_SB_S5_SD_S8_SB_S5_SD_SB_S5_PS7_PS9_21rocsparse_index_base_SG_SG_SG_bbb,"axG",@progbits,_ZN9rocsparseL51csrgemm_numeric_fill_block_per_row_multipass_kernelILj512ELj16ELj2048ELj64Eli21rocsparse_complex_numIfEEEvT4_PKS3_S5_NS_24const_host_device_scalarIT5_EEPKT3_S5_PKS7_SB_S5_SD_S8_SB_S5_SD_SB_S5_PS7_PS9_21rocsparse_index_base_SG_SG_SG_bbb,comdat
	.globl	_ZN9rocsparseL51csrgemm_numeric_fill_block_per_row_multipass_kernelILj512ELj16ELj2048ELj64Eli21rocsparse_complex_numIfEEEvT4_PKS3_S5_NS_24const_host_device_scalarIT5_EEPKT3_S5_PKS7_SB_S5_SD_S8_SB_S5_SD_SB_S5_PS7_PS9_21rocsparse_index_base_SG_SG_SG_bbb ; -- Begin function _ZN9rocsparseL51csrgemm_numeric_fill_block_per_row_multipass_kernelILj512ELj16ELj2048ELj64Eli21rocsparse_complex_numIfEEEvT4_PKS3_S5_NS_24const_host_device_scalarIT5_EEPKT3_S5_PKS7_SB_S5_SD_S8_SB_S5_SD_SB_S5_PS7_PS9_21rocsparse_index_base_SG_SG_SG_bbb
	.p2align	8
	.type	_ZN9rocsparseL51csrgemm_numeric_fill_block_per_row_multipass_kernelILj512ELj16ELj2048ELj64Eli21rocsparse_complex_numIfEEEvT4_PKS3_S5_NS_24const_host_device_scalarIT5_EEPKT3_S5_PKS7_SB_S5_SD_S8_SB_S5_SD_SB_S5_PS7_PS9_21rocsparse_index_base_SG_SG_SG_bbb,@function
_ZN9rocsparseL51csrgemm_numeric_fill_block_per_row_multipass_kernelILj512ELj16ELj2048ELj64Eli21rocsparse_complex_numIfEEEvT4_PKS3_S5_NS_24const_host_device_scalarIT5_EEPKT3_S5_PKS7_SB_S5_SD_S8_SB_S5_SD_SB_S5_PS7_PS9_21rocsparse_index_base_SG_SG_SG_bbb: ; @_ZN9rocsparseL51csrgemm_numeric_fill_block_per_row_multipass_kernelILj512ELj16ELj2048ELj64Eli21rocsparse_complex_numIfEEEvT4_PKS3_S5_NS_24const_host_device_scalarIT5_EEPKT3_S5_PKS7_SB_S5_SD_S8_SB_S5_SD_SB_S5_PS7_PS9_21rocsparse_index_base_SG_SG_SG_bbb
; %bb.0:
	s_load_dwordx8 s[24:31], s[0:1], 0x80
	s_load_dword s3, s[0:1], 0xa0
	s_load_dwordx2 s[12:13], s[0:1], 0x70
	s_load_dwordx4 s[52:55], s[0:1], 0x60
	s_load_dwordx8 s[36:43], s[0:1], 0x40
	s_load_dwordx4 s[8:11], s[0:1], 0x8
	s_load_dwordx8 s[44:51], s[0:1], 0x20
	s_waitcnt lgkmcnt(0)
	s_bitcmp1_b32 s3, 0
	s_cselect_b64 s[6:7], -1, 0
	s_bitcmp1_b32 s3, 16
	s_cselect_b64 s[4:5], -1, 0
	s_xor_b64 s[14:15], s[4:5], -1
	s_mov_b32 s35, 0
	s_bitcmp0_b32 s3, 0
	s_mov_b32 s33, 0
	s_cbranch_scc1 .LBB219_5
; %bb.1:
	s_load_dwordx2 s[34:35], s[0:1], 0x18
	v_cndmask_b32_e64 v1, 0, 1, s[14:15]
	v_cmp_ne_u32_e64 s[4:5], 1, v1
	s_andn2_b64 vcc, exec, s[14:15]
	s_waitcnt lgkmcnt(0)
	s_mov_b32 s33, s34
	s_cbranch_vccnz .LBB219_3
; %bb.2:
	s_load_dword s33, s[34:35], 0x0
.LBB219_3:
	s_and_b64 vcc, exec, s[4:5]
	s_cbranch_vccnz .LBB219_5
; %bb.4:
	s_load_dword s35, s[34:35], 0x4
.LBB219_5:
	s_bitcmp1_b32 s3, 8
	s_cselect_b64 s[56:57], -1, 0
	s_bfe_u32 s3, s3, 0x10008
	s_mov_b32 s34, 0
	s_cmp_eq_u32 s3, 0
	s_mov_b32 s82, 0
	s_cbranch_scc1 .LBB219_11
; %bb.6:
	v_cndmask_b32_e64 v1, 0, 1, s[14:15]
	v_cmp_ne_u32_e64 s[4:5], 1, v1
	s_andn2_b64 vcc, exec, s[14:15]
	s_mov_b32 s34, s40
	s_cbranch_vccnz .LBB219_8
; %bb.7:
	s_load_dword s34, s[40:41], 0x0
.LBB219_8:
	s_and_b64 vcc, exec, s[4:5]
	s_cbranch_vccnz .LBB219_10
; %bb.9:
	s_load_dword s41, s[40:41], 0x4
.LBB219_10:
	s_waitcnt lgkmcnt(0)
	s_mov_b32 s82, s41
.LBB219_11:
	s_load_dword s4, s[8:9], 0x0
	s_mov_b32 s3, 0
	v_cndmask_b32_e64 v1, 0, 1, s[6:7]
	s_mov_b64 s[40:41], 0
	s_waitcnt lgkmcnt(0)
	s_add_i32 s2, s4, s2
	s_lshl_b64 s[2:3], s[2:3], 2
	s_add_u32 s2, s10, s2
	s_addc_u32 s3, s11, s3
	s_load_dword s8, s[2:3], 0x0
	v_cmp_ne_u32_e64 s[2:3], 1, v1
	s_andn2_b64 vcc, exec, s[6:7]
	s_mov_b64 s[4:5], 0
	s_cbranch_vccz .LBB219_14
; %bb.12:
	s_and_b64 vcc, exec, s[2:3]
	s_cbranch_vccz .LBB219_15
.LBB219_13:
	s_load_dword s83, s[0:1], 0x0
	s_waitcnt lgkmcnt(0)
	s_cmp_lt_i32 s83, 1
	s_cbranch_scc0 .LBB219_16
	s_branch .LBB219_69
.LBB219_14:
	s_waitcnt lgkmcnt(0)
	s_ashr_i32 s9, s8, 31
	s_lshl_b64 s[4:5], s[8:9], 3
	s_add_u32 s4, s44, s4
	s_addc_u32 s5, s45, s5
	s_load_dwordx2 s[4:5], s[4:5], 0x0
	s_waitcnt lgkmcnt(0)
	s_sub_u32 s4, s4, s28
	s_subb_u32 s5, s5, 0
	s_and_b64 vcc, exec, s[2:3]
	s_cbranch_vccnz .LBB219_13
.LBB219_15:
	s_waitcnt lgkmcnt(0)
	s_ashr_i32 s9, s8, 31
	s_lshl_b64 s[2:3], s[8:9], 3
	s_add_u32 s2, s44, s2
	s_addc_u32 s3, s45, s3
	s_load_dwordx2 s[2:3], s[2:3], 0x8
	s_waitcnt lgkmcnt(0)
	s_sub_u32 s40, s2, s28
	s_subb_u32 s41, s3, 0
	s_load_dword s83, s[0:1], 0x0
	s_waitcnt lgkmcnt(0)
	s_cmp_lt_i32 s83, 1
	s_cbranch_scc1 .LBB219_69
.LBB219_16:
	s_ashr_i32 s9, s8, 31
	s_lshl_b64 s[8:9], s[8:9], 3
	s_add_u32 s0, s12, s8
	s_addc_u32 s1, s13, s9
	s_load_dwordx2 s[2:3], s[0:1], 0x0
	v_mov_b32_e32 v3, 0
	v_lshrrev_b32_e32 v10, 4, v0
	v_mov_b32_e32 v11, v3
	v_lshl_add_u64 v[4:5], s[4:5], 0, v[10:11]
	s_waitcnt lgkmcnt(0)
	s_sub_u32 s20, s2, s30
	s_subb_u32 s21, s3, 0
	v_cmp_gt_i64_e32 vcc, s[40:41], v[4:5]
	s_add_u32 s42, s42, s8
	s_addc_u32 s43, s43, s9
	s_and_b64 s[44:45], s[6:7], vcc
	v_subrev_co_u32_e64 v6, s[4:5], s31, v0
	v_mbcnt_lo_u32_b32 v1, -1, 0
	s_add_u32 s38, s38, 4
	v_subb_co_u32_e64 v7, s[4:5], 0, 0, s[4:5]
	v_mbcnt_hi_u32_b32 v1, -1, v1
	s_addc_u32 s39, s39, 0
	v_and_b32_e32 v2, 15, v0
	v_sub_u32_e32 v1, 63, v1
	s_movk_i32 s4, 0x1ff
	s_movk_i32 s8, 0x80
	s_movk_i32 s10, 0xc0
	s_movk_i32 s12, 0x100
	s_movk_i32 s14, 0x140
	s_movk_i32 s16, 0x180
	s_movk_i32 s18, 0x1c0
	s_add_u32 s54, s54, 4
	v_cmp_eq_u32_e64 s[0:1], 0, v0
	s_mov_b32 s30, s29
	v_cmp_eq_u32_e64 s[2:3], 15, v2
	s_mov_b32 s84, s31
	v_lshrrev_b64 v[8:9], v1, -1
	v_and_b32_e32 v26, 28, v10
	v_cmp_eq_u32_e64 s[4:5], s4, v0
	v_cmp_gt_u32_e64 s[6:7], 64, v0
	v_cmp_gt_u32_e64 s[8:9], s8, v0
	;; [unrolled: 1-line block ×7, first 2 shown]
	v_or_b32_e32 v27, 0xfffffe00, v0
	v_lshlrev_b32_e32 v28, 3, v0
	s_addc_u32 s55, s55, 0
	v_mov_b32_e32 v30, 0x800
	v_mov_b64_e32 v[0:1], s[20:21]
	v_mov_b32_e32 v36, v3
	v_mov_b32_e32 v37, v3
	s_movk_i32 s85, 0x5ff
	v_mov_b32_e32 v38, s83
	v_mov_b32_e32 v29, 1
	s_mov_b64 s[58:59], 0x80
	s_mov_b64 s[60:61], 0x200
	;; [unrolled: 1-line block ×4, first 2 shown]
	v_mov_b32_e32 v31, v3
	s_branch .LBB219_18
.LBB219_17:                             ;   in Loop: Header=BB219_18 Depth=1
	s_or_b64 exec, exec, s[20:21]
	ds_read_b32 v31, v3 offset:18432
	s_waitcnt lgkmcnt(0)
	s_barrier
	v_cmp_le_i32_e32 vcc, s83, v31
	v_add_u32_e32 v30, 0x800, v31
	s_cbranch_vccnz .LBB219_69
.LBB219_18:                             ; =>This Loop Header: Depth=1
                                        ;     Child Loop BB219_19 Depth 2
                                        ;     Child Loop BB219_25 Depth 2
                                        ;       Child Loop BB219_31 Depth 3
                                        ;     Child Loop BB219_48 Depth 2
                                        ;     Child Loop BB219_60 Depth 2
	;; [unrolled: 1-line block ×3, first 2 shown]
	s_mov_b64 s[20:21], 0
	v_mov_b32_e32 v10, v28
	v_mov_b32_e32 v11, v27
.LBB219_19:                             ;   Parent Loop BB219_18 Depth=1
                                        ; =>  This Inner Loop Header: Depth=2
	ds_write_b8 v11, v3 offset:16896
	ds_write_b64 v10, v[36:37]
	v_add_u32_e32 v11, 0x200, v11
	v_cmp_lt_u32_e32 vcc, s85, v11
	s_or_b64 s[20:21], vcc, s[20:21]
	v_add_u32_e32 v10, 0x1000, v10
	s_andn2_b64 exec, exec, s[20:21]
	s_cbranch_execnz .LBB219_19
; %bb.20:                               ;   in Loop: Header=BB219_18 Depth=1
	s_or_b64 exec, exec, s[20:21]
	s_and_saveexec_b64 s[20:21], s[0:1]
; %bb.21:                               ;   in Loop: Header=BB219_18 Depth=1
	ds_write_b32 v3, v38 offset:18432
; %bb.22:                               ;   in Loop: Header=BB219_18 Depth=1
	s_or_b64 exec, exec, s[20:21]
	v_mov_b32_e32 v32, s83
	s_waitcnt lgkmcnt(0)
	s_barrier
	s_and_saveexec_b64 s[66:67], s[44:45]
	s_cbranch_execz .LBB219_44
; %bb.23:                               ;   in Loop: Header=BB219_18 Depth=1
	s_mov_b64 s[68:69], 0
	v_cmp_ne_u32_e64 s[20:21], 0, v31
	v_mov_b32_e32 v32, s83
	v_mov_b64_e32 v[10:11], v[4:5]
	s_branch .LBB219_25
.LBB219_24:                             ;   in Loop: Header=BB219_25 Depth=2
	s_or_b64 exec, exec, s[22:23]
	v_lshl_add_u64 v[10:11], v[10:11], 0, 32
	v_cmp_le_i64_e32 vcc, s[40:41], v[10:11]
	s_or_b64 s[68:69], vcc, s[68:69]
	s_andn2_b64 exec, exec, s[68:69]
	s_cbranch_execz .LBB219_43
.LBB219_25:                             ;   Parent Loop BB219_18 Depth=1
                                        ; =>  This Loop Header: Depth=2
                                        ;       Child Loop BB219_31 Depth 3
	v_lshl_add_u64 v[12:13], v[10:11], 2, s[46:47]
	global_load_dword v14, v[12:13], off
	v_lshl_add_u64 v[12:13], v[10:11], 3, s[48:49]
	global_load_dwordx2 v[18:19], v[12:13], off
	s_and_b64 vcc, exec, s[20:21]
	v_lshl_add_u64 v[12:13], v[10:11], 3, s[26:27]
	s_waitcnt vmcnt(1)
	v_subrev_u32_e32 v14, s28, v14
	v_ashrrev_i32_e32 v15, 31, v14
	s_cbranch_vccz .LBB219_42
; %bb.26:                               ;   in Loop: Header=BB219_25 Depth=2
	global_load_dwordx2 v[20:21], v[12:13], off
	s_cbranch_execnz .LBB219_28
.LBB219_27:                             ;   in Loop: Header=BB219_25 Depth=2
	v_lshl_add_u64 v[16:17], v[14:15], 3, s[50:51]
	global_load_dwordx2 v[16:17], v[16:17], off
	s_waitcnt vmcnt(0)
	v_subrev_co_u32_e32 v20, vcc, s30, v16
	s_nop 1
	v_subbrev_co_u32_e32 v21, vcc, 0, v17, vcc
.LBB219_28:                             ;   in Loop: Header=BB219_25 Depth=2
	v_lshl_add_u64 v[14:15], v[14:15], 3, s[50:51]
	global_load_dwordx2 v[14:15], v[14:15], off offset:8
	s_waitcnt vmcnt(0)
	v_subrev_co_u32_e32 v16, vcc, s30, v14
	s_nop 1
	v_subbrev_co_u32_e32 v17, vcc, 0, v15, vcc
	v_lshl_add_u64 v[14:15], v[20:21], 0, v[2:3]
	v_cmp_lt_i64_e32 vcc, v[14:15], v[16:17]
	s_and_saveexec_b64 s[70:71], vcc
	s_cbranch_execz .LBB219_40
; %bb.29:                               ;   in Loop: Header=BB219_25 Depth=2
	v_mul_f32_e64 v33, v19, -s35
	v_mul_f32_e32 v34, s33, v19
	v_fmac_f32_e32 v33, s33, v18
	v_fmac_f32_e32 v34, s35, v18
	v_lshl_add_u64 v[18:19], v[14:15], 2, s[36:37]
	v_lshl_add_u64 v[20:21], v[14:15], 3, s[38:39]
	s_mov_b64 s[74:75], 0
	v_mov_b64_e32 v[24:25], v[14:15]
                                        ; implicit-def: $sgpr72_sgpr73
                                        ; implicit-def: $sgpr76_sgpr77
	s_branch .LBB219_31
.LBB219_30:                             ;   in Loop: Header=BB219_31 Depth=3
	s_or_b64 exec, exec, s[80:81]
	s_and_b64 s[22:23], exec, s[78:79]
	s_or_b64 s[74:75], s[22:23], s[74:75]
	s_andn2_b64 s[22:23], s[72:73], exec
	s_and_b64 s[72:73], s[76:77], exec
	s_or_b64 s[72:73], s[22:23], s[72:73]
	s_andn2_b64 exec, exec, s[74:75]
	s_cbranch_execz .LBB219_37
.LBB219_31:                             ;   Parent Loop BB219_18 Depth=1
                                        ;     Parent Loop BB219_25 Depth=2
                                        ; =>    This Inner Loop Header: Depth=3
	global_load_dword v35, v[18:19], off
	v_mov_b64_e32 v[22:23], v[24:25]
	s_waitcnt vmcnt(0)
	v_subrev_u32_e32 v35, s29, v35
	v_cmp_lt_i32_e32 vcc, v35, v31
	v_cmp_ge_i32_e64 s[22:23], v35, v30
	s_or_b64 s[78:79], vcc, s[22:23]
	s_mov_b64 s[22:23], 0
	s_and_saveexec_b64 s[80:81], s[78:79]
	s_xor_b64 s[78:79], exec, s[80:81]
; %bb.32:                               ;   in Loop: Header=BB219_31 Depth=3
	v_cmp_lt_i32_e32 vcc, v35, v30
	s_and_b64 s[22:23], vcc, exec
; %bb.33:                               ;   in Loop: Header=BB219_31 Depth=3
	s_andn2_saveexec_b64 s[78:79], s[78:79]
	s_cbranch_execz .LBB219_35
; %bb.34:                               ;   in Loop: Header=BB219_31 Depth=3
	global_load_dwordx2 v[24:25], v[20:21], off offset:-4
	v_sub_u32_e32 v39, v35, v31
	ds_write_b8 v39, v29 offset:16384
	v_lshlrev_b32_e32 v39, 3, v39
	s_or_b64 s[22:23], s[22:23], exec
	s_waitcnt vmcnt(0)
	v_mul_f32_e64 v40, v25, -v34
	v_mul_f32_e32 v25, v33, v25
	v_fmac_f32_e32 v40, v33, v24
	v_fmac_f32_e32 v25, v34, v24
	ds_add_f32 v39, v40
	ds_add_f32 v39, v25 offset:4
.LBB219_35:                             ;   in Loop: Header=BB219_31 Depth=3
	s_or_b64 exec, exec, s[78:79]
	s_mov_b64 s[78:79], -1
	s_or_b64 s[76:77], s[76:77], exec
                                        ; implicit-def: $vgpr24_vgpr25
	s_and_saveexec_b64 s[80:81], s[22:23]
	s_cbranch_execz .LBB219_30
; %bb.36:                               ;   in Loop: Header=BB219_31 Depth=3
	v_lshl_add_u64 v[24:25], v[22:23], 0, 16
	v_cmp_ge_i64_e32 vcc, v[24:25], v[16:17]
	v_lshl_add_u64 v[18:19], v[18:19], 0, 64
	v_lshl_add_u64 v[20:21], v[20:21], 0, s[58:59]
	s_andn2_b64 s[76:77], s[76:77], exec
	s_orn2_b64 s[78:79], vcc, exec
	s_branch .LBB219_30
.LBB219_37:                             ;   in Loop: Header=BB219_25 Depth=2
	s_or_b64 exec, exec, s[74:75]
	s_and_saveexec_b64 s[22:23], s[72:73]
	s_xor_b64 s[22:23], exec, s[22:23]
; %bb.38:                               ;   in Loop: Header=BB219_25 Depth=2
	v_min_i32_e32 v32, v35, v32
	v_mov_b64_e32 v[14:15], v[22:23]
; %bb.39:                               ;   in Loop: Header=BB219_25 Depth=2
	s_or_b64 exec, exec, s[22:23]
.LBB219_40:                             ;   in Loop: Header=BB219_25 Depth=2
	s_or_b64 exec, exec, s[70:71]
	v_mov_b32_dpp v16, v14 row_shr:1 row_mask:0xf bank_mask:0xf
	v_mov_b32_dpp v17, v15 row_shr:1 row_mask:0xf bank_mask:0xf
	v_cmp_lt_i64_e32 vcc, v[16:17], v[14:15]
	s_nop 1
	v_cndmask_b32_e32 v15, v15, v17, vcc
	v_cndmask_b32_e32 v14, v14, v16, vcc
	s_nop 0
	v_mov_b32_dpp v17, v15 row_shr:2 row_mask:0xf bank_mask:0xf
	v_mov_b32_dpp v16, v14 row_shr:2 row_mask:0xf bank_mask:0xf
	v_cmp_lt_i64_e32 vcc, v[16:17], v[14:15]
	s_nop 1
	v_cndmask_b32_e32 v15, v15, v17, vcc
	v_cndmask_b32_e32 v14, v14, v16, vcc
	s_nop 0
	;; [unrolled: 7-line block ×3, first 2 shown]
	v_mov_b32_dpp v18, v15 row_shr:8 row_mask:0xf bank_mask:0xc
	v_mov_b32_dpp v16, v14 row_shr:8 row_mask:0xf bank_mask:0xc
	s_and_saveexec_b64 s[22:23], s[2:3]
	s_cbranch_execz .LBB219_24
; %bb.41:                               ;   in Loop: Header=BB219_25 Depth=2
	v_mov_b32_e32 v17, v18
	v_cmp_lt_i64_e32 vcc, v[16:17], v[14:15]
	s_nop 1
	v_cndmask_b32_e32 v15, v15, v18, vcc
	v_cndmask_b32_e32 v14, v14, v16, vcc
	global_store_dwordx2 v[12:13], v[14:15], off
	s_branch .LBB219_24
.LBB219_42:                             ;   in Loop: Header=BB219_25 Depth=2
                                        ; implicit-def: $vgpr20_vgpr21
	s_branch .LBB219_27
.LBB219_43:                             ;   in Loop: Header=BB219_18 Depth=1
	s_or_b64 exec, exec, s[68:69]
.LBB219_44:                             ;   in Loop: Header=BB219_18 Depth=1
	s_or_b64 exec, exec, s[66:67]
	s_andn2_b64 vcc, exec, s[56:57]
	s_cbranch_vccnz .LBB219_58
; %bb.45:                               ;   in Loop: Header=BB219_18 Depth=1
	s_load_dwordx4 s[20:23], s[42:43], 0x0
	s_waitcnt lgkmcnt(0)
	s_sub_u32 s66, s22, s84
	s_subb_u32 s67, s23, 0
	v_lshl_add_u64 v[10:11], s[20:21], 0, v[6:7]
	v_cmp_gt_i64_e32 vcc, s[66:67], v[10:11]
	s_and_saveexec_b64 s[22:23], vcc
	s_cbranch_execz .LBB219_57
; %bb.46:                               ;   in Loop: Header=BB219_18 Depth=1
	v_lshl_add_u64 v[12:13], v[10:11], 2, s[52:53]
	v_lshl_add_u64 v[14:15], v[10:11], 3, s[54:55]
	s_mov_b64 s[68:69], 0
                                        ; implicit-def: $sgpr70_sgpr71
                                        ; implicit-def: $sgpr72_sgpr73
	s_branch .LBB219_48
.LBB219_47:                             ;   in Loop: Header=BB219_48 Depth=2
	s_or_b64 exec, exec, s[76:77]
	s_and_b64 s[20:21], exec, s[74:75]
	s_or_b64 s[68:69], s[20:21], s[68:69]
	s_andn2_b64 s[20:21], s[70:71], exec
	s_and_b64 s[70:71], s[72:73], exec
	s_or_b64 s[70:71], s[20:21], s[70:71]
	s_andn2_b64 exec, exec, s[68:69]
	s_cbranch_execz .LBB219_54
.LBB219_48:                             ;   Parent Loop BB219_18 Depth=1
                                        ; =>  This Inner Loop Header: Depth=2
	global_load_dword v16, v[12:13], off
	s_waitcnt vmcnt(0)
	v_subrev_u32_e32 v16, s31, v16
	v_cmp_lt_i32_e32 vcc, v16, v31
	v_cmp_ge_i32_e64 s[20:21], v16, v30
	s_or_b64 s[74:75], vcc, s[20:21]
	s_mov_b64 s[20:21], 0
	s_and_saveexec_b64 s[76:77], s[74:75]
	s_xor_b64 s[74:75], exec, s[76:77]
; %bb.49:                               ;   in Loop: Header=BB219_48 Depth=2
	v_cmp_lt_i32_e32 vcc, v16, v30
	s_and_b64 s[20:21], vcc, exec
; %bb.50:                               ;   in Loop: Header=BB219_48 Depth=2
	s_andn2_saveexec_b64 s[74:75], s[74:75]
	s_cbranch_execz .LBB219_52
; %bb.51:                               ;   in Loop: Header=BB219_48 Depth=2
	global_load_dwordx2 v[18:19], v[14:15], off offset:-4
	v_sub_u32_e32 v17, v16, v31
	ds_write_b8 v17, v29 offset:16384
	v_lshlrev_b32_e32 v17, 3, v17
	s_or_b64 s[20:21], s[20:21], exec
	s_waitcnt vmcnt(0)
	v_mul_f32_e64 v20, v19, -s82
	v_mul_f32_e32 v19, s34, v19
	v_fmac_f32_e32 v20, s34, v18
	v_fmac_f32_e32 v19, s82, v18
	ds_add_f32 v17, v20
	ds_add_f32 v17, v19 offset:4
.LBB219_52:                             ;   in Loop: Header=BB219_48 Depth=2
	s_or_b64 exec, exec, s[74:75]
	s_mov_b64 s[74:75], -1
	s_or_b64 s[72:73], s[72:73], exec
	s_and_saveexec_b64 s[76:77], s[20:21]
	s_cbranch_execz .LBB219_47
; %bb.53:                               ;   in Loop: Header=BB219_48 Depth=2
	v_lshl_add_u64 v[10:11], v[10:11], 0, s[60:61]
	v_cmp_le_i64_e32 vcc, s[66:67], v[10:11]
	v_lshl_add_u64 v[12:13], v[12:13], 0, s[62:63]
	v_lshl_add_u64 v[14:15], v[14:15], 0, s[64:65]
	s_andn2_b64 s[72:73], s[72:73], exec
	s_orn2_b64 s[74:75], vcc, exec
	s_branch .LBB219_47
.LBB219_54:                             ;   in Loop: Header=BB219_18 Depth=1
	s_or_b64 exec, exec, s[68:69]
	s_and_saveexec_b64 s[20:21], s[70:71]
	s_xor_b64 s[20:21], exec, s[20:21]
; %bb.55:                               ;   in Loop: Header=BB219_18 Depth=1
	v_min_i32_e32 v32, v16, v32
; %bb.56:                               ;   in Loop: Header=BB219_18 Depth=1
	s_or_b64 exec, exec, s[20:21]
.LBB219_57:                             ;   in Loop: Header=BB219_18 Depth=1
	s_or_b64 exec, exec, s[22:23]
.LBB219_58:                             ;   in Loop: Header=BB219_18 Depth=1
	v_mov_b32_dpp v10, v32 row_shr:1 row_mask:0xf bank_mask:0xf
	v_min_i32_e32 v10, v10, v32
	s_nop 1
	v_mov_b32_dpp v11, v10 row_shr:2 row_mask:0xf bank_mask:0xf
	v_min_i32_e32 v10, v11, v10
	s_nop 1
	;; [unrolled: 3-line block ×3, first 2 shown]
	v_mov_b32_dpp v11, v10 row_shr:8 row_mask:0xf bank_mask:0xc
	s_and_saveexec_b64 s[20:21], s[2:3]
	s_cbranch_execz .LBB219_63
; %bb.59:                               ;   in Loop: Header=BB219_18 Depth=1
	s_mov_b64 s[22:23], exec
	v_min_i32_e32 v10, v11, v10
	s_brev_b32 s66, -2
.LBB219_60:                             ;   Parent Loop BB219_18 Depth=1
                                        ; =>  This Inner Loop Header: Depth=2
	s_ff1_i32_b64 s67, s[22:23]
	v_readlane_b32 s70, v10, s67
	s_lshl_b64 s[68:69], 1, s67
	s_min_i32 s66, s66, s70
	s_andn2_b64 s[22:23], s[22:23], s[68:69]
	s_cmp_lg_u64 s[22:23], 0
	s_cbranch_scc1 .LBB219_60
; %bb.61:                               ;   in Loop: Header=BB219_18 Depth=1
	v_mbcnt_lo_u32_b32 v10, exec_lo, 0
	v_mbcnt_hi_u32_b32 v10, exec_hi, v10
	v_cmp_eq_u32_e32 vcc, 0, v10
	s_and_saveexec_b64 s[22:23], vcc
	s_xor_b64 s[22:23], exec, s[22:23]
; %bb.62:                               ;   in Loop: Header=BB219_18 Depth=1
	v_mov_b32_e32 v10, s66
	ds_min_i32 v3, v10 offset:18432
.LBB219_63:                             ;   in Loop: Header=BB219_18 Depth=1
	s_or_b64 exec, exec, s[20:21]
	s_mov_b64 s[20:21], 0
	v_mov_b32_e32 v14, v28
	v_mov_b32_e32 v15, v27
	s_waitcnt lgkmcnt(0)
	s_barrier
	s_branch .LBB219_65
.LBB219_64:                             ;   in Loop: Header=BB219_65 Depth=2
	s_or_b64 exec, exec, s[22:23]
	s_waitcnt lgkmcnt(0)
	s_barrier
	ds_read_b32 v10, v3 offset:28
	v_add_u32_e32 v15, 0x200, v15
	v_cmp_lt_u32_e32 vcc, s85, v15
	s_or_b64 s[20:21], vcc, s[20:21]
	v_add_u32_e32 v14, 0x1000, v14
	s_waitcnt lgkmcnt(0)
	v_ashrrev_i32_e32 v11, 31, v10
	v_lshl_add_u64 v[0:1], v[0:1], 0, v[10:11]
	s_andn2_b64 exec, exec, s[20:21]
	s_cbranch_execz .LBB219_17
.LBB219_65:                             ;   Parent Loop BB219_18 Depth=1
                                        ; =>  This Inner Loop Header: Depth=2
	ds_read_u8 v13, v15 offset:16896
	ds_read_b64 v[10:11], v14
	s_waitcnt lgkmcnt(0)
	s_barrier
	v_cmp_ne_u16_e32 vcc, 0, v13
	s_bcnt1_i32_b64 s22, vcc
	v_mov_b32_e32 v16, s22
	ds_write_b32 v26, v16
	s_waitcnt lgkmcnt(0)
	s_barrier
	ds_read_b128 v[16:19], v3
	v_and_b32_e32 v20, vcc_lo, v8
	v_and_b32_e32 v12, vcc_hi, v9
	v_bcnt_u32_b32 v20, v20, 0
	v_bcnt_u32_b32 v12, v12, v20
	ds_read_b96 v[20:22], v3 offset:16
	s_waitcnt lgkmcnt(1)
	v_cndmask_b32_e64 v16, v16, 0, s[6:7]
	v_add_u32_e32 v12, v16, v12
	v_cndmask_b32_e64 v16, v17, 0, s[8:9]
	v_cndmask_b32_e64 v17, v18, 0, s[10:11]
	v_add3_u32 v12, v12, v16, v17
	v_cndmask_b32_e64 v16, v19, 0, s[12:13]
	s_waitcnt lgkmcnt(0)
	v_cndmask_b32_e64 v17, v20, 0, s[14:15]
	v_add3_u32 v12, v12, v16, v17
	v_cndmask_b32_e64 v16, v21, 0, s[16:17]
	v_cndmask_b32_e64 v17, v22, 0, s[18:19]
	v_and_b32_e32 v13, 1, v13
	v_add3_u32 v12, v12, v16, v17
	v_cmp_eq_u32_e32 vcc, 1, v13
	s_and_saveexec_b64 s[22:23], vcc
	s_cbranch_execz .LBB219_67
; %bb.66:                               ;   in Loop: Header=BB219_65 Depth=2
	v_lshl_add_u64 v[16:17], v[0:1], 3, s[24:25]
	v_ashrrev_i32_e32 v13, 31, v12
	v_lshl_add_u64 v[16:17], v[12:13], 3, v[16:17]
	global_store_dwordx2 v[16:17], v[10:11], off offset:-8
.LBB219_67:                             ;   in Loop: Header=BB219_65 Depth=2
	s_or_b64 exec, exec, s[22:23]
	s_and_saveexec_b64 s[22:23], s[4:5]
	s_cbranch_execz .LBB219_64
; %bb.68:                               ;   in Loop: Header=BB219_65 Depth=2
	ds_write_b32 v3, v12 offset:28
	s_branch .LBB219_64
.LBB219_69:
	s_endpgm
	.section	.rodata,"a",@progbits
	.p2align	6, 0x0
	.amdhsa_kernel _ZN9rocsparseL51csrgemm_numeric_fill_block_per_row_multipass_kernelILj512ELj16ELj2048ELj64Eli21rocsparse_complex_numIfEEEvT4_PKS3_S5_NS_24const_host_device_scalarIT5_EEPKT3_S5_PKS7_SB_S5_SD_S8_SB_S5_SD_SB_S5_PS7_PS9_21rocsparse_index_base_SG_SG_SG_bbb
		.amdhsa_group_segment_fixed_size 18436
		.amdhsa_private_segment_fixed_size 0
		.amdhsa_kernarg_size 164
		.amdhsa_user_sgpr_count 2
		.amdhsa_user_sgpr_dispatch_ptr 0
		.amdhsa_user_sgpr_queue_ptr 0
		.amdhsa_user_sgpr_kernarg_segment_ptr 1
		.amdhsa_user_sgpr_dispatch_id 0
		.amdhsa_user_sgpr_kernarg_preload_length 0
		.amdhsa_user_sgpr_kernarg_preload_offset 0
		.amdhsa_user_sgpr_private_segment_size 0
		.amdhsa_uses_dynamic_stack 0
		.amdhsa_enable_private_segment 0
		.amdhsa_system_sgpr_workgroup_id_x 1
		.amdhsa_system_sgpr_workgroup_id_y 0
		.amdhsa_system_sgpr_workgroup_id_z 0
		.amdhsa_system_sgpr_workgroup_info 0
		.amdhsa_system_vgpr_workitem_id 0
		.amdhsa_next_free_vgpr 41
		.amdhsa_next_free_sgpr 86
		.amdhsa_accum_offset 44
		.amdhsa_reserve_vcc 1
		.amdhsa_float_round_mode_32 0
		.amdhsa_float_round_mode_16_64 0
		.amdhsa_float_denorm_mode_32 3
		.amdhsa_float_denorm_mode_16_64 3
		.amdhsa_dx10_clamp 1
		.amdhsa_ieee_mode 1
		.amdhsa_fp16_overflow 0
		.amdhsa_tg_split 0
		.amdhsa_exception_fp_ieee_invalid_op 0
		.amdhsa_exception_fp_denorm_src 0
		.amdhsa_exception_fp_ieee_div_zero 0
		.amdhsa_exception_fp_ieee_overflow 0
		.amdhsa_exception_fp_ieee_underflow 0
		.amdhsa_exception_fp_ieee_inexact 0
		.amdhsa_exception_int_div_zero 0
	.end_amdhsa_kernel
	.section	.text._ZN9rocsparseL51csrgemm_numeric_fill_block_per_row_multipass_kernelILj512ELj16ELj2048ELj64Eli21rocsparse_complex_numIfEEEvT4_PKS3_S5_NS_24const_host_device_scalarIT5_EEPKT3_S5_PKS7_SB_S5_SD_S8_SB_S5_SD_SB_S5_PS7_PS9_21rocsparse_index_base_SG_SG_SG_bbb,"axG",@progbits,_ZN9rocsparseL51csrgemm_numeric_fill_block_per_row_multipass_kernelILj512ELj16ELj2048ELj64Eli21rocsparse_complex_numIfEEEvT4_PKS3_S5_NS_24const_host_device_scalarIT5_EEPKT3_S5_PKS7_SB_S5_SD_S8_SB_S5_SD_SB_S5_PS7_PS9_21rocsparse_index_base_SG_SG_SG_bbb,comdat
.Lfunc_end219:
	.size	_ZN9rocsparseL51csrgemm_numeric_fill_block_per_row_multipass_kernelILj512ELj16ELj2048ELj64Eli21rocsparse_complex_numIfEEEvT4_PKS3_S5_NS_24const_host_device_scalarIT5_EEPKT3_S5_PKS7_SB_S5_SD_S8_SB_S5_SD_SB_S5_PS7_PS9_21rocsparse_index_base_SG_SG_SG_bbb, .Lfunc_end219-_ZN9rocsparseL51csrgemm_numeric_fill_block_per_row_multipass_kernelILj512ELj16ELj2048ELj64Eli21rocsparse_complex_numIfEEEvT4_PKS3_S5_NS_24const_host_device_scalarIT5_EEPKT3_S5_PKS7_SB_S5_SD_S8_SB_S5_SD_SB_S5_PS7_PS9_21rocsparse_index_base_SG_SG_SG_bbb
                                        ; -- End function
	.set _ZN9rocsparseL51csrgemm_numeric_fill_block_per_row_multipass_kernelILj512ELj16ELj2048ELj64Eli21rocsparse_complex_numIfEEEvT4_PKS3_S5_NS_24const_host_device_scalarIT5_EEPKT3_S5_PKS7_SB_S5_SD_S8_SB_S5_SD_SB_S5_PS7_PS9_21rocsparse_index_base_SG_SG_SG_bbb.num_vgpr, 41
	.set _ZN9rocsparseL51csrgemm_numeric_fill_block_per_row_multipass_kernelILj512ELj16ELj2048ELj64Eli21rocsparse_complex_numIfEEEvT4_PKS3_S5_NS_24const_host_device_scalarIT5_EEPKT3_S5_PKS7_SB_S5_SD_S8_SB_S5_SD_SB_S5_PS7_PS9_21rocsparse_index_base_SG_SG_SG_bbb.num_agpr, 0
	.set _ZN9rocsparseL51csrgemm_numeric_fill_block_per_row_multipass_kernelILj512ELj16ELj2048ELj64Eli21rocsparse_complex_numIfEEEvT4_PKS3_S5_NS_24const_host_device_scalarIT5_EEPKT3_S5_PKS7_SB_S5_SD_S8_SB_S5_SD_SB_S5_PS7_PS9_21rocsparse_index_base_SG_SG_SG_bbb.numbered_sgpr, 86
	.set _ZN9rocsparseL51csrgemm_numeric_fill_block_per_row_multipass_kernelILj512ELj16ELj2048ELj64Eli21rocsparse_complex_numIfEEEvT4_PKS3_S5_NS_24const_host_device_scalarIT5_EEPKT3_S5_PKS7_SB_S5_SD_S8_SB_S5_SD_SB_S5_PS7_PS9_21rocsparse_index_base_SG_SG_SG_bbb.num_named_barrier, 0
	.set _ZN9rocsparseL51csrgemm_numeric_fill_block_per_row_multipass_kernelILj512ELj16ELj2048ELj64Eli21rocsparse_complex_numIfEEEvT4_PKS3_S5_NS_24const_host_device_scalarIT5_EEPKT3_S5_PKS7_SB_S5_SD_S8_SB_S5_SD_SB_S5_PS7_PS9_21rocsparse_index_base_SG_SG_SG_bbb.private_seg_size, 0
	.set _ZN9rocsparseL51csrgemm_numeric_fill_block_per_row_multipass_kernelILj512ELj16ELj2048ELj64Eli21rocsparse_complex_numIfEEEvT4_PKS3_S5_NS_24const_host_device_scalarIT5_EEPKT3_S5_PKS7_SB_S5_SD_S8_SB_S5_SD_SB_S5_PS7_PS9_21rocsparse_index_base_SG_SG_SG_bbb.uses_vcc, 1
	.set _ZN9rocsparseL51csrgemm_numeric_fill_block_per_row_multipass_kernelILj512ELj16ELj2048ELj64Eli21rocsparse_complex_numIfEEEvT4_PKS3_S5_NS_24const_host_device_scalarIT5_EEPKT3_S5_PKS7_SB_S5_SD_S8_SB_S5_SD_SB_S5_PS7_PS9_21rocsparse_index_base_SG_SG_SG_bbb.uses_flat_scratch, 0
	.set _ZN9rocsparseL51csrgemm_numeric_fill_block_per_row_multipass_kernelILj512ELj16ELj2048ELj64Eli21rocsparse_complex_numIfEEEvT4_PKS3_S5_NS_24const_host_device_scalarIT5_EEPKT3_S5_PKS7_SB_S5_SD_S8_SB_S5_SD_SB_S5_PS7_PS9_21rocsparse_index_base_SG_SG_SG_bbb.has_dyn_sized_stack, 0
	.set _ZN9rocsparseL51csrgemm_numeric_fill_block_per_row_multipass_kernelILj512ELj16ELj2048ELj64Eli21rocsparse_complex_numIfEEEvT4_PKS3_S5_NS_24const_host_device_scalarIT5_EEPKT3_S5_PKS7_SB_S5_SD_S8_SB_S5_SD_SB_S5_PS7_PS9_21rocsparse_index_base_SG_SG_SG_bbb.has_recursion, 0
	.set _ZN9rocsparseL51csrgemm_numeric_fill_block_per_row_multipass_kernelILj512ELj16ELj2048ELj64Eli21rocsparse_complex_numIfEEEvT4_PKS3_S5_NS_24const_host_device_scalarIT5_EEPKT3_S5_PKS7_SB_S5_SD_S8_SB_S5_SD_SB_S5_PS7_PS9_21rocsparse_index_base_SG_SG_SG_bbb.has_indirect_call, 0
	.section	.AMDGPU.csdata,"",@progbits
; Kernel info:
; codeLenInByte = 2440
; TotalNumSgprs: 92
; NumVgprs: 41
; NumAgprs: 0
; TotalNumVgprs: 41
; ScratchSize: 0
; MemoryBound: 0
; FloatMode: 240
; IeeeMode: 1
; LDSByteSize: 18436 bytes/workgroup (compile time only)
; SGPRBlocks: 11
; VGPRBlocks: 5
; NumSGPRsForWavesPerEU: 92
; NumVGPRsForWavesPerEU: 41
; AccumOffset: 44
; Occupancy: 8
; WaveLimiterHint : 1
; COMPUTE_PGM_RSRC2:SCRATCH_EN: 0
; COMPUTE_PGM_RSRC2:USER_SGPR: 2
; COMPUTE_PGM_RSRC2:TRAP_HANDLER: 0
; COMPUTE_PGM_RSRC2:TGID_X_EN: 1
; COMPUTE_PGM_RSRC2:TGID_Y_EN: 0
; COMPUTE_PGM_RSRC2:TGID_Z_EN: 0
; COMPUTE_PGM_RSRC2:TIDIG_COMP_CNT: 0
; COMPUTE_PGM_RSRC3_GFX90A:ACCUM_OFFSET: 10
; COMPUTE_PGM_RSRC3_GFX90A:TG_SPLIT: 0
	.section	.text._ZN9rocsparseL38csrgemm_numeric_fill_wf_per_row_kernelILj256ELj8ELj16ELj137Eli21rocsparse_complex_numIdEEEvT4_S3_PKS3_S5_NS_24const_host_device_scalarIT5_EEPKT3_S5_PKS7_SB_S5_SD_S8_SB_S5_SD_SB_S5_PS7_21rocsparse_index_base_SF_SF_SF_bbb,"axG",@progbits,_ZN9rocsparseL38csrgemm_numeric_fill_wf_per_row_kernelILj256ELj8ELj16ELj137Eli21rocsparse_complex_numIdEEEvT4_S3_PKS3_S5_NS_24const_host_device_scalarIT5_EEPKT3_S5_PKS7_SB_S5_SD_S8_SB_S5_SD_SB_S5_PS7_21rocsparse_index_base_SF_SF_SF_bbb,comdat
	.globl	_ZN9rocsparseL38csrgemm_numeric_fill_wf_per_row_kernelILj256ELj8ELj16ELj137Eli21rocsparse_complex_numIdEEEvT4_S3_PKS3_S5_NS_24const_host_device_scalarIT5_EEPKT3_S5_PKS7_SB_S5_SD_S8_SB_S5_SD_SB_S5_PS7_21rocsparse_index_base_SF_SF_SF_bbb ; -- Begin function _ZN9rocsparseL38csrgemm_numeric_fill_wf_per_row_kernelILj256ELj8ELj16ELj137Eli21rocsparse_complex_numIdEEEvT4_S3_PKS3_S5_NS_24const_host_device_scalarIT5_EEPKT3_S5_PKS7_SB_S5_SD_S8_SB_S5_SD_SB_S5_PS7_21rocsparse_index_base_SF_SF_SF_bbb
	.p2align	8
	.type	_ZN9rocsparseL38csrgemm_numeric_fill_wf_per_row_kernelILj256ELj8ELj16ELj137Eli21rocsparse_complex_numIdEEEvT4_S3_PKS3_S5_NS_24const_host_device_scalarIT5_EEPKT3_S5_PKS7_SB_S5_SD_S8_SB_S5_SD_SB_S5_PS7_21rocsparse_index_base_SF_SF_SF_bbb,@function
_ZN9rocsparseL38csrgemm_numeric_fill_wf_per_row_kernelILj256ELj8ELj16ELj137Eli21rocsparse_complex_numIdEEEvT4_S3_PKS3_S5_NS_24const_host_device_scalarIT5_EEPKT3_S5_PKS7_SB_S5_SD_S8_SB_S5_SD_SB_S5_PS7_21rocsparse_index_base_SF_SF_SF_bbb: ; @_ZN9rocsparseL38csrgemm_numeric_fill_wf_per_row_kernelILj256ELj8ELj16ELj137Eli21rocsparse_complex_numIdEEEvT4_S3_PKS3_S5_NS_24const_host_device_scalarIT5_EEPKT3_S5_PKS7_SB_S5_SD_S8_SB_S5_SD_SB_S5_PS7_21rocsparse_index_base_SF_SF_SF_bbb
; %bb.0:
	s_load_dword s3, s[0:1], 0xa8
	s_load_dwordx4 s[24:27], s[0:1], 0x98
	s_load_dwordx4 s[8:11], s[0:1], 0x18
	;; [unrolled: 1-line block ×3, first 2 shown]
	v_mov_b64_e32 v[4:5], 0
	s_waitcnt lgkmcnt(0)
	s_bitcmp1_b32 s3, 0
	s_cselect_b64 s[44:45], -1, 0
	s_bitcmp1_b32 s3, 16
	s_cselect_b64 s[46:47], -1, 0
	s_xor_b64 s[4:5], s[46:47], -1
	v_mov_b64_e32 v[2:3], s[8:9]
	v_cndmask_b32_e64 v1, 0, 1, s[4:5]
	scratch_store_dwordx2 off, v[2:3], off
	v_mov_b64_e32 v[2:3], s[40:41]
	s_bitcmp0_b32 s3, 0
	v_cmp_ne_u32_e64 s[4:5], 1, v1
	v_mov_b64_e32 v[10:11], 0
	v_mov_b64_e32 v[12:13], 0
	scratch_store_dwordx2 off, v[2:3], off offset:8
	s_cbranch_scc1 .LBB220_3
; %bb.1:
	s_mov_b64 s[6:7], src_private_base
	s_and_b64 s[12:13], s[46:47], exec
	s_cselect_b32 s6, s7, s9
	s_cselect_b32 s7, 0, s8
	v_mov_b32_e32 v2, s7
	v_mov_b32_e32 v3, s6
	flat_load_dwordx2 v[10:11], v[2:3]
	s_and_b64 vcc, exec, s[4:5]
	v_mov_b64_e32 v[12:13], s[10:11]
	s_cbranch_vccnz .LBB220_3
; %bb.2:
	v_mov_b64_e32 v[2:3], s[8:9]
	flat_load_dwordx2 v[12:13], v[2:3] offset:8
.LBB220_3:
	s_load_dwordx2 s[6:7], s[0:1], 0x90
	s_load_dwordx8 s[8:15], s[0:1], 0x68
	s_load_dwordx4 s[28:31], s[0:1], 0x48
	s_load_dwordx4 s[36:39], s[0:1], 0x8
	s_load_dwordx8 s[16:23], s[0:1], 0x28
	s_bitcmp1_b32 s3, 8
	s_cselect_b64 s[34:35], -1, 0
	s_bfe_u32 s3, s3, 0x10008
	s_cmp_eq_u32 s3, 0
	v_mov_b64_e32 v[6:7], 0
	s_cbranch_scc1 .LBB220_6
; %bb.4:
	s_mov_b64 s[48:49], src_private_base
	s_and_b64 s[46:47], s[46:47], exec
	s_cselect_b32 s3, s49, s41
	s_cselect_b32 s33, 8, s40
	v_mov_b32_e32 v2, s33
	v_mov_b32_e32 v3, s3
	flat_load_dwordx2 v[6:7], v[2:3]
	s_and_b64 vcc, exec, s[4:5]
	v_mov_b64_e32 v[4:5], s[42:43]
	s_cbranch_vccnz .LBB220_6
; %bb.5:
	v_mov_b64_e32 v[2:3], s[40:41]
	flat_load_dwordx2 v[4:5], v[2:3] offset:8
.LBB220_6:
	s_load_dwordx2 s[0:1], s[0:1], 0x0
	v_and_b32_e32 v31, 7, v0
	v_lshrrev_b32_e32 v0, 3, v0
	v_lshlrev_b32_e32 v1, 4, v31
	v_lshl_or_b32 v27, v0, 8, v1
	v_lshlrev_b32_e32 v1, 6, v0
	v_lshlrev_b32_e32 v2, 2, v31
	s_movk_i32 s3, 0x2000
	v_or_b32_e32 v26, -8, v31
	v_or3_b32 v28, v1, v2, s3
	v_mov_b32_e32 v14, 0
	s_mov_b64 s[4:5], 0
	s_waitcnt lgkmcnt(0)
	v_mov_b32_e32 v8, s1
	v_mov_b32_e32 v15, v14
	;; [unrolled: 1-line block ×7, first 2 shown]
.LBB220_7:                              ; =>This Inner Loop Header: Depth=1
	v_add_co_u32_e32 v3, vcc, 8, v3
	s_xor_b64 s[40:41], vcc, -1
	s_and_b64 s[40:41], exec, s[40:41]
	ds_write_b32 v1, v8
	ds_write_b128 v2, v[14:17]
	v_add_u32_e32 v2, 0x80, v2
	s_or_b64 s[4:5], s[40:41], s[4:5]
	v_add_u32_e32 v1, 32, v1
	s_andn2_b64 exec, exec, s[4:5]
	s_cbranch_execnz .LBB220_7
; %bb.8:
	s_or_b64 exec, exec, s[4:5]
	s_lshl_b32 s2, s2, 5
	s_and_b32 s2, s2, 0x1fffffe0
	v_or_b32_e32 v8, s2, v0
	v_cmp_gt_i32_e32 vcc, s0, v8
	s_waitcnt lgkmcnt(0)
	s_and_saveexec_b64 s[2:3], vcc
	s_cbranch_execz .LBB220_48
; %bb.9:
	s_cmp_eq_u64 s[38:39], 0
	s_cbranch_scc1 .LBB220_11
; %bb.10:
	s_load_dword s0, s[36:37], 0x0
	s_waitcnt lgkmcnt(0)
	v_add_u32_e32 v2, s0, v8
	v_ashrrev_i32_e32 v3, 31, v2
	v_lshl_add_u64 v[2:3], v[2:3], 2, s[38:39]
	global_load_dword v8, v[2:3], off
.LBB220_11:
	v_mov_b32_e32 v1, 0x2000
	v_lshl_or_b32 v29, v0, 6, v1
	v_lshlrev_b32_e32 v30, 8, v0
	s_andn2_b64 vcc, exec, s[44:45]
	s_waitcnt vmcnt(0)
	v_ashrrev_i32_e32 v9, 31, v8
	s_cbranch_vccnz .LBB220_29
; %bb.12:
	v_lshl_add_u64 v[0:1], v[8:9], 3, s[16:17]
	global_load_dwordx4 v[0:3], v[0:1], off
	v_subrev_co_u32_e32 v16, vcc, s24, v31
	s_nop 1
	v_subb_co_u32_e64 v17, s[2:3], 0, 0, vcc
	s_waitcnt vmcnt(0)
	v_subrev_co_u32_e32 v14, vcc, s24, v2
	s_nop 1
	v_subbrev_co_u32_e32 v15, vcc, 0, v3, vcc
	v_lshl_add_u64 v[16:17], v[0:1], 0, v[16:17]
	v_cmp_lt_i64_e32 vcc, v[16:17], v[14:15]
	s_and_saveexec_b64 s[2:3], vcc
	s_cbranch_execz .LBB220_28
; %bb.13:
	s_mov_b32 s0, s25
	s_mov_b64 s[4:5], 0
	s_branch .LBB220_15
.LBB220_14:                             ;   in Loop: Header=BB220_15 Depth=1
	s_or_b64 exec, exec, s[16:17]
	v_lshl_add_u64 v[16:17], v[16:17], 0, 8
	v_cmp_ge_i64_e32 vcc, v[16:17], v[14:15]
	s_or_b64 s[4:5], vcc, s[4:5]
	s_andn2_b64 exec, exec, s[4:5]
	s_cbranch_execz .LBB220_28
.LBB220_15:                             ; =>This Loop Header: Depth=1
                                        ;     Child Loop BB220_19 Depth 2
                                        ;       Child Loop BB220_22 Depth 3
	v_lshl_add_u64 v[0:1], v[16:17], 2, s[18:19]
	global_load_dword v0, v[0:1], off
	s_waitcnt vmcnt(0)
	v_subrev_u32_e32 v0, s24, v0
	v_ashrrev_i32_e32 v1, 31, v0
	v_lshl_add_u64 v[0:1], v[0:1], 3, s[22:23]
	global_load_dwordx4 v[0:3], v[0:1], off
	s_waitcnt vmcnt(0)
	v_cmp_lt_i64_e32 vcc, v[0:1], v[2:3]
	s_and_saveexec_b64 s[16:17], vcc
	s_cbranch_execz .LBB220_14
; %bb.16:                               ;   in Loop: Header=BB220_15 Depth=1
	v_lshl_add_u64 v[18:19], v[16:17], 4, s[20:21]
	global_load_dwordx4 v[32:35], v[18:19], off
	v_subrev_co_u32_e32 v18, vcc, s0, v2
	s_mov_b64 s[36:37], 0
	s_nop 0
	v_subbrev_co_u32_e32 v19, vcc, 0, v3, vcc
	v_subrev_co_u32_e32 v20, vcc, s0, v0
	s_waitcnt vmcnt(0)
	v_mul_f64 v[22:23], v[34:35], -v[12:13]
	v_mul_f64 v[24:25], v[10:11], v[34:35]
	v_subbrev_co_u32_e32 v21, vcc, 0, v1, vcc
	v_fmac_f64_e32 v[22:23], v[10:11], v[32:33]
	v_fmac_f64_e32 v[24:25], v[12:13], v[32:33]
	s_branch .LBB220_19
.LBB220_17:                             ;   in Loop: Header=BB220_19 Depth=2
	s_or_b64 exec, exec, s[40:41]
.LBB220_18:                             ;   in Loop: Header=BB220_19 Depth=2
	s_or_b64 exec, exec, s[38:39]
	s_waitcnt vmcnt(0)
	v_mul_f64 v[34:35], v[2:3], -v[24:25]
	v_mul_f64 v[2:3], v[22:23], v[2:3]
	v_fmac_f64_e32 v[34:35], v[22:23], v[0:1]
	v_fmac_f64_e32 v[2:3], v[24:25], v[0:1]
	v_lshl_add_u32 v0, v32, 4, v30
	ds_add_f64 v0, v[34:35]
	ds_add_f64 v0, v[2:3] offset:8
	v_lshl_add_u64 v[20:21], v[20:21], 0, 1
	v_cmp_ge_i64_e32 vcc, v[20:21], v[18:19]
	s_or_b64 s[36:37], vcc, s[36:37]
	s_andn2_b64 exec, exec, s[36:37]
	s_cbranch_execz .LBB220_14
.LBB220_19:                             ;   Parent Loop BB220_15 Depth=1
                                        ; =>  This Loop Header: Depth=2
                                        ;       Child Loop BB220_22 Depth 3
	v_lshl_add_u64 v[0:1], v[20:21], 2, s[28:29]
	global_load_dword v32, v[0:1], off
	v_lshl_add_u64 v[0:1], v[20:21], 4, s[30:31]
	global_load_dwordx4 v[0:3], v[0:1], off
	s_waitcnt vmcnt(1)
	v_subrev_u32_e32 v33, s25, v32
	v_lshl_add_u32 v32, v33, 3, v33
	v_and_b32_e32 v32, 15, v32
	v_lshl_add_u32 v34, v32, 2, v29
	ds_read_b32 v35, v34
	s_waitcnt lgkmcnt(0)
	v_cmp_ne_u32_e32 vcc, v35, v33
	s_and_saveexec_b64 s[38:39], vcc
	s_cbranch_execz .LBB220_18
; %bb.20:                               ;   in Loop: Header=BB220_19 Depth=2
	s_mov_b64 s[40:41], 0
	s_branch .LBB220_22
.LBB220_21:                             ;   in Loop: Header=BB220_22 Depth=3
	s_or_b64 exec, exec, s[46:47]
	s_and_b64 s[42:43], exec, s[44:45]
	s_or_b64 s[40:41], s[42:43], s[40:41]
	s_andn2_b64 exec, exec, s[40:41]
	s_cbranch_execz .LBB220_17
.LBB220_22:                             ;   Parent Loop BB220_15 Depth=1
                                        ;     Parent Loop BB220_19 Depth=2
                                        ; =>    This Inner Loop Header: Depth=3
	v_cmp_ne_u32_e32 vcc, s1, v35
	s_mov_b64 s[42:43], 0
	s_and_saveexec_b64 s[44:45], vcc
	s_xor_b64 s[44:45], exec, s[44:45]
	s_cbranch_execz .LBB220_24
; %bb.23:                               ;   in Loop: Header=BB220_22 Depth=3
	v_add_u32_e32 v32, 1, v32
	s_mov_b64 s[42:43], exec
	v_and_b32_e32 v32, 15, v32
                                        ; implicit-def: $vgpr34
	s_andn2_saveexec_b64 s[44:45], s[44:45]
	s_cbranch_execz .LBB220_26
	s_branch .LBB220_25
.LBB220_24:                             ;   in Loop: Header=BB220_22 Depth=3
	s_andn2_saveexec_b64 s[44:45], s[44:45]
	s_cbranch_execz .LBB220_26
.LBB220_25:                             ;   in Loop: Header=BB220_22 Depth=3
	v_mov_b32_e32 v35, s1
	ds_cmpst_rtn_b32 v34, v34, v35, v33
	s_andn2_b64 s[42:43], s[42:43], exec
	s_waitcnt lgkmcnt(0)
	v_cmp_ne_u32_e32 vcc, s1, v34
	s_and_b64 s[46:47], vcc, exec
	s_or_b64 s[42:43], s[42:43], s[46:47]
.LBB220_26:                             ;   in Loop: Header=BB220_22 Depth=3
	s_or_b64 exec, exec, s[44:45]
	s_mov_b64 s[44:45], -1
                                        ; implicit-def: $vgpr34
                                        ; implicit-def: $vgpr35
	s_and_saveexec_b64 s[46:47], s[42:43]
	s_cbranch_execz .LBB220_21
; %bb.27:                               ;   in Loop: Header=BB220_22 Depth=3
	v_lshl_add_u32 v34, v32, 2, v29
	ds_read_b32 v35, v34
	s_waitcnt lgkmcnt(0)
	v_cmp_eq_u32_e32 vcc, v35, v33
	s_orn2_b64 s[44:45], vcc, exec
	s_branch .LBB220_21
.LBB220_28:
	s_or_b64 exec, exec, s[2:3]
.LBB220_29:
	s_andn2_b64 vcc, exec, s[34:35]
	s_cbranch_vccnz .LBB220_44
; %bb.30:
	v_lshl_add_u64 v[0:1], v[8:9], 3, s[8:9]
	global_load_dwordx4 v[0:3], v[0:1], off
	v_subrev_co_u32_e32 v12, vcc, s27, v31
	s_nop 1
	v_subb_co_u32_e64 v13, s[2:3], 0, 0, vcc
	s_waitcnt vmcnt(0)
	v_subrev_co_u32_e32 v10, vcc, s27, v2
	s_nop 1
	v_subbrev_co_u32_e32 v11, vcc, 0, v3, vcc
	v_lshl_add_u64 v[12:13], v[0:1], 0, v[12:13]
	v_cmp_lt_i64_e32 vcc, v[12:13], v[10:11]
	s_and_saveexec_b64 s[2:3], vcc
	s_cbranch_execz .LBB220_43
; %bb.31:
	s_mov_b64 s[4:5], 0
	s_branch .LBB220_34
.LBB220_32:                             ;   in Loop: Header=BB220_34 Depth=1
	s_or_b64 exec, exec, s[16:17]
.LBB220_33:                             ;   in Loop: Header=BB220_34 Depth=1
	s_or_b64 exec, exec, s[8:9]
	s_waitcnt vmcnt(0)
	v_mul_f64 v[16:17], v[2:3], -v[4:5]
	v_mul_f64 v[2:3], v[6:7], v[2:3]
	v_fmac_f64_e32 v[16:17], v[6:7], v[0:1]
	v_fmac_f64_e32 v[2:3], v[4:5], v[0:1]
	v_lshl_add_u32 v0, v14, 4, v30
	ds_add_f64 v0, v[16:17]
	ds_add_f64 v0, v[2:3] offset:8
	v_lshl_add_u64 v[12:13], v[12:13], 0, 8
	v_cmp_ge_i64_e32 vcc, v[12:13], v[10:11]
	s_or_b64 s[4:5], vcc, s[4:5]
	s_andn2_b64 exec, exec, s[4:5]
	s_cbranch_execz .LBB220_43
.LBB220_34:                             ; =>This Loop Header: Depth=1
                                        ;     Child Loop BB220_37 Depth 2
	v_lshl_add_u64 v[0:1], v[12:13], 2, s[10:11]
	global_load_dword v14, v[0:1], off
	v_lshl_add_u64 v[0:1], v[12:13], 4, s[12:13]
	global_load_dwordx4 v[0:3], v[0:1], off
	s_waitcnt vmcnt(1)
	v_subrev_u32_e32 v15, s27, v14
	v_lshl_add_u32 v14, v15, 3, v15
	v_and_b32_e32 v14, 15, v14
	v_lshl_add_u32 v16, v14, 2, v29
	ds_read_b32 v17, v16
	s_waitcnt lgkmcnt(0)
	v_cmp_ne_u32_e32 vcc, v17, v15
	s_and_saveexec_b64 s[8:9], vcc
	s_cbranch_execz .LBB220_33
; %bb.35:                               ;   in Loop: Header=BB220_34 Depth=1
	s_mov_b64 s[16:17], 0
	s_branch .LBB220_37
.LBB220_36:                             ;   in Loop: Header=BB220_37 Depth=2
	s_or_b64 exec, exec, s[22:23]
	s_and_b64 s[18:19], exec, s[20:21]
	s_or_b64 s[16:17], s[18:19], s[16:17]
	s_andn2_b64 exec, exec, s[16:17]
	s_cbranch_execz .LBB220_32
.LBB220_37:                             ;   Parent Loop BB220_34 Depth=1
                                        ; =>  This Inner Loop Header: Depth=2
	v_cmp_ne_u32_e32 vcc, s1, v17
	s_mov_b64 s[18:19], 0
	s_and_saveexec_b64 s[20:21], vcc
	s_xor_b64 s[20:21], exec, s[20:21]
	s_cbranch_execz .LBB220_39
; %bb.38:                               ;   in Loop: Header=BB220_37 Depth=2
	v_add_u32_e32 v14, 1, v14
	s_mov_b64 s[18:19], exec
	v_and_b32_e32 v14, 15, v14
                                        ; implicit-def: $vgpr16
	s_andn2_saveexec_b64 s[20:21], s[20:21]
	s_cbranch_execz .LBB220_41
	s_branch .LBB220_40
.LBB220_39:                             ;   in Loop: Header=BB220_37 Depth=2
	s_andn2_saveexec_b64 s[20:21], s[20:21]
	s_cbranch_execz .LBB220_41
.LBB220_40:                             ;   in Loop: Header=BB220_37 Depth=2
	v_mov_b32_e32 v17, s1
	ds_cmpst_rtn_b32 v16, v16, v17, v15
	s_andn2_b64 s[18:19], s[18:19], exec
	s_waitcnt lgkmcnt(0)
	v_cmp_ne_u32_e32 vcc, s1, v16
	s_and_b64 s[22:23], vcc, exec
	s_or_b64 s[18:19], s[18:19], s[22:23]
.LBB220_41:                             ;   in Loop: Header=BB220_37 Depth=2
	s_or_b64 exec, exec, s[20:21]
	s_mov_b64 s[20:21], -1
                                        ; implicit-def: $vgpr16
                                        ; implicit-def: $vgpr17
	s_and_saveexec_b64 s[22:23], s[18:19]
	s_cbranch_execz .LBB220_36
; %bb.42:                               ;   in Loop: Header=BB220_37 Depth=2
	v_lshl_add_u32 v16, v14, 2, v29
	ds_read_b32 v17, v16
	s_waitcnt lgkmcnt(0)
	v_cmp_eq_u32_e32 vcc, v17, v15
	s_orn2_b64 s[20:21], vcc, exec
	s_branch .LBB220_36
.LBB220_43:
	s_or_b64 exec, exec, s[2:3]
.LBB220_44:
	v_lshl_add_u64 v[0:1], v[8:9], 3, s[14:15]
	s_waitcnt lgkmcnt(0)
	global_load_dwordx2 v[0:1], v[0:1], off
	s_mov_b64 s[2:3], 0
	v_mov_b32_e32 v3, 0
	s_waitcnt vmcnt(0)
	v_subrev_co_u32_e32 v0, vcc, s26, v0
	s_nop 1
	v_subbrev_co_u32_e32 v1, vcc, 0, v1, vcc
	v_lshl_add_u64 v[0:1], v[0:1], 4, s[6:7]
	s_branch .LBB220_46
.LBB220_45:                             ;   in Loop: Header=BB220_46 Depth=1
	s_or_b64 exec, exec, s[4:5]
	v_add_co_u32_e32 v26, vcc, 8, v26
	s_xor_b64 s[4:5], vcc, -1
	s_and_b64 s[4:5], exec, s[4:5]
	v_add_u32_e32 v27, 0x80, v27
	s_or_b64 s[2:3], s[4:5], s[2:3]
	v_add_u32_e32 v28, 32, v28
	s_andn2_b64 exec, exec, s[2:3]
	s_cbranch_execz .LBB220_48
.LBB220_46:                             ; =>This Inner Loop Header: Depth=1
	ds_read_b32 v4, v28
	s_waitcnt lgkmcnt(0)
	v_cmp_gt_i32_e32 vcc, s1, v4
	s_and_saveexec_b64 s[4:5], vcc
	s_cbranch_execz .LBB220_45
; %bb.47:                               ;   in Loop: Header=BB220_46 Depth=1
	ds_read_b128 v[6:9], v29
	ds_read_b128 v[10:13], v29 offset:16
	ds_read_b128 v[14:17], v29 offset:32
	;; [unrolled: 1-line block ×3, first 2 shown]
	s_waitcnt lgkmcnt(3)
	v_cmp_gt_i32_e32 vcc, v4, v6
	s_nop 1
	v_cndmask_b32_e64 v2, 0, 1, vcc
	v_lshlrev_b32_e32 v2, 4, v2
	v_cmp_gt_i32_e32 vcc, v4, v7
	v_lshl_add_u64 v[22:23], v[0:1], 0, v[2:3]
	s_nop 0
	v_cndmask_b32_e64 v2, 0, 1, vcc
	v_lshlrev_b32_e32 v2, 4, v2
	v_cmp_gt_i32_e32 vcc, v4, v8
	v_lshl_add_u64 v[6:7], v[22:23], 0, v[2:3]
	s_nop 0
	v_cndmask_b32_e64 v2, 0, 1, vcc
	v_lshlrev_b32_e32 v2, 4, v2
	v_cmp_gt_i32_e32 vcc, v4, v9
	v_lshl_add_u64 v[6:7], v[6:7], 0, v[2:3]
	s_nop 0
	v_cndmask_b32_e64 v2, 0, 1, vcc
	v_lshlrev_b32_e32 v2, 4, v2
	s_waitcnt lgkmcnt(2)
	v_cmp_gt_i32_e32 vcc, v4, v10
	v_lshl_add_u64 v[6:7], v[6:7], 0, v[2:3]
	s_nop 0
	v_cndmask_b32_e64 v2, 0, 1, vcc
	v_lshlrev_b32_e32 v2, 4, v2
	v_cmp_gt_i32_e32 vcc, v4, v11
	v_lshl_add_u64 v[6:7], v[6:7], 0, v[2:3]
	s_nop 0
	v_cndmask_b32_e64 v2, 0, 1, vcc
	v_lshlrev_b32_e32 v2, 4, v2
	v_cmp_gt_i32_e32 vcc, v4, v12
	v_lshl_add_u64 v[6:7], v[6:7], 0, v[2:3]
	s_nop 0
	v_cndmask_b32_e64 v2, 0, 1, vcc
	v_lshlrev_b32_e32 v2, 4, v2
	v_cmp_gt_i32_e32 vcc, v4, v13
	v_lshl_add_u64 v[6:7], v[6:7], 0, v[2:3]
	s_nop 0
	v_cndmask_b32_e64 v2, 0, 1, vcc
	v_lshlrev_b32_e32 v2, 4, v2
	s_waitcnt lgkmcnt(1)
	v_cmp_gt_i32_e32 vcc, v4, v14
	v_lshl_add_u64 v[6:7], v[6:7], 0, v[2:3]
	;; [unrolled: 21-line block ×3, first 2 shown]
	s_nop 0
	v_cndmask_b32_e64 v2, 0, 1, vcc
	v_lshlrev_b32_e32 v2, 4, v2
	v_cmp_gt_i32_e32 vcc, v4, v19
	v_lshl_add_u64 v[6:7], v[6:7], 0, v[2:3]
	s_nop 0
	v_cndmask_b32_e64 v2, 0, 1, vcc
	v_lshlrev_b32_e32 v2, 4, v2
	v_cmp_gt_i32_e32 vcc, v4, v20
	v_lshl_add_u64 v[6:7], v[6:7], 0, v[2:3]
	s_nop 0
	v_cndmask_b32_e64 v2, 0, 1, vcc
	v_lshlrev_b32_e32 v2, 4, v2
	v_lshl_add_u64 v[10:11], v[6:7], 0, v[2:3]
	ds_read2_b64 v[6:9], v27 offset1:1
	v_cmp_gt_i32_e32 vcc, v4, v21
	s_nop 1
	v_cndmask_b32_e64 v2, 0, 1, vcc
	v_lshlrev_b32_e32 v2, 4, v2
	v_lshl_add_u64 v[4:5], v[10:11], 0, v[2:3]
	s_waitcnt lgkmcnt(0)
	global_store_dwordx4 v[4:5], v[6:9], off
	s_branch .LBB220_45
.LBB220_48:
	s_endpgm
	.section	.rodata,"a",@progbits
	.p2align	6, 0x0
	.amdhsa_kernel _ZN9rocsparseL38csrgemm_numeric_fill_wf_per_row_kernelILj256ELj8ELj16ELj137Eli21rocsparse_complex_numIdEEEvT4_S3_PKS3_S5_NS_24const_host_device_scalarIT5_EEPKT3_S5_PKS7_SB_S5_SD_S8_SB_S5_SD_SB_S5_PS7_21rocsparse_index_base_SF_SF_SF_bbb
		.amdhsa_group_segment_fixed_size 10240
		.amdhsa_private_segment_fixed_size 24
		.amdhsa_kernarg_size 172
		.amdhsa_user_sgpr_count 2
		.amdhsa_user_sgpr_dispatch_ptr 0
		.amdhsa_user_sgpr_queue_ptr 0
		.amdhsa_user_sgpr_kernarg_segment_ptr 1
		.amdhsa_user_sgpr_dispatch_id 0
		.amdhsa_user_sgpr_kernarg_preload_length 0
		.amdhsa_user_sgpr_kernarg_preload_offset 0
		.amdhsa_user_sgpr_private_segment_size 0
		.amdhsa_uses_dynamic_stack 0
		.amdhsa_enable_private_segment 1
		.amdhsa_system_sgpr_workgroup_id_x 1
		.amdhsa_system_sgpr_workgroup_id_y 0
		.amdhsa_system_sgpr_workgroup_id_z 0
		.amdhsa_system_sgpr_workgroup_info 0
		.amdhsa_system_vgpr_workitem_id 0
		.amdhsa_next_free_vgpr 36
		.amdhsa_next_free_sgpr 50
		.amdhsa_accum_offset 36
		.amdhsa_reserve_vcc 1
		.amdhsa_float_round_mode_32 0
		.amdhsa_float_round_mode_16_64 0
		.amdhsa_float_denorm_mode_32 3
		.amdhsa_float_denorm_mode_16_64 3
		.amdhsa_dx10_clamp 1
		.amdhsa_ieee_mode 1
		.amdhsa_fp16_overflow 0
		.amdhsa_tg_split 0
		.amdhsa_exception_fp_ieee_invalid_op 0
		.amdhsa_exception_fp_denorm_src 0
		.amdhsa_exception_fp_ieee_div_zero 0
		.amdhsa_exception_fp_ieee_overflow 0
		.amdhsa_exception_fp_ieee_underflow 0
		.amdhsa_exception_fp_ieee_inexact 0
		.amdhsa_exception_int_div_zero 0
	.end_amdhsa_kernel
	.section	.text._ZN9rocsparseL38csrgemm_numeric_fill_wf_per_row_kernelILj256ELj8ELj16ELj137Eli21rocsparse_complex_numIdEEEvT4_S3_PKS3_S5_NS_24const_host_device_scalarIT5_EEPKT3_S5_PKS7_SB_S5_SD_S8_SB_S5_SD_SB_S5_PS7_21rocsparse_index_base_SF_SF_SF_bbb,"axG",@progbits,_ZN9rocsparseL38csrgemm_numeric_fill_wf_per_row_kernelILj256ELj8ELj16ELj137Eli21rocsparse_complex_numIdEEEvT4_S3_PKS3_S5_NS_24const_host_device_scalarIT5_EEPKT3_S5_PKS7_SB_S5_SD_S8_SB_S5_SD_SB_S5_PS7_21rocsparse_index_base_SF_SF_SF_bbb,comdat
.Lfunc_end220:
	.size	_ZN9rocsparseL38csrgemm_numeric_fill_wf_per_row_kernelILj256ELj8ELj16ELj137Eli21rocsparse_complex_numIdEEEvT4_S3_PKS3_S5_NS_24const_host_device_scalarIT5_EEPKT3_S5_PKS7_SB_S5_SD_S8_SB_S5_SD_SB_S5_PS7_21rocsparse_index_base_SF_SF_SF_bbb, .Lfunc_end220-_ZN9rocsparseL38csrgemm_numeric_fill_wf_per_row_kernelILj256ELj8ELj16ELj137Eli21rocsparse_complex_numIdEEEvT4_S3_PKS3_S5_NS_24const_host_device_scalarIT5_EEPKT3_S5_PKS7_SB_S5_SD_S8_SB_S5_SD_SB_S5_PS7_21rocsparse_index_base_SF_SF_SF_bbb
                                        ; -- End function
	.set _ZN9rocsparseL38csrgemm_numeric_fill_wf_per_row_kernelILj256ELj8ELj16ELj137Eli21rocsparse_complex_numIdEEEvT4_S3_PKS3_S5_NS_24const_host_device_scalarIT5_EEPKT3_S5_PKS7_SB_S5_SD_S8_SB_S5_SD_SB_S5_PS7_21rocsparse_index_base_SF_SF_SF_bbb.num_vgpr, 36
	.set _ZN9rocsparseL38csrgemm_numeric_fill_wf_per_row_kernelILj256ELj8ELj16ELj137Eli21rocsparse_complex_numIdEEEvT4_S3_PKS3_S5_NS_24const_host_device_scalarIT5_EEPKT3_S5_PKS7_SB_S5_SD_S8_SB_S5_SD_SB_S5_PS7_21rocsparse_index_base_SF_SF_SF_bbb.num_agpr, 0
	.set _ZN9rocsparseL38csrgemm_numeric_fill_wf_per_row_kernelILj256ELj8ELj16ELj137Eli21rocsparse_complex_numIdEEEvT4_S3_PKS3_S5_NS_24const_host_device_scalarIT5_EEPKT3_S5_PKS7_SB_S5_SD_S8_SB_S5_SD_SB_S5_PS7_21rocsparse_index_base_SF_SF_SF_bbb.numbered_sgpr, 50
	.set _ZN9rocsparseL38csrgemm_numeric_fill_wf_per_row_kernelILj256ELj8ELj16ELj137Eli21rocsparse_complex_numIdEEEvT4_S3_PKS3_S5_NS_24const_host_device_scalarIT5_EEPKT3_S5_PKS7_SB_S5_SD_S8_SB_S5_SD_SB_S5_PS7_21rocsparse_index_base_SF_SF_SF_bbb.num_named_barrier, 0
	.set _ZN9rocsparseL38csrgemm_numeric_fill_wf_per_row_kernelILj256ELj8ELj16ELj137Eli21rocsparse_complex_numIdEEEvT4_S3_PKS3_S5_NS_24const_host_device_scalarIT5_EEPKT3_S5_PKS7_SB_S5_SD_S8_SB_S5_SD_SB_S5_PS7_21rocsparse_index_base_SF_SF_SF_bbb.private_seg_size, 24
	.set _ZN9rocsparseL38csrgemm_numeric_fill_wf_per_row_kernelILj256ELj8ELj16ELj137Eli21rocsparse_complex_numIdEEEvT4_S3_PKS3_S5_NS_24const_host_device_scalarIT5_EEPKT3_S5_PKS7_SB_S5_SD_S8_SB_S5_SD_SB_S5_PS7_21rocsparse_index_base_SF_SF_SF_bbb.uses_vcc, 1
	.set _ZN9rocsparseL38csrgemm_numeric_fill_wf_per_row_kernelILj256ELj8ELj16ELj137Eli21rocsparse_complex_numIdEEEvT4_S3_PKS3_S5_NS_24const_host_device_scalarIT5_EEPKT3_S5_PKS7_SB_S5_SD_S8_SB_S5_SD_SB_S5_PS7_21rocsparse_index_base_SF_SF_SF_bbb.uses_flat_scratch, 0
	.set _ZN9rocsparseL38csrgemm_numeric_fill_wf_per_row_kernelILj256ELj8ELj16ELj137Eli21rocsparse_complex_numIdEEEvT4_S3_PKS3_S5_NS_24const_host_device_scalarIT5_EEPKT3_S5_PKS7_SB_S5_SD_S8_SB_S5_SD_SB_S5_PS7_21rocsparse_index_base_SF_SF_SF_bbb.has_dyn_sized_stack, 0
	.set _ZN9rocsparseL38csrgemm_numeric_fill_wf_per_row_kernelILj256ELj8ELj16ELj137Eli21rocsparse_complex_numIdEEEvT4_S3_PKS3_S5_NS_24const_host_device_scalarIT5_EEPKT3_S5_PKS7_SB_S5_SD_S8_SB_S5_SD_SB_S5_PS7_21rocsparse_index_base_SF_SF_SF_bbb.has_recursion, 0
	.set _ZN9rocsparseL38csrgemm_numeric_fill_wf_per_row_kernelILj256ELj8ELj16ELj137Eli21rocsparse_complex_numIdEEEvT4_S3_PKS3_S5_NS_24const_host_device_scalarIT5_EEPKT3_S5_PKS7_SB_S5_SD_S8_SB_S5_SD_SB_S5_PS7_21rocsparse_index_base_SF_SF_SF_bbb.has_indirect_call, 0
	.section	.AMDGPU.csdata,"",@progbits
; Kernel info:
; codeLenInByte = 2188
; TotalNumSgprs: 56
; NumVgprs: 36
; NumAgprs: 0
; TotalNumVgprs: 36
; ScratchSize: 24
; MemoryBound: 0
; FloatMode: 240
; IeeeMode: 1
; LDSByteSize: 10240 bytes/workgroup (compile time only)
; SGPRBlocks: 6
; VGPRBlocks: 4
; NumSGPRsForWavesPerEU: 56
; NumVGPRsForWavesPerEU: 36
; AccumOffset: 36
; Occupancy: 8
; WaveLimiterHint : 1
; COMPUTE_PGM_RSRC2:SCRATCH_EN: 1
; COMPUTE_PGM_RSRC2:USER_SGPR: 2
; COMPUTE_PGM_RSRC2:TRAP_HANDLER: 0
; COMPUTE_PGM_RSRC2:TGID_X_EN: 1
; COMPUTE_PGM_RSRC2:TGID_Y_EN: 0
; COMPUTE_PGM_RSRC2:TGID_Z_EN: 0
; COMPUTE_PGM_RSRC2:TIDIG_COMP_CNT: 0
; COMPUTE_PGM_RSRC3_GFX90A:ACCUM_OFFSET: 8
; COMPUTE_PGM_RSRC3_GFX90A:TG_SPLIT: 0
	.section	.text._ZN9rocsparseL38csrgemm_numeric_fill_wf_per_row_kernelILj256ELj16ELj32ELj137Eli21rocsparse_complex_numIdEEEvT4_S3_PKS3_S5_NS_24const_host_device_scalarIT5_EEPKT3_S5_PKS7_SB_S5_SD_S8_SB_S5_SD_SB_S5_PS7_21rocsparse_index_base_SF_SF_SF_bbb,"axG",@progbits,_ZN9rocsparseL38csrgemm_numeric_fill_wf_per_row_kernelILj256ELj16ELj32ELj137Eli21rocsparse_complex_numIdEEEvT4_S3_PKS3_S5_NS_24const_host_device_scalarIT5_EEPKT3_S5_PKS7_SB_S5_SD_S8_SB_S5_SD_SB_S5_PS7_21rocsparse_index_base_SF_SF_SF_bbb,comdat
	.globl	_ZN9rocsparseL38csrgemm_numeric_fill_wf_per_row_kernelILj256ELj16ELj32ELj137Eli21rocsparse_complex_numIdEEEvT4_S3_PKS3_S5_NS_24const_host_device_scalarIT5_EEPKT3_S5_PKS7_SB_S5_SD_S8_SB_S5_SD_SB_S5_PS7_21rocsparse_index_base_SF_SF_SF_bbb ; -- Begin function _ZN9rocsparseL38csrgemm_numeric_fill_wf_per_row_kernelILj256ELj16ELj32ELj137Eli21rocsparse_complex_numIdEEEvT4_S3_PKS3_S5_NS_24const_host_device_scalarIT5_EEPKT3_S5_PKS7_SB_S5_SD_S8_SB_S5_SD_SB_S5_PS7_21rocsparse_index_base_SF_SF_SF_bbb
	.p2align	8
	.type	_ZN9rocsparseL38csrgemm_numeric_fill_wf_per_row_kernelILj256ELj16ELj32ELj137Eli21rocsparse_complex_numIdEEEvT4_S3_PKS3_S5_NS_24const_host_device_scalarIT5_EEPKT3_S5_PKS7_SB_S5_SD_S8_SB_S5_SD_SB_S5_PS7_21rocsparse_index_base_SF_SF_SF_bbb,@function
_ZN9rocsparseL38csrgemm_numeric_fill_wf_per_row_kernelILj256ELj16ELj32ELj137Eli21rocsparse_complex_numIdEEEvT4_S3_PKS3_S5_NS_24const_host_device_scalarIT5_EEPKT3_S5_PKS7_SB_S5_SD_S8_SB_S5_SD_SB_S5_PS7_21rocsparse_index_base_SF_SF_SF_bbb: ; @_ZN9rocsparseL38csrgemm_numeric_fill_wf_per_row_kernelILj256ELj16ELj32ELj137Eli21rocsparse_complex_numIdEEEvT4_S3_PKS3_S5_NS_24const_host_device_scalarIT5_EEPKT3_S5_PKS7_SB_S5_SD_S8_SB_S5_SD_SB_S5_PS7_21rocsparse_index_base_SF_SF_SF_bbb
; %bb.0:
	s_load_dword s3, s[0:1], 0xa8
	s_load_dwordx4 s[24:27], s[0:1], 0x98
	s_load_dwordx4 s[8:11], s[0:1], 0x18
	;; [unrolled: 1-line block ×3, first 2 shown]
	v_mov_b64_e32 v[4:5], 0
	s_waitcnt lgkmcnt(0)
	s_bitcmp1_b32 s3, 0
	s_cselect_b64 s[44:45], -1, 0
	s_bitcmp1_b32 s3, 16
	s_cselect_b64 s[46:47], -1, 0
	s_xor_b64 s[4:5], s[46:47], -1
	v_mov_b64_e32 v[2:3], s[8:9]
	v_cndmask_b32_e64 v1, 0, 1, s[4:5]
	scratch_store_dwordx2 off, v[2:3], off
	v_mov_b64_e32 v[2:3], s[40:41]
	s_bitcmp0_b32 s3, 0
	v_cmp_ne_u32_e64 s[4:5], 1, v1
	v_mov_b64_e32 v[10:11], 0
	v_mov_b64_e32 v[12:13], 0
	scratch_store_dwordx2 off, v[2:3], off offset:8
	s_cbranch_scc1 .LBB221_3
; %bb.1:
	s_mov_b64 s[6:7], src_private_base
	s_and_b64 s[12:13], s[46:47], exec
	s_cselect_b32 s6, s7, s9
	s_cselect_b32 s7, 0, s8
	v_mov_b32_e32 v2, s7
	v_mov_b32_e32 v3, s6
	flat_load_dwordx2 v[10:11], v[2:3]
	s_and_b64 vcc, exec, s[4:5]
	v_mov_b64_e32 v[12:13], s[10:11]
	s_cbranch_vccnz .LBB221_3
; %bb.2:
	v_mov_b64_e32 v[2:3], s[8:9]
	flat_load_dwordx2 v[12:13], v[2:3] offset:8
.LBB221_3:
	s_load_dwordx2 s[6:7], s[0:1], 0x90
	s_load_dwordx8 s[8:15], s[0:1], 0x68
	s_load_dwordx4 s[28:31], s[0:1], 0x48
	s_load_dwordx4 s[36:39], s[0:1], 0x8
	s_load_dwordx8 s[16:23], s[0:1], 0x28
	s_bitcmp1_b32 s3, 8
	s_cselect_b64 s[34:35], -1, 0
	s_bfe_u32 s3, s3, 0x10008
	s_cmp_eq_u32 s3, 0
	v_mov_b64_e32 v[6:7], 0
	s_cbranch_scc1 .LBB221_6
; %bb.4:
	s_mov_b64 s[48:49], src_private_base
	s_and_b64 s[46:47], s[46:47], exec
	s_cselect_b32 s3, s49, s41
	s_cselect_b32 s33, 8, s40
	v_mov_b32_e32 v2, s33
	v_mov_b32_e32 v3, s3
	flat_load_dwordx2 v[6:7], v[2:3]
	s_and_b64 vcc, exec, s[4:5]
	v_mov_b64_e32 v[4:5], s[42:43]
	s_cbranch_vccnz .LBB221_6
; %bb.5:
	v_mov_b64_e32 v[2:3], s[40:41]
	flat_load_dwordx2 v[4:5], v[2:3] offset:8
.LBB221_6:
	s_load_dwordx2 s[0:1], s[0:1], 0x0
	v_and_b32_e32 v31, 15, v0
	v_lshrrev_b32_e32 v0, 4, v0
	v_lshlrev_b32_e32 v1, 4, v31
	v_lshl_or_b32 v27, v0, 9, v1
	v_lshlrev_b32_e32 v1, 7, v0
	v_lshlrev_b32_e32 v2, 2, v31
	s_movk_i32 s3, 0x2000
	v_or_b32_e32 v26, -16, v31
	v_or3_b32 v28, v1, v2, s3
	v_mov_b32_e32 v14, 0
	s_mov_b64 s[4:5], 0
	s_waitcnt lgkmcnt(0)
	v_mov_b32_e32 v8, s1
	v_mov_b32_e32 v15, v14
	;; [unrolled: 1-line block ×7, first 2 shown]
.LBB221_7:                              ; =>This Inner Loop Header: Depth=1
	v_add_co_u32_e32 v3, vcc, 16, v3
	s_xor_b64 s[40:41], vcc, -1
	s_and_b64 s[40:41], exec, s[40:41]
	ds_write_b32 v1, v8
	ds_write_b128 v2, v[14:17]
	v_add_u32_e32 v2, 0x100, v2
	s_or_b64 s[4:5], s[40:41], s[4:5]
	v_add_u32_e32 v1, 64, v1
	s_andn2_b64 exec, exec, s[4:5]
	s_cbranch_execnz .LBB221_7
; %bb.8:
	s_or_b64 exec, exec, s[4:5]
	s_lshl_b32 s2, s2, 4
	s_and_b32 s2, s2, 0xffffff0
	v_or_b32_e32 v8, s2, v0
	v_cmp_gt_i32_e32 vcc, s0, v8
	s_waitcnt lgkmcnt(0)
	s_and_saveexec_b64 s[2:3], vcc
	s_cbranch_execz .LBB221_48
; %bb.9:
	s_cmp_eq_u64 s[38:39], 0
	s_cbranch_scc1 .LBB221_11
; %bb.10:
	s_load_dword s0, s[36:37], 0x0
	s_waitcnt lgkmcnt(0)
	v_add_u32_e32 v2, s0, v8
	v_ashrrev_i32_e32 v3, 31, v2
	v_lshl_add_u64 v[2:3], v[2:3], 2, s[38:39]
	global_load_dword v8, v[2:3], off
.LBB221_11:
	v_mov_b32_e32 v1, 0x2000
	v_lshl_or_b32 v29, v0, 7, v1
	v_lshlrev_b32_e32 v30, 9, v0
	s_andn2_b64 vcc, exec, s[44:45]
	s_waitcnt vmcnt(0)
	v_ashrrev_i32_e32 v9, 31, v8
	s_cbranch_vccnz .LBB221_29
; %bb.12:
	v_lshl_add_u64 v[0:1], v[8:9], 3, s[16:17]
	global_load_dwordx4 v[0:3], v[0:1], off
	v_subrev_co_u32_e32 v16, vcc, s24, v31
	s_nop 1
	v_subb_co_u32_e64 v17, s[2:3], 0, 0, vcc
	s_waitcnt vmcnt(0)
	v_subrev_co_u32_e32 v14, vcc, s24, v2
	s_nop 1
	v_subbrev_co_u32_e32 v15, vcc, 0, v3, vcc
	v_lshl_add_u64 v[16:17], v[0:1], 0, v[16:17]
	v_cmp_lt_i64_e32 vcc, v[16:17], v[14:15]
	s_and_saveexec_b64 s[2:3], vcc
	s_cbranch_execz .LBB221_28
; %bb.13:
	s_mov_b32 s0, s25
	s_mov_b64 s[4:5], 0
	s_branch .LBB221_15
.LBB221_14:                             ;   in Loop: Header=BB221_15 Depth=1
	s_or_b64 exec, exec, s[16:17]
	v_lshl_add_u64 v[16:17], v[16:17], 0, 16
	v_cmp_ge_i64_e32 vcc, v[16:17], v[14:15]
	s_or_b64 s[4:5], vcc, s[4:5]
	s_andn2_b64 exec, exec, s[4:5]
	s_cbranch_execz .LBB221_28
.LBB221_15:                             ; =>This Loop Header: Depth=1
                                        ;     Child Loop BB221_19 Depth 2
                                        ;       Child Loop BB221_22 Depth 3
	v_lshl_add_u64 v[0:1], v[16:17], 2, s[18:19]
	global_load_dword v0, v[0:1], off
	s_waitcnt vmcnt(0)
	v_subrev_u32_e32 v0, s24, v0
	v_ashrrev_i32_e32 v1, 31, v0
	v_lshl_add_u64 v[0:1], v[0:1], 3, s[22:23]
	global_load_dwordx4 v[0:3], v[0:1], off
	s_waitcnt vmcnt(0)
	v_cmp_lt_i64_e32 vcc, v[0:1], v[2:3]
	s_and_saveexec_b64 s[16:17], vcc
	s_cbranch_execz .LBB221_14
; %bb.16:                               ;   in Loop: Header=BB221_15 Depth=1
	v_lshl_add_u64 v[18:19], v[16:17], 4, s[20:21]
	global_load_dwordx4 v[32:35], v[18:19], off
	v_subrev_co_u32_e32 v18, vcc, s0, v2
	s_mov_b64 s[36:37], 0
	s_nop 0
	v_subbrev_co_u32_e32 v19, vcc, 0, v3, vcc
	v_subrev_co_u32_e32 v20, vcc, s0, v0
	s_waitcnt vmcnt(0)
	v_mul_f64 v[22:23], v[34:35], -v[12:13]
	v_mul_f64 v[24:25], v[10:11], v[34:35]
	v_subbrev_co_u32_e32 v21, vcc, 0, v1, vcc
	v_fmac_f64_e32 v[22:23], v[10:11], v[32:33]
	v_fmac_f64_e32 v[24:25], v[12:13], v[32:33]
	s_branch .LBB221_19
.LBB221_17:                             ;   in Loop: Header=BB221_19 Depth=2
	s_or_b64 exec, exec, s[40:41]
.LBB221_18:                             ;   in Loop: Header=BB221_19 Depth=2
	s_or_b64 exec, exec, s[38:39]
	s_waitcnt vmcnt(0)
	v_mul_f64 v[34:35], v[2:3], -v[24:25]
	v_mul_f64 v[2:3], v[22:23], v[2:3]
	v_fmac_f64_e32 v[34:35], v[22:23], v[0:1]
	v_fmac_f64_e32 v[2:3], v[24:25], v[0:1]
	v_lshl_add_u32 v0, v32, 4, v30
	ds_add_f64 v0, v[34:35]
	ds_add_f64 v0, v[2:3] offset:8
	v_lshl_add_u64 v[20:21], v[20:21], 0, 1
	v_cmp_ge_i64_e32 vcc, v[20:21], v[18:19]
	s_or_b64 s[36:37], vcc, s[36:37]
	s_andn2_b64 exec, exec, s[36:37]
	s_cbranch_execz .LBB221_14
.LBB221_19:                             ;   Parent Loop BB221_15 Depth=1
                                        ; =>  This Loop Header: Depth=2
                                        ;       Child Loop BB221_22 Depth 3
	v_lshl_add_u64 v[0:1], v[20:21], 2, s[28:29]
	global_load_dword v32, v[0:1], off
	v_lshl_add_u64 v[0:1], v[20:21], 4, s[30:31]
	global_load_dwordx4 v[0:3], v[0:1], off
	s_waitcnt vmcnt(1)
	v_subrev_u32_e32 v33, s25, v32
	v_lshl_add_u32 v32, v33, 3, v33
	v_and_b32_e32 v32, 31, v32
	v_lshl_add_u32 v34, v32, 2, v29
	ds_read_b32 v35, v34
	s_waitcnt lgkmcnt(0)
	v_cmp_ne_u32_e32 vcc, v35, v33
	s_and_saveexec_b64 s[38:39], vcc
	s_cbranch_execz .LBB221_18
; %bb.20:                               ;   in Loop: Header=BB221_19 Depth=2
	s_mov_b64 s[40:41], 0
	s_branch .LBB221_22
.LBB221_21:                             ;   in Loop: Header=BB221_22 Depth=3
	s_or_b64 exec, exec, s[46:47]
	s_and_b64 s[42:43], exec, s[44:45]
	s_or_b64 s[40:41], s[42:43], s[40:41]
	s_andn2_b64 exec, exec, s[40:41]
	s_cbranch_execz .LBB221_17
.LBB221_22:                             ;   Parent Loop BB221_15 Depth=1
                                        ;     Parent Loop BB221_19 Depth=2
                                        ; =>    This Inner Loop Header: Depth=3
	v_cmp_ne_u32_e32 vcc, s1, v35
	s_mov_b64 s[42:43], 0
	s_and_saveexec_b64 s[44:45], vcc
	s_xor_b64 s[44:45], exec, s[44:45]
	s_cbranch_execz .LBB221_24
; %bb.23:                               ;   in Loop: Header=BB221_22 Depth=3
	v_add_u32_e32 v32, 1, v32
	s_mov_b64 s[42:43], exec
	v_and_b32_e32 v32, 31, v32
                                        ; implicit-def: $vgpr34
	s_andn2_saveexec_b64 s[44:45], s[44:45]
	s_cbranch_execz .LBB221_26
	s_branch .LBB221_25
.LBB221_24:                             ;   in Loop: Header=BB221_22 Depth=3
	s_andn2_saveexec_b64 s[44:45], s[44:45]
	s_cbranch_execz .LBB221_26
.LBB221_25:                             ;   in Loop: Header=BB221_22 Depth=3
	v_mov_b32_e32 v35, s1
	ds_cmpst_rtn_b32 v34, v34, v35, v33
	s_andn2_b64 s[42:43], s[42:43], exec
	s_waitcnt lgkmcnt(0)
	v_cmp_ne_u32_e32 vcc, s1, v34
	s_and_b64 s[46:47], vcc, exec
	s_or_b64 s[42:43], s[42:43], s[46:47]
.LBB221_26:                             ;   in Loop: Header=BB221_22 Depth=3
	s_or_b64 exec, exec, s[44:45]
	s_mov_b64 s[44:45], -1
                                        ; implicit-def: $vgpr34
                                        ; implicit-def: $vgpr35
	s_and_saveexec_b64 s[46:47], s[42:43]
	s_cbranch_execz .LBB221_21
; %bb.27:                               ;   in Loop: Header=BB221_22 Depth=3
	v_lshl_add_u32 v34, v32, 2, v29
	ds_read_b32 v35, v34
	s_waitcnt lgkmcnt(0)
	v_cmp_eq_u32_e32 vcc, v35, v33
	s_orn2_b64 s[44:45], vcc, exec
	s_branch .LBB221_21
.LBB221_28:
	s_or_b64 exec, exec, s[2:3]
.LBB221_29:
	s_andn2_b64 vcc, exec, s[34:35]
	s_cbranch_vccnz .LBB221_44
; %bb.30:
	v_lshl_add_u64 v[0:1], v[8:9], 3, s[8:9]
	global_load_dwordx4 v[0:3], v[0:1], off
	v_subrev_co_u32_e32 v12, vcc, s27, v31
	s_nop 1
	v_subb_co_u32_e64 v13, s[2:3], 0, 0, vcc
	s_waitcnt vmcnt(0)
	v_subrev_co_u32_e32 v10, vcc, s27, v2
	s_nop 1
	v_subbrev_co_u32_e32 v11, vcc, 0, v3, vcc
	v_lshl_add_u64 v[12:13], v[0:1], 0, v[12:13]
	v_cmp_lt_i64_e32 vcc, v[12:13], v[10:11]
	s_and_saveexec_b64 s[2:3], vcc
	s_cbranch_execz .LBB221_43
; %bb.31:
	s_mov_b64 s[4:5], 0
	s_branch .LBB221_34
.LBB221_32:                             ;   in Loop: Header=BB221_34 Depth=1
	s_or_b64 exec, exec, s[16:17]
.LBB221_33:                             ;   in Loop: Header=BB221_34 Depth=1
	s_or_b64 exec, exec, s[8:9]
	s_waitcnt vmcnt(0)
	v_mul_f64 v[16:17], v[2:3], -v[4:5]
	v_mul_f64 v[2:3], v[6:7], v[2:3]
	v_fmac_f64_e32 v[16:17], v[6:7], v[0:1]
	v_fmac_f64_e32 v[2:3], v[4:5], v[0:1]
	v_lshl_add_u32 v0, v14, 4, v30
	ds_add_f64 v0, v[16:17]
	ds_add_f64 v0, v[2:3] offset:8
	v_lshl_add_u64 v[12:13], v[12:13], 0, 16
	v_cmp_ge_i64_e32 vcc, v[12:13], v[10:11]
	s_or_b64 s[4:5], vcc, s[4:5]
	s_andn2_b64 exec, exec, s[4:5]
	s_cbranch_execz .LBB221_43
.LBB221_34:                             ; =>This Loop Header: Depth=1
                                        ;     Child Loop BB221_37 Depth 2
	v_lshl_add_u64 v[0:1], v[12:13], 2, s[10:11]
	global_load_dword v14, v[0:1], off
	v_lshl_add_u64 v[0:1], v[12:13], 4, s[12:13]
	global_load_dwordx4 v[0:3], v[0:1], off
	s_waitcnt vmcnt(1)
	v_subrev_u32_e32 v15, s27, v14
	v_lshl_add_u32 v14, v15, 3, v15
	v_and_b32_e32 v14, 31, v14
	v_lshl_add_u32 v16, v14, 2, v29
	ds_read_b32 v17, v16
	s_waitcnt lgkmcnt(0)
	v_cmp_ne_u32_e32 vcc, v17, v15
	s_and_saveexec_b64 s[8:9], vcc
	s_cbranch_execz .LBB221_33
; %bb.35:                               ;   in Loop: Header=BB221_34 Depth=1
	s_mov_b64 s[16:17], 0
	s_branch .LBB221_37
.LBB221_36:                             ;   in Loop: Header=BB221_37 Depth=2
	s_or_b64 exec, exec, s[22:23]
	s_and_b64 s[18:19], exec, s[20:21]
	s_or_b64 s[16:17], s[18:19], s[16:17]
	s_andn2_b64 exec, exec, s[16:17]
	s_cbranch_execz .LBB221_32
.LBB221_37:                             ;   Parent Loop BB221_34 Depth=1
                                        ; =>  This Inner Loop Header: Depth=2
	v_cmp_ne_u32_e32 vcc, s1, v17
	s_mov_b64 s[18:19], 0
	s_and_saveexec_b64 s[20:21], vcc
	s_xor_b64 s[20:21], exec, s[20:21]
	s_cbranch_execz .LBB221_39
; %bb.38:                               ;   in Loop: Header=BB221_37 Depth=2
	v_add_u32_e32 v14, 1, v14
	s_mov_b64 s[18:19], exec
	v_and_b32_e32 v14, 31, v14
                                        ; implicit-def: $vgpr16
	s_andn2_saveexec_b64 s[20:21], s[20:21]
	s_cbranch_execz .LBB221_41
	s_branch .LBB221_40
.LBB221_39:                             ;   in Loop: Header=BB221_37 Depth=2
	s_andn2_saveexec_b64 s[20:21], s[20:21]
	s_cbranch_execz .LBB221_41
.LBB221_40:                             ;   in Loop: Header=BB221_37 Depth=2
	v_mov_b32_e32 v17, s1
	ds_cmpst_rtn_b32 v16, v16, v17, v15
	s_andn2_b64 s[18:19], s[18:19], exec
	s_waitcnt lgkmcnt(0)
	v_cmp_ne_u32_e32 vcc, s1, v16
	s_and_b64 s[22:23], vcc, exec
	s_or_b64 s[18:19], s[18:19], s[22:23]
.LBB221_41:                             ;   in Loop: Header=BB221_37 Depth=2
	s_or_b64 exec, exec, s[20:21]
	s_mov_b64 s[20:21], -1
                                        ; implicit-def: $vgpr16
                                        ; implicit-def: $vgpr17
	s_and_saveexec_b64 s[22:23], s[18:19]
	s_cbranch_execz .LBB221_36
; %bb.42:                               ;   in Loop: Header=BB221_37 Depth=2
	v_lshl_add_u32 v16, v14, 2, v29
	ds_read_b32 v17, v16
	s_waitcnt lgkmcnt(0)
	v_cmp_eq_u32_e32 vcc, v17, v15
	s_orn2_b64 s[20:21], vcc, exec
	s_branch .LBB221_36
.LBB221_43:
	s_or_b64 exec, exec, s[2:3]
.LBB221_44:
	v_lshl_add_u64 v[0:1], v[8:9], 3, s[14:15]
	s_waitcnt lgkmcnt(0)
	global_load_dwordx2 v[0:1], v[0:1], off
	s_mov_b64 s[2:3], 0
	v_mov_b32_e32 v3, 0
	s_waitcnt vmcnt(0)
	v_subrev_co_u32_e32 v0, vcc, s26, v0
	s_nop 1
	v_subbrev_co_u32_e32 v1, vcc, 0, v1, vcc
	v_lshl_add_u64 v[0:1], v[0:1], 4, s[6:7]
	s_branch .LBB221_46
.LBB221_45:                             ;   in Loop: Header=BB221_46 Depth=1
	s_or_b64 exec, exec, s[4:5]
	v_add_co_u32_e32 v26, vcc, 16, v26
	s_xor_b64 s[4:5], vcc, -1
	s_and_b64 s[4:5], exec, s[4:5]
	v_add_u32_e32 v27, 0x100, v27
	s_or_b64 s[2:3], s[4:5], s[2:3]
	v_add_u32_e32 v28, 64, v28
	s_andn2_b64 exec, exec, s[2:3]
	s_cbranch_execz .LBB221_48
.LBB221_46:                             ; =>This Inner Loop Header: Depth=1
	ds_read_b32 v4, v28
	s_waitcnt lgkmcnt(0)
	v_cmp_gt_i32_e32 vcc, s1, v4
	s_and_saveexec_b64 s[4:5], vcc
	s_cbranch_execz .LBB221_45
; %bb.47:                               ;   in Loop: Header=BB221_46 Depth=1
	ds_read_b128 v[6:9], v29
	ds_read_b128 v[10:13], v29 offset:16
	ds_read_b128 v[14:17], v29 offset:32
	;; [unrolled: 1-line block ×7, first 2 shown]
	s_waitcnt lgkmcnt(7)
	v_cmp_gt_i32_e32 vcc, v4, v6
	s_nop 1
	v_cndmask_b32_e64 v2, 0, 1, vcc
	v_lshlrev_b32_e32 v2, 4, v2
	v_cmp_gt_i32_e32 vcc, v4, v7
	v_lshl_add_u64 v[42:43], v[0:1], 0, v[2:3]
	s_nop 0
	v_cndmask_b32_e64 v2, 0, 1, vcc
	v_lshlrev_b32_e32 v2, 4, v2
	v_cmp_gt_i32_e32 vcc, v4, v8
	v_lshl_add_u64 v[6:7], v[42:43], 0, v[2:3]
	s_nop 0
	v_cndmask_b32_e64 v2, 0, 1, vcc
	v_lshlrev_b32_e32 v2, 4, v2
	v_cmp_gt_i32_e32 vcc, v4, v9
	v_lshl_add_u64 v[6:7], v[6:7], 0, v[2:3]
	s_nop 0
	v_cndmask_b32_e64 v2, 0, 1, vcc
	v_lshlrev_b32_e32 v2, 4, v2
	s_waitcnt lgkmcnt(6)
	v_cmp_gt_i32_e32 vcc, v4, v10
	v_lshl_add_u64 v[6:7], v[6:7], 0, v[2:3]
	s_nop 0
	v_cndmask_b32_e64 v2, 0, 1, vcc
	v_lshlrev_b32_e32 v2, 4, v2
	v_cmp_gt_i32_e32 vcc, v4, v11
	v_lshl_add_u64 v[6:7], v[6:7], 0, v[2:3]
	s_nop 0
	v_cndmask_b32_e64 v2, 0, 1, vcc
	v_lshlrev_b32_e32 v2, 4, v2
	v_cmp_gt_i32_e32 vcc, v4, v12
	v_lshl_add_u64 v[6:7], v[6:7], 0, v[2:3]
	s_nop 0
	v_cndmask_b32_e64 v2, 0, 1, vcc
	v_lshlrev_b32_e32 v2, 4, v2
	v_cmp_gt_i32_e32 vcc, v4, v13
	v_lshl_add_u64 v[6:7], v[6:7], 0, v[2:3]
	s_nop 0
	v_cndmask_b32_e64 v2, 0, 1, vcc
	v_lshlrev_b32_e32 v2, 4, v2
	s_waitcnt lgkmcnt(5)
	v_cmp_gt_i32_e32 vcc, v4, v14
	v_lshl_add_u64 v[6:7], v[6:7], 0, v[2:3]
	s_nop 0
	v_cndmask_b32_e64 v2, 0, 1, vcc
	v_lshlrev_b32_e32 v2, 4, v2
	v_cmp_gt_i32_e32 vcc, v4, v15
	v_lshl_add_u64 v[6:7], v[6:7], 0, v[2:3]
	s_nop 0
	v_cndmask_b32_e64 v2, 0, 1, vcc
	v_lshlrev_b32_e32 v2, 4, v2
	v_cmp_gt_i32_e32 vcc, v4, v16
	v_lshl_add_u64 v[6:7], v[6:7], 0, v[2:3]
	s_nop 0
	v_cndmask_b32_e64 v2, 0, 1, vcc
	v_lshlrev_b32_e32 v2, 4, v2
	v_cmp_gt_i32_e32 vcc, v4, v17
	v_lshl_add_u64 v[6:7], v[6:7], 0, v[2:3]
	s_nop 0
	v_cndmask_b32_e64 v2, 0, 1, vcc
	v_lshlrev_b32_e32 v2, 4, v2
	s_waitcnt lgkmcnt(4)
	v_cmp_gt_i32_e32 vcc, v4, v18
	v_lshl_add_u64 v[6:7], v[6:7], 0, v[2:3]
	s_nop 0
	v_cndmask_b32_e64 v2, 0, 1, vcc
	v_lshlrev_b32_e32 v2, 4, v2
	v_cmp_gt_i32_e32 vcc, v4, v19
	v_lshl_add_u64 v[6:7], v[6:7], 0, v[2:3]
	s_nop 0
	v_cndmask_b32_e64 v2, 0, 1, vcc
	v_lshlrev_b32_e32 v2, 4, v2
	v_cmp_gt_i32_e32 vcc, v4, v20
	v_lshl_add_u64 v[6:7], v[6:7], 0, v[2:3]
	s_nop 0
	v_cndmask_b32_e64 v2, 0, 1, vcc
	v_lshlrev_b32_e32 v2, 4, v2
	v_cmp_gt_i32_e32 vcc, v4, v21
	v_lshl_add_u64 v[6:7], v[6:7], 0, v[2:3]
	s_nop 0
	v_cndmask_b32_e64 v2, 0, 1, vcc
	v_lshlrev_b32_e32 v2, 4, v2
	s_waitcnt lgkmcnt(3)
	v_cmp_gt_i32_e32 vcc, v4, v22
	v_lshl_add_u64 v[6:7], v[6:7], 0, v[2:3]
	s_nop 0
	v_cndmask_b32_e64 v2, 0, 1, vcc
	v_lshlrev_b32_e32 v2, 4, v2
	v_cmp_gt_i32_e32 vcc, v4, v23
	v_lshl_add_u64 v[6:7], v[6:7], 0, v[2:3]
	s_nop 0
	v_cndmask_b32_e64 v2, 0, 1, vcc
	v_lshlrev_b32_e32 v2, 4, v2
	v_cmp_gt_i32_e32 vcc, v4, v24
	v_lshl_add_u64 v[6:7], v[6:7], 0, v[2:3]
	s_nop 0
	v_cndmask_b32_e64 v2, 0, 1, vcc
	v_lshlrev_b32_e32 v2, 4, v2
	v_cmp_gt_i32_e32 vcc, v4, v25
	v_lshl_add_u64 v[6:7], v[6:7], 0, v[2:3]
	s_nop 0
	v_cndmask_b32_e64 v2, 0, 1, vcc
	v_lshlrev_b32_e32 v2, 4, v2
	s_waitcnt lgkmcnt(2)
	v_cmp_gt_i32_e32 vcc, v4, v30
	v_lshl_add_u64 v[6:7], v[6:7], 0, v[2:3]
	s_nop 0
	v_cndmask_b32_e64 v2, 0, 1, vcc
	v_lshlrev_b32_e32 v2, 4, v2
	v_cmp_gt_i32_e32 vcc, v4, v31
	v_lshl_add_u64 v[6:7], v[6:7], 0, v[2:3]
	s_nop 0
	v_cndmask_b32_e64 v2, 0, 1, vcc
	v_lshlrev_b32_e32 v2, 4, v2
	v_cmp_gt_i32_e32 vcc, v4, v32
	v_lshl_add_u64 v[6:7], v[6:7], 0, v[2:3]
	s_nop 0
	v_cndmask_b32_e64 v2, 0, 1, vcc
	v_lshlrev_b32_e32 v2, 4, v2
	v_cmp_gt_i32_e32 vcc, v4, v33
	v_lshl_add_u64 v[6:7], v[6:7], 0, v[2:3]
	s_nop 0
	v_cndmask_b32_e64 v2, 0, 1, vcc
	v_lshlrev_b32_e32 v2, 4, v2
	s_waitcnt lgkmcnt(1)
	v_cmp_gt_i32_e32 vcc, v4, v34
	v_lshl_add_u64 v[6:7], v[6:7], 0, v[2:3]
	s_nop 0
	v_cndmask_b32_e64 v2, 0, 1, vcc
	v_lshlrev_b32_e32 v2, 4, v2
	v_cmp_gt_i32_e32 vcc, v4, v35
	v_lshl_add_u64 v[6:7], v[6:7], 0, v[2:3]
	s_nop 0
	v_cndmask_b32_e64 v2, 0, 1, vcc
	v_lshlrev_b32_e32 v2, 4, v2
	v_cmp_gt_i32_e32 vcc, v4, v36
	v_lshl_add_u64 v[6:7], v[6:7], 0, v[2:3]
	s_nop 0
	v_cndmask_b32_e64 v2, 0, 1, vcc
	v_lshlrev_b32_e32 v2, 4, v2
	v_cmp_gt_i32_e32 vcc, v4, v37
	v_lshl_add_u64 v[6:7], v[6:7], 0, v[2:3]
	s_nop 0
	v_cndmask_b32_e64 v2, 0, 1, vcc
	v_lshlrev_b32_e32 v2, 4, v2
	s_waitcnt lgkmcnt(0)
	v_cmp_gt_i32_e32 vcc, v4, v38
	v_lshl_add_u64 v[6:7], v[6:7], 0, v[2:3]
	s_nop 0
	v_cndmask_b32_e64 v2, 0, 1, vcc
	v_lshlrev_b32_e32 v2, 4, v2
	v_cmp_gt_i32_e32 vcc, v4, v39
	v_lshl_add_u64 v[6:7], v[6:7], 0, v[2:3]
	s_nop 0
	v_cndmask_b32_e64 v2, 0, 1, vcc
	v_lshlrev_b32_e32 v2, 4, v2
	v_cmp_gt_i32_e32 vcc, v4, v40
	v_lshl_add_u64 v[6:7], v[6:7], 0, v[2:3]
	s_nop 0
	v_cndmask_b32_e64 v2, 0, 1, vcc
	v_lshlrev_b32_e32 v2, 4, v2
	v_lshl_add_u64 v[10:11], v[6:7], 0, v[2:3]
	ds_read2_b64 v[6:9], v27 offset1:1
	v_cmp_gt_i32_e32 vcc, v4, v41
	s_nop 1
	v_cndmask_b32_e64 v2, 0, 1, vcc
	v_lshlrev_b32_e32 v2, 4, v2
	v_lshl_add_u64 v[4:5], v[10:11], 0, v[2:3]
	s_waitcnt lgkmcnt(0)
	global_store_dwordx4 v[4:5], v[6:9], off
	s_branch .LBB221_45
.LBB221_48:
	s_endpgm
	.section	.rodata,"a",@progbits
	.p2align	6, 0x0
	.amdhsa_kernel _ZN9rocsparseL38csrgemm_numeric_fill_wf_per_row_kernelILj256ELj16ELj32ELj137Eli21rocsparse_complex_numIdEEEvT4_S3_PKS3_S5_NS_24const_host_device_scalarIT5_EEPKT3_S5_PKS7_SB_S5_SD_S8_SB_S5_SD_SB_S5_PS7_21rocsparse_index_base_SF_SF_SF_bbb
		.amdhsa_group_segment_fixed_size 10240
		.amdhsa_private_segment_fixed_size 24
		.amdhsa_kernarg_size 172
		.amdhsa_user_sgpr_count 2
		.amdhsa_user_sgpr_dispatch_ptr 0
		.amdhsa_user_sgpr_queue_ptr 0
		.amdhsa_user_sgpr_kernarg_segment_ptr 1
		.amdhsa_user_sgpr_dispatch_id 0
		.amdhsa_user_sgpr_kernarg_preload_length 0
		.amdhsa_user_sgpr_kernarg_preload_offset 0
		.amdhsa_user_sgpr_private_segment_size 0
		.amdhsa_uses_dynamic_stack 0
		.amdhsa_enable_private_segment 1
		.amdhsa_system_sgpr_workgroup_id_x 1
		.amdhsa_system_sgpr_workgroup_id_y 0
		.amdhsa_system_sgpr_workgroup_id_z 0
		.amdhsa_system_sgpr_workgroup_info 0
		.amdhsa_system_vgpr_workitem_id 0
		.amdhsa_next_free_vgpr 44
		.amdhsa_next_free_sgpr 50
		.amdhsa_accum_offset 44
		.amdhsa_reserve_vcc 1
		.amdhsa_float_round_mode_32 0
		.amdhsa_float_round_mode_16_64 0
		.amdhsa_float_denorm_mode_32 3
		.amdhsa_float_denorm_mode_16_64 3
		.amdhsa_dx10_clamp 1
		.amdhsa_ieee_mode 1
		.amdhsa_fp16_overflow 0
		.amdhsa_tg_split 0
		.amdhsa_exception_fp_ieee_invalid_op 0
		.amdhsa_exception_fp_denorm_src 0
		.amdhsa_exception_fp_ieee_div_zero 0
		.amdhsa_exception_fp_ieee_overflow 0
		.amdhsa_exception_fp_ieee_underflow 0
		.amdhsa_exception_fp_ieee_inexact 0
		.amdhsa_exception_int_div_zero 0
	.end_amdhsa_kernel
	.section	.text._ZN9rocsparseL38csrgemm_numeric_fill_wf_per_row_kernelILj256ELj16ELj32ELj137Eli21rocsparse_complex_numIdEEEvT4_S3_PKS3_S5_NS_24const_host_device_scalarIT5_EEPKT3_S5_PKS7_SB_S5_SD_S8_SB_S5_SD_SB_S5_PS7_21rocsparse_index_base_SF_SF_SF_bbb,"axG",@progbits,_ZN9rocsparseL38csrgemm_numeric_fill_wf_per_row_kernelILj256ELj16ELj32ELj137Eli21rocsparse_complex_numIdEEEvT4_S3_PKS3_S5_NS_24const_host_device_scalarIT5_EEPKT3_S5_PKS7_SB_S5_SD_S8_SB_S5_SD_SB_S5_PS7_21rocsparse_index_base_SF_SF_SF_bbb,comdat
.Lfunc_end221:
	.size	_ZN9rocsparseL38csrgemm_numeric_fill_wf_per_row_kernelILj256ELj16ELj32ELj137Eli21rocsparse_complex_numIdEEEvT4_S3_PKS3_S5_NS_24const_host_device_scalarIT5_EEPKT3_S5_PKS7_SB_S5_SD_S8_SB_S5_SD_SB_S5_PS7_21rocsparse_index_base_SF_SF_SF_bbb, .Lfunc_end221-_ZN9rocsparseL38csrgemm_numeric_fill_wf_per_row_kernelILj256ELj16ELj32ELj137Eli21rocsparse_complex_numIdEEEvT4_S3_PKS3_S5_NS_24const_host_device_scalarIT5_EEPKT3_S5_PKS7_SB_S5_SD_S8_SB_S5_SD_SB_S5_PS7_21rocsparse_index_base_SF_SF_SF_bbb
                                        ; -- End function
	.set _ZN9rocsparseL38csrgemm_numeric_fill_wf_per_row_kernelILj256ELj16ELj32ELj137Eli21rocsparse_complex_numIdEEEvT4_S3_PKS3_S5_NS_24const_host_device_scalarIT5_EEPKT3_S5_PKS7_SB_S5_SD_S8_SB_S5_SD_SB_S5_PS7_21rocsparse_index_base_SF_SF_SF_bbb.num_vgpr, 44
	.set _ZN9rocsparseL38csrgemm_numeric_fill_wf_per_row_kernelILj256ELj16ELj32ELj137Eli21rocsparse_complex_numIdEEEvT4_S3_PKS3_S5_NS_24const_host_device_scalarIT5_EEPKT3_S5_PKS7_SB_S5_SD_S8_SB_S5_SD_SB_S5_PS7_21rocsparse_index_base_SF_SF_SF_bbb.num_agpr, 0
	.set _ZN9rocsparseL38csrgemm_numeric_fill_wf_per_row_kernelILj256ELj16ELj32ELj137Eli21rocsparse_complex_numIdEEEvT4_S3_PKS3_S5_NS_24const_host_device_scalarIT5_EEPKT3_S5_PKS7_SB_S5_SD_S8_SB_S5_SD_SB_S5_PS7_21rocsparse_index_base_SF_SF_SF_bbb.numbered_sgpr, 50
	.set _ZN9rocsparseL38csrgemm_numeric_fill_wf_per_row_kernelILj256ELj16ELj32ELj137Eli21rocsparse_complex_numIdEEEvT4_S3_PKS3_S5_NS_24const_host_device_scalarIT5_EEPKT3_S5_PKS7_SB_S5_SD_S8_SB_S5_SD_SB_S5_PS7_21rocsparse_index_base_SF_SF_SF_bbb.num_named_barrier, 0
	.set _ZN9rocsparseL38csrgemm_numeric_fill_wf_per_row_kernelILj256ELj16ELj32ELj137Eli21rocsparse_complex_numIdEEEvT4_S3_PKS3_S5_NS_24const_host_device_scalarIT5_EEPKT3_S5_PKS7_SB_S5_SD_S8_SB_S5_SD_SB_S5_PS7_21rocsparse_index_base_SF_SF_SF_bbb.private_seg_size, 24
	.set _ZN9rocsparseL38csrgemm_numeric_fill_wf_per_row_kernelILj256ELj16ELj32ELj137Eli21rocsparse_complex_numIdEEEvT4_S3_PKS3_S5_NS_24const_host_device_scalarIT5_EEPKT3_S5_PKS7_SB_S5_SD_S8_SB_S5_SD_SB_S5_PS7_21rocsparse_index_base_SF_SF_SF_bbb.uses_vcc, 1
	.set _ZN9rocsparseL38csrgemm_numeric_fill_wf_per_row_kernelILj256ELj16ELj32ELj137Eli21rocsparse_complex_numIdEEEvT4_S3_PKS3_S5_NS_24const_host_device_scalarIT5_EEPKT3_S5_PKS7_SB_S5_SD_S8_SB_S5_SD_SB_S5_PS7_21rocsparse_index_base_SF_SF_SF_bbb.uses_flat_scratch, 0
	.set _ZN9rocsparseL38csrgemm_numeric_fill_wf_per_row_kernelILj256ELj16ELj32ELj137Eli21rocsparse_complex_numIdEEEvT4_S3_PKS3_S5_NS_24const_host_device_scalarIT5_EEPKT3_S5_PKS7_SB_S5_SD_S8_SB_S5_SD_SB_S5_PS7_21rocsparse_index_base_SF_SF_SF_bbb.has_dyn_sized_stack, 0
	.set _ZN9rocsparseL38csrgemm_numeric_fill_wf_per_row_kernelILj256ELj16ELj32ELj137Eli21rocsparse_complex_numIdEEEvT4_S3_PKS3_S5_NS_24const_host_device_scalarIT5_EEPKT3_S5_PKS7_SB_S5_SD_S8_SB_S5_SD_SB_S5_PS7_21rocsparse_index_base_SF_SF_SF_bbb.has_recursion, 0
	.set _ZN9rocsparseL38csrgemm_numeric_fill_wf_per_row_kernelILj256ELj16ELj32ELj137Eli21rocsparse_complex_numIdEEEvT4_S3_PKS3_S5_NS_24const_host_device_scalarIT5_EEPKT3_S5_PKS7_SB_S5_SD_S8_SB_S5_SD_SB_S5_PS7_21rocsparse_index_base_SF_SF_SF_bbb.has_indirect_call, 0
	.section	.AMDGPU.csdata,"",@progbits
; Kernel info:
; codeLenInByte = 2684
; TotalNumSgprs: 56
; NumVgprs: 44
; NumAgprs: 0
; TotalNumVgprs: 44
; ScratchSize: 24
; MemoryBound: 0
; FloatMode: 240
; IeeeMode: 1
; LDSByteSize: 10240 bytes/workgroup (compile time only)
; SGPRBlocks: 6
; VGPRBlocks: 5
; NumSGPRsForWavesPerEU: 56
; NumVGPRsForWavesPerEU: 44
; AccumOffset: 44
; Occupancy: 8
; WaveLimiterHint : 1
; COMPUTE_PGM_RSRC2:SCRATCH_EN: 1
; COMPUTE_PGM_RSRC2:USER_SGPR: 2
; COMPUTE_PGM_RSRC2:TRAP_HANDLER: 0
; COMPUTE_PGM_RSRC2:TGID_X_EN: 1
; COMPUTE_PGM_RSRC2:TGID_Y_EN: 0
; COMPUTE_PGM_RSRC2:TGID_Z_EN: 0
; COMPUTE_PGM_RSRC2:TIDIG_COMP_CNT: 0
; COMPUTE_PGM_RSRC3_GFX90A:ACCUM_OFFSET: 10
; COMPUTE_PGM_RSRC3_GFX90A:TG_SPLIT: 0
	.section	.text._ZN9rocsparseL41csrgemm_numeric_fill_block_per_row_kernelILj128ELj16ELj256ELj137ELj32Eli21rocsparse_complex_numIdEEEvT5_PKS3_S5_NS_24const_host_device_scalarIT6_EEPKT4_S5_PKS7_SB_S5_SD_S8_SB_S5_SD_SB_S5_PS7_21rocsparse_index_base_SF_SF_SF_bbb,"axG",@progbits,_ZN9rocsparseL41csrgemm_numeric_fill_block_per_row_kernelILj128ELj16ELj256ELj137ELj32Eli21rocsparse_complex_numIdEEEvT5_PKS3_S5_NS_24const_host_device_scalarIT6_EEPKT4_S5_PKS7_SB_S5_SD_S8_SB_S5_SD_SB_S5_PS7_21rocsparse_index_base_SF_SF_SF_bbb,comdat
	.globl	_ZN9rocsparseL41csrgemm_numeric_fill_block_per_row_kernelILj128ELj16ELj256ELj137ELj32Eli21rocsparse_complex_numIdEEEvT5_PKS3_S5_NS_24const_host_device_scalarIT6_EEPKT4_S5_PKS7_SB_S5_SD_S8_SB_S5_SD_SB_S5_PS7_21rocsparse_index_base_SF_SF_SF_bbb ; -- Begin function _ZN9rocsparseL41csrgemm_numeric_fill_block_per_row_kernelILj128ELj16ELj256ELj137ELj32Eli21rocsparse_complex_numIdEEEvT5_PKS3_S5_NS_24const_host_device_scalarIT6_EEPKT4_S5_PKS7_SB_S5_SD_S8_SB_S5_SD_SB_S5_PS7_21rocsparse_index_base_SF_SF_SF_bbb
	.p2align	8
	.type	_ZN9rocsparseL41csrgemm_numeric_fill_block_per_row_kernelILj128ELj16ELj256ELj137ELj32Eli21rocsparse_complex_numIdEEEvT5_PKS3_S5_NS_24const_host_device_scalarIT6_EEPKT4_S5_PKS7_SB_S5_SD_S8_SB_S5_SD_SB_S5_PS7_21rocsparse_index_base_SF_SF_SF_bbb,@function
_ZN9rocsparseL41csrgemm_numeric_fill_block_per_row_kernelILj128ELj16ELj256ELj137ELj32Eli21rocsparse_complex_numIdEEEvT5_PKS3_S5_NS_24const_host_device_scalarIT6_EEPKT4_S5_PKS7_SB_S5_SD_S8_SB_S5_SD_SB_S5_PS7_21rocsparse_index_base_SF_SF_SF_bbb: ; @_ZN9rocsparseL41csrgemm_numeric_fill_block_per_row_kernelILj128ELj16ELj256ELj137ELj32Eli21rocsparse_complex_numIdEEEvT5_PKS3_S5_NS_24const_host_device_scalarIT6_EEPKT4_S5_PKS7_SB_S5_SD_S8_SB_S5_SD_SB_S5_PS7_21rocsparse_index_base_SF_SF_SF_bbb
; %bb.0:
	s_load_dword s3, s[0:1], 0xa8
	s_load_dwordx4 s[12:15], s[0:1], 0x18
	s_load_dwordx4 s[8:11], s[0:1], 0x58
	v_mov_b64_e32 v[6:7], 0
	v_mov_b64_e32 v[10:11], 0
	s_waitcnt lgkmcnt(0)
	s_bitcmp1_b32 s3, 0
	s_cselect_b64 s[38:39], -1, 0
	s_bitcmp1_b32 s3, 16
	s_cselect_b64 s[6:7], -1, 0
	s_xor_b64 s[4:5], s[6:7], -1
	v_mov_b64_e32 v[2:3], s[12:13]
	v_cndmask_b32_e64 v1, 0, 1, s[4:5]
	scratch_store_dwordx2 off, v[2:3], off offset:16
	v_mov_b64_e32 v[2:3], s[8:9]
	s_bitcmp0_b32 s3, 0
	v_cmp_ne_u32_e64 s[4:5], 1, v1
	v_mov_b64_e32 v[12:13], 0
	scratch_store_dwordx2 off, v[2:3], off offset:24
	s_cbranch_scc1 .LBB222_3
; %bb.1:
	s_mov_b64 s[16:17], src_private_base
	s_and_b64 s[18:19], s[6:7], exec
	s_cselect_b32 s16, s17, s13
	s_cselect_b32 s17, 16, s12
	v_mov_b32_e32 v2, s17
	v_mov_b32_e32 v3, s16
	flat_load_dwordx2 v[10:11], v[2:3]
	s_and_b64 vcc, exec, s[4:5]
	v_mov_b64_e32 v[12:13], s[14:15]
	s_cbranch_vccnz .LBB222_3
; %bb.2:
	v_mov_b64_e32 v[2:3], s[12:13]
	flat_load_dwordx2 v[12:13], v[2:3] offset:8
.LBB222_3:
	s_load_dwordx4 s[20:23], s[0:1], 0x98
	s_bitcmp1_b32 s3, 8
	s_cselect_b64 s[36:37], -1, 0
	s_bfe_u32 s3, s3, 0x10008
	s_cmp_eq_u32 s3, 0
	v_mov_b64_e32 v[8:9], 0
	s_cbranch_scc1 .LBB222_6
; %bb.4:
	s_mov_b64 s[12:13], src_private_base
	s_and_b64 s[6:7], s[6:7], exec
	s_cselect_b32 s3, s13, s9
	s_cselect_b32 s6, 24, s8
	v_mov_b32_e32 v2, s6
	v_mov_b32_e32 v3, s3
	flat_load_dwordx2 v[8:9], v[2:3]
	s_and_b64 vcc, exec, s[4:5]
	v_mov_b64_e32 v[6:7], s[10:11]
	s_cbranch_vccnz .LBB222_6
; %bb.5:
	v_mov_b64_e32 v[2:3], s[8:9]
	flat_load_dwordx2 v[6:7], v[2:3] offset:8
.LBB222_6:
	s_load_dwordx2 s[34:35], s[0:1], 0x90
	s_load_dwordx8 s[4:11], s[0:1], 0x68
	s_load_dwordx4 s[24:27], s[0:1], 0x48
	s_load_dwordx8 s[12:19], s[0:1], 0x28
	s_load_dwordx4 s[28:31], s[0:1], 0x8
	s_load_dword s33, s[0:1], 0x0
	s_movk_i32 s0, 0x100
	v_cmp_gt_u32_e64 s[0:1], s0, v0
	v_lshl_add_u32 v26, v0, 4, 0
	v_lshl_add_u32 v1, v0, 2, 0
	s_and_saveexec_b64 s[40:41], s[0:1]
	s_cbranch_execz .LBB222_9
; %bb.7:
	s_mov_b32 s44, 0
	s_mov_b32 s45, s44
	s_mov_b32 s46, s44
	s_mov_b32 s47, s44
	v_add_u32_e32 v14, 0x400, v26
	v_or_b32_e32 v15, 0xffffff80, v0
	v_lshl_add_u32 v16, v0, 2, 0
	s_mov_b64 s[42:43], 0
	s_waitcnt lgkmcnt(0)
	v_mov_b32_e32 v17, s33
	v_mov_b64_e32 v[2:3], s[44:45]
	v_mov_b64_e32 v[4:5], s[46:47]
.LBB222_8:                              ; =>This Inner Loop Header: Depth=1
	v_add_co_u32_e32 v15, vcc, 0x80, v15
	s_xor_b64 s[44:45], vcc, -1
	s_and_b64 s[44:45], exec, s[44:45]
	ds_write_b32 v16, v17
	ds_write2_b64 v14, v[2:3], v[4:5] offset1:1
	v_add_u32_e32 v14, 0x800, v14
	s_or_b64 s[42:43], s[44:45], s[42:43]
	v_add_u32_e32 v16, 0x200, v16
	s_andn2_b64 exec, exec, s[42:43]
	s_cbranch_execnz .LBB222_8
.LBB222_9:
	s_or_b64 exec, exec, s[40:41]
	s_waitcnt lgkmcnt(0)
	s_barrier
	s_load_dword s3, s[28:29], 0x0
	s_waitcnt lgkmcnt(0)
	s_add_i32 s2, s3, s2
	s_mov_b32 s3, 0
	s_lshl_b64 s[2:3], s[2:3], 2
	s_add_u32 s2, s30, s2
	s_addc_u32 s3, s31, s3
	s_load_dword s28, s[2:3], 0x0
	s_and_b64 vcc, exec, s[38:39]
	s_cbranch_vccz .LBB222_27
; %bb.10:
	s_waitcnt lgkmcnt(0)
	s_ashr_i32 s29, s28, 31
	s_lshl_b64 s[2:3], s[28:29], 3
	s_add_u32 s2, s12, s2
	s_addc_u32 s3, s13, s3
	s_load_dwordx4 s[40:43], s[2:3], 0x0
	v_lshrrev_b32_e32 v2, 4, v0
	v_subrev_co_u32_e32 v2, vcc, s20, v2
	s_waitcnt lgkmcnt(0)
	s_sub_u32 s2, s42, s20
	v_subb_co_u32_e64 v3, s[12:13], 0, 0, vcc
	s_subb_u32 s3, s43, 0
	v_lshl_add_u64 v[14:15], s[40:41], 0, v[2:3]
	v_cmp_gt_i64_e32 vcc, s[2:3], v[14:15]
	s_and_saveexec_b64 s[12:13], vcc
	s_cbranch_execz .LBB222_26
; %bb.11:
	v_and_b32_e32 v2, 15, v0
	v_subrev_co_u32_e32 v16, vcc, s21, v2
	s_mov_b32 s29, s21
	s_nop 0
	v_subb_co_u32_e64 v17, s[30:31], 0, 0, vcc
	s_mov_b64 s[30:31], 0
	s_movk_i32 s52, 0x89
	s_branch .LBB222_13
.LBB222_12:                             ;   in Loop: Header=BB222_13 Depth=1
	s_or_b64 exec, exec, s[38:39]
	v_lshl_add_u64 v[14:15], v[14:15], 0, 8
	v_cmp_le_i64_e32 vcc, s[2:3], v[14:15]
	s_or_b64 s[30:31], vcc, s[30:31]
	s_andn2_b64 exec, exec, s[30:31]
	s_cbranch_execz .LBB222_26
.LBB222_13:                             ; =>This Loop Header: Depth=1
                                        ;     Child Loop BB222_17 Depth 2
                                        ;       Child Loop BB222_20 Depth 3
	v_lshl_add_u64 v[2:3], v[14:15], 2, s[14:15]
	global_load_dword v2, v[2:3], off
	s_waitcnt vmcnt(0)
	v_subrev_u32_e32 v2, s20, v2
	v_ashrrev_i32_e32 v3, 31, v2
	v_lshl_add_u64 v[2:3], v[2:3], 3, s[18:19]
	global_load_dwordx4 v[2:5], v[2:3], off
	s_waitcnt vmcnt(0)
	v_subrev_co_u32_e32 v18, vcc, s29, v4
	s_nop 1
	v_subbrev_co_u32_e32 v19, vcc, 0, v5, vcc
	v_lshl_add_u64 v[20:21], v[2:3], 0, v[16:17]
	v_cmp_lt_i64_e32 vcc, v[20:21], v[18:19]
	s_and_saveexec_b64 s[38:39], vcc
	s_cbranch_execz .LBB222_12
; %bb.14:                               ;   in Loop: Header=BB222_13 Depth=1
	v_lshl_add_u64 v[2:3], v[14:15], 4, s[16:17]
	global_load_dwordx4 v[2:5], v[2:3], off
	s_mov_b64 s[40:41], 0
	s_waitcnt vmcnt(0)
	v_mul_f64 v[22:23], v[4:5], -v[12:13]
	v_mul_f64 v[24:25], v[10:11], v[4:5]
	v_fmac_f64_e32 v[22:23], v[10:11], v[2:3]
	v_fmac_f64_e32 v[24:25], v[12:13], v[2:3]
	s_branch .LBB222_17
.LBB222_15:                             ;   in Loop: Header=BB222_17 Depth=2
	s_or_b64 exec, exec, s[44:45]
.LBB222_16:                             ;   in Loop: Header=BB222_17 Depth=2
	s_or_b64 exec, exec, s[42:43]
	s_waitcnt vmcnt(0)
	v_mul_f64 v[28:29], v[4:5], -v[24:25]
	v_mul_f64 v[4:5], v[22:23], v[4:5]
	v_fmac_f64_e32 v[28:29], v[22:23], v[2:3]
	v_fmac_f64_e32 v[4:5], v[24:25], v[2:3]
	v_lshl_add_u32 v2, v27, 4, 0
	ds_add_f64 v2, v[28:29] offset:1024
	ds_add_f64 v2, v[4:5] offset:1032
	v_lshl_add_u64 v[20:21], v[20:21], 0, 16
	v_cmp_ge_i64_e32 vcc, v[20:21], v[18:19]
	s_or_b64 s[40:41], vcc, s[40:41]
	s_andn2_b64 exec, exec, s[40:41]
	s_cbranch_execz .LBB222_12
.LBB222_17:                             ;   Parent Loop BB222_13 Depth=1
                                        ; =>  This Loop Header: Depth=2
                                        ;       Child Loop BB222_20 Depth 3
	v_lshl_add_u64 v[2:3], v[20:21], 2, s[24:25]
	global_load_dword v27, v[2:3], off
	v_lshl_add_u64 v[2:3], v[20:21], 4, s[26:27]
	global_load_dwordx4 v[2:5], v[2:3], off
	s_waitcnt vmcnt(1)
	v_subrev_u32_e32 v28, s21, v27
	v_mul_lo_u32 v27, v28, s52
	v_and_b32_e32 v27, 0xff, v27
	v_lshl_add_u32 v29, v27, 2, 0
	ds_read_b32 v30, v29
	s_waitcnt lgkmcnt(0)
	v_cmp_ne_u32_e32 vcc, v30, v28
	s_and_saveexec_b64 s[42:43], vcc
	s_cbranch_execz .LBB222_16
; %bb.18:                               ;   in Loop: Header=BB222_17 Depth=2
	s_mov_b64 s[44:45], 0
	s_branch .LBB222_20
.LBB222_19:                             ;   in Loop: Header=BB222_20 Depth=3
	s_or_b64 exec, exec, s[50:51]
	s_and_b64 s[46:47], exec, s[48:49]
	s_or_b64 s[44:45], s[46:47], s[44:45]
	s_andn2_b64 exec, exec, s[44:45]
	s_cbranch_execz .LBB222_15
.LBB222_20:                             ;   Parent Loop BB222_13 Depth=1
                                        ;     Parent Loop BB222_17 Depth=2
                                        ; =>    This Inner Loop Header: Depth=3
	v_cmp_ne_u32_e32 vcc, s33, v30
	s_mov_b64 s[46:47], 0
	s_and_saveexec_b64 s[48:49], vcc
	s_xor_b64 s[48:49], exec, s[48:49]
	s_cbranch_execz .LBB222_22
; %bb.21:                               ;   in Loop: Header=BB222_20 Depth=3
	v_add_u32_e32 v27, 1, v27
	s_mov_b64 s[46:47], exec
	v_and_b32_e32 v27, 0xff, v27
                                        ; implicit-def: $vgpr29
	s_andn2_saveexec_b64 s[48:49], s[48:49]
	s_cbranch_execz .LBB222_24
	s_branch .LBB222_23
.LBB222_22:                             ;   in Loop: Header=BB222_20 Depth=3
	s_andn2_saveexec_b64 s[48:49], s[48:49]
	s_cbranch_execz .LBB222_24
.LBB222_23:                             ;   in Loop: Header=BB222_20 Depth=3
	v_mov_b32_e32 v30, s33
	ds_cmpst_rtn_b32 v29, v29, v30, v28
	s_andn2_b64 s[46:47], s[46:47], exec
	s_waitcnt lgkmcnt(0)
	v_cmp_ne_u32_e32 vcc, s33, v29
	s_and_b64 s[50:51], vcc, exec
	s_or_b64 s[46:47], s[46:47], s[50:51]
.LBB222_24:                             ;   in Loop: Header=BB222_20 Depth=3
	s_or_b64 exec, exec, s[48:49]
	s_mov_b64 s[48:49], -1
                                        ; implicit-def: $vgpr29
                                        ; implicit-def: $vgpr30
	s_and_saveexec_b64 s[50:51], s[46:47]
	s_cbranch_execz .LBB222_19
; %bb.25:                               ;   in Loop: Header=BB222_20 Depth=3
	v_lshl_add_u32 v29, v27, 2, 0
	ds_read_b32 v30, v29
	s_waitcnt lgkmcnt(0)
	v_cmp_eq_u32_e32 vcc, v30, v28
	s_orn2_b64 s[48:49], vcc, exec
	s_branch .LBB222_19
.LBB222_26:
	s_or_b64 exec, exec, s[12:13]
.LBB222_27:
	s_andn2_b64 vcc, exec, s[36:37]
	s_cbranch_vccnz .LBB222_42
; %bb.28:
	s_waitcnt lgkmcnt(0)
	s_ashr_i32 s29, s28, 31
	s_lshl_b64 s[2:3], s[28:29], 3
	s_add_u32 s2, s4, s2
	s_addc_u32 s3, s5, s3
	s_load_dwordx4 s[12:15], s[2:3], 0x0
	v_subrev_co_u32_e32 v2, vcc, s23, v0
	s_nop 1
	v_subb_co_u32_e64 v3, s[2:3], 0, 0, vcc
	s_waitcnt lgkmcnt(0)
	s_sub_u32 s2, s14, s23
	s_subb_u32 s3, s15, 0
	s_waitcnt vmcnt(0)
	v_lshl_add_u64 v[10:11], s[12:13], 0, v[2:3]
	v_cmp_gt_i64_e32 vcc, s[2:3], v[10:11]
	s_and_saveexec_b64 s[4:5], vcc
	s_cbranch_execz .LBB222_41
; %bb.29:
	s_mov_b64 s[12:13], 0
	s_movk_i32 s29, 0x89
	s_mov_b64 s[14:15], 0x80
	s_branch .LBB222_32
.LBB222_30:                             ;   in Loop: Header=BB222_32 Depth=1
	s_or_b64 exec, exec, s[18:19]
.LBB222_31:                             ;   in Loop: Header=BB222_32 Depth=1
	s_or_b64 exec, exec, s[16:17]
	s_waitcnt vmcnt(0)
	v_mul_f64 v[14:15], v[4:5], -v[6:7]
	v_mul_f64 v[4:5], v[8:9], v[4:5]
	v_fmac_f64_e32 v[14:15], v[8:9], v[2:3]
	v_fmac_f64_e32 v[4:5], v[6:7], v[2:3]
	v_lshl_add_u32 v2, v12, 4, 0
	ds_add_f64 v2, v[14:15] offset:1024
	ds_add_f64 v2, v[4:5] offset:1032
	v_lshl_add_u64 v[10:11], v[10:11], 0, s[14:15]
	v_cmp_le_i64_e32 vcc, s[2:3], v[10:11]
	s_or_b64 s[12:13], vcc, s[12:13]
	s_andn2_b64 exec, exec, s[12:13]
	s_cbranch_execz .LBB222_41
.LBB222_32:                             ; =>This Loop Header: Depth=1
                                        ;     Child Loop BB222_35 Depth 2
	v_lshl_add_u64 v[2:3], v[10:11], 2, s[6:7]
	global_load_dword v12, v[2:3], off
	v_lshl_add_u64 v[2:3], v[10:11], 4, s[8:9]
	global_load_dwordx4 v[2:5], v[2:3], off
	s_waitcnt vmcnt(1)
	v_subrev_u32_e32 v13, s23, v12
	v_mul_lo_u32 v12, v13, s29
	v_and_b32_e32 v12, 0xff, v12
	v_lshl_add_u32 v14, v12, 2, 0
	ds_read_b32 v15, v14
	s_waitcnt lgkmcnt(0)
	v_cmp_ne_u32_e32 vcc, v15, v13
	s_and_saveexec_b64 s[16:17], vcc
	s_cbranch_execz .LBB222_31
; %bb.33:                               ;   in Loop: Header=BB222_32 Depth=1
	s_mov_b64 s[18:19], 0
	s_branch .LBB222_35
.LBB222_34:                             ;   in Loop: Header=BB222_35 Depth=2
	s_or_b64 exec, exec, s[26:27]
	s_and_b64 s[20:21], exec, s[24:25]
	s_or_b64 s[18:19], s[20:21], s[18:19]
	s_andn2_b64 exec, exec, s[18:19]
	s_cbranch_execz .LBB222_30
.LBB222_35:                             ;   Parent Loop BB222_32 Depth=1
                                        ; =>  This Inner Loop Header: Depth=2
	v_cmp_ne_u32_e32 vcc, s33, v15
	s_mov_b64 s[20:21], 0
	s_and_saveexec_b64 s[24:25], vcc
	s_xor_b64 s[24:25], exec, s[24:25]
	s_cbranch_execz .LBB222_37
; %bb.36:                               ;   in Loop: Header=BB222_35 Depth=2
	v_add_u32_e32 v12, 1, v12
	s_mov_b64 s[20:21], exec
	v_and_b32_e32 v12, 0xff, v12
                                        ; implicit-def: $vgpr14
	s_andn2_saveexec_b64 s[24:25], s[24:25]
	s_cbranch_execz .LBB222_39
	s_branch .LBB222_38
.LBB222_37:                             ;   in Loop: Header=BB222_35 Depth=2
	s_andn2_saveexec_b64 s[24:25], s[24:25]
	s_cbranch_execz .LBB222_39
.LBB222_38:                             ;   in Loop: Header=BB222_35 Depth=2
	v_mov_b32_e32 v15, s33
	ds_cmpst_rtn_b32 v14, v14, v15, v13
	s_andn2_b64 s[20:21], s[20:21], exec
	s_waitcnt lgkmcnt(0)
	v_cmp_ne_u32_e32 vcc, s33, v14
	s_and_b64 s[26:27], vcc, exec
	s_or_b64 s[20:21], s[20:21], s[26:27]
.LBB222_39:                             ;   in Loop: Header=BB222_35 Depth=2
	s_or_b64 exec, exec, s[24:25]
	s_mov_b64 s[24:25], -1
                                        ; implicit-def: $vgpr14
                                        ; implicit-def: $vgpr15
	s_and_saveexec_b64 s[26:27], s[20:21]
	s_cbranch_execz .LBB222_34
; %bb.40:                               ;   in Loop: Header=BB222_35 Depth=2
	v_lshl_add_u32 v14, v12, 2, 0
	ds_read_b32 v15, v14
	s_waitcnt lgkmcnt(0)
	v_cmp_eq_u32_e32 vcc, v15, v13
	s_orn2_b64 s[24:25], vcc, exec
	s_branch .LBB222_34
.LBB222_41:
	s_or_b64 exec, exec, s[4:5]
.LBB222_42:
	s_waitcnt lgkmcnt(0)
	s_barrier
	s_and_saveexec_b64 s[8:9], s[0:1]
	s_cbranch_execz .LBB222_55
; %bb.43:
	v_mbcnt_lo_u32_b32 v2, -1, 0
	v_mbcnt_hi_u32_b32 v2, -1, v2
	v_lshrrev_b32_e32 v5, 3, v0
	v_sub_u32_e32 v2, 63, v2
	v_and_b32_e32 v5, 12, v5
	s_movk_i32 s0, 0x7f
	s_movk_i32 s6, 0x5f
	v_mov_b32_e32 v4, 0
	v_lshrrev_b64 v[2:3], v2, -1
	v_add_u32_e32 v5, 0, v5
	v_cmp_eq_u32_e64 s[0:1], s0, v0
	v_cmp_lt_u32_e64 s[2:3], 31, v0
	v_cmp_lt_u32_e64 s[4:5], 63, v0
	;; [unrolled: 1-line block ×3, first 2 shown]
	s_waitcnt vmcnt(0)
	v_add_u32_e32 v6, 0x400, v26
	v_or_b32_e32 v7, 0xffffff80, v0
	s_mov_b64 s[12:13], 0
	v_mov_b32_e32 v8, 0
	s_branch .LBB222_45
.LBB222_44:                             ;   in Loop: Header=BB222_45 Depth=1
	s_or_b64 exec, exec, s[14:15]
	s_waitcnt lgkmcnt(0)
	s_barrier
	ds_read_b32 v9, v4 offset:5132
	v_add_co_u32_e32 v7, vcc, 0x80, v7
	s_xor_b64 s[14:15], vcc, -1
	s_and_b64 s[14:15], exec, s[14:15]
	v_add_u32_e32 v6, 0x800, v6
	s_waitcnt lgkmcnt(0)
	v_add_u32_e32 v8, v9, v8
	s_or_b64 s[12:13], s[14:15], s[12:13]
	v_add_u32_e32 v1, 0x200, v1
	s_andn2_b64 exec, exec, s[12:13]
	s_cbranch_execz .LBB222_55
.LBB222_45:                             ; =>This Inner Loop Header: Depth=1
	ds_read2_b64 v[12:15], v6 offset1:1
	ds_read_b32 v10, v1
	s_waitcnt lgkmcnt(1)
	scratch_store_dwordx4 off, v[12:15], off
	s_waitcnt lgkmcnt(0)
	v_cmp_gt_i32_e32 vcc, s33, v10
	s_bcnt1_i32_b64 s14, vcc
	s_nop 0
	v_and_b32_e32 v11, vcc_lo, v2
	v_and_b32_e32 v9, vcc_hi, v3
	v_bcnt_u32_b32 v11, v11, 0
	v_bcnt_u32_b32 v9, v9, v11
	v_mov_b32_e32 v11, s14
	s_barrier
	ds_write_b32 v5, v11 offset:5120
	s_waitcnt lgkmcnt(0)
	s_barrier
	s_and_saveexec_b64 s[14:15], s[2:3]
	s_cbranch_execz .LBB222_50
; %bb.46:                               ;   in Loop: Header=BB222_45 Depth=1
	ds_read_b32 v11, v4 offset:5120
	s_waitcnt lgkmcnt(0)
	v_add_u32_e32 v9, v11, v9
	s_or_b64 exec, exec, s[14:15]
	s_and_saveexec_b64 s[14:15], s[4:5]
	s_cbranch_execnz .LBB222_51
.LBB222_47:                             ;   in Loop: Header=BB222_45 Depth=1
	s_or_b64 exec, exec, s[14:15]
	s_and_saveexec_b64 s[14:15], s[6:7]
	s_cbranch_execz .LBB222_52
.LBB222_48:                             ;   in Loop: Header=BB222_45 Depth=1
	ds_read_b32 v11, v4 offset:5128
	s_waitcnt lgkmcnt(0)
	v_add_u32_e32 v9, v11, v9
	s_or_b64 exec, exec, s[14:15]
	s_and_saveexec_b64 s[14:15], vcc
	s_cbranch_execnz .LBB222_53
.LBB222_49:                             ;   in Loop: Header=BB222_45 Depth=1
	s_or_b64 exec, exec, s[14:15]
	s_and_saveexec_b64 s[14:15], s[0:1]
	s_cbranch_execz .LBB222_44
	s_branch .LBB222_54
.LBB222_50:                             ;   in Loop: Header=BB222_45 Depth=1
	s_or_b64 exec, exec, s[14:15]
	s_and_saveexec_b64 s[14:15], s[4:5]
	s_cbranch_execz .LBB222_47
.LBB222_51:                             ;   in Loop: Header=BB222_45 Depth=1
	ds_read_b32 v11, v4 offset:5124
	s_waitcnt lgkmcnt(0)
	v_add_u32_e32 v9, v11, v9
	s_or_b64 exec, exec, s[14:15]
	s_and_saveexec_b64 s[14:15], s[6:7]
	s_cbranch_execnz .LBB222_48
.LBB222_52:                             ;   in Loop: Header=BB222_45 Depth=1
	s_or_b64 exec, exec, s[14:15]
	s_and_saveexec_b64 s[14:15], vcc
	s_cbranch_execz .LBB222_49
.LBB222_53:                             ;   in Loop: Header=BB222_45 Depth=1
	scratch_load_dwordx4 v[12:15], off, off
	v_add3_u32 v11, v8, -1, v9
	v_lshl_add_u32 v11, v11, 2, 0
	v_add_u32_e32 v16, v8, v9
	v_lshl_add_u32 v16, v16, 4, 0
	ds_write_b32 v11, v10
	s_waitcnt vmcnt(0)
	ds_write2_b64 v16, v[12:13], v[14:15] offset0:126 offset1:127
	s_or_b64 exec, exec, s[14:15]
	s_and_saveexec_b64 s[14:15], s[0:1]
	s_cbranch_execz .LBB222_44
.LBB222_54:                             ;   in Loop: Header=BB222_45 Depth=1
	ds_write_b32 v4, v9 offset:5132
	s_branch .LBB222_44
.LBB222_55:
	s_or_b64 exec, exec, s[8:9]
	s_ashr_i32 s29, s28, 31
	s_lshl_b64 s[0:1], s[28:29], 3
	s_add_u32 s4, s10, s0
	s_addc_u32 s5, s11, s1
	s_load_dwordx4 s[0:3], s[4:5], 0x0
	s_waitcnt lgkmcnt(0)
	s_sub_i32 s8, s2, s0
	v_cmp_gt_i32_e32 vcc, s8, v0
	s_and_saveexec_b64 s[4:5], vcc
	s_cbranch_execz .LBB222_65
; %bb.56:
	s_sub_u32 s4, s0, s22
	s_subb_u32 s5, s1, 0
	s_and_b32 s10, s8, 7
	s_sub_i32 s0, s0, s2
	s_cmp_lt_u32 s0, -7
	s_cselect_b64 s[0:1], -1, 0
	s_and_b32 s11, s8, -8
	s_cmp_lg_u32 s10, 0
	v_cndmask_b32_e64 v1, 0, 1, s[0:1]
	s_cselect_b64 s[2:3], -1, 0
	v_cmp_ne_u32_e64 s[0:1], 1, v1
	v_cndmask_b32_e64 v1, 0, 1, s[2:3]
	s_mov_b32 s9, 0
	s_mov_b64 s[6:7], 0
	v_cmp_ne_u32_e64 s[2:3], 1, v1
	s_waitcnt vmcnt(0)
	s_branch .LBB222_58
.LBB222_57:                             ;   in Loop: Header=BB222_58 Depth=1
	v_mad_u64_u32 v[2:3], s[12:13], v0, 12, v[2:3]
	ds_read2_b64 v[6:9], v2 offset0:128 offset1:129
	v_add_u32_e32 v0, 0x80, v0
	v_cmp_le_i32_e32 vcc, s8, v0
	v_lshl_add_u64 v[2:3], v[4:5], 4, s[34:35]
	s_or_b64 s[6:7], vcc, s[6:7]
	s_waitcnt lgkmcnt(0)
	global_store_dwordx4 v[2:3], v[6:9], off
	s_andn2_b64 exec, exec, s[6:7]
	s_cbranch_execz .LBB222_65
.LBB222_58:                             ; =>This Loop Header: Depth=1
                                        ;     Child Loop BB222_60 Depth 2
                                        ;     Child Loop BB222_64 Depth 2
	v_lshl_add_u32 v2, v0, 2, 0
	ds_read_b32 v1, v2
	s_and_b64 vcc, exec, s[0:1]
	v_mov_b64_e32 v[4:5], s[4:5]
	s_mov_b32 s12, 0
	s_cbranch_vccnz .LBB222_62
; %bb.59:                               ;   in Loop: Header=BB222_58 Depth=1
	s_mov_b32 s13, 0
	v_mov_b64_e32 v[4:5], s[4:5]
.LBB222_60:                             ;   Parent Loop BB222_58 Depth=1
                                        ; =>  This Inner Loop Header: Depth=2
	v_mov_b32_e32 v3, s13
	ds_read2_b32 v[22:23], v3 offset1:1
	ds_read2_b32 v[24:25], v3 offset0:2 offset1:3
	ds_read2_b32 v[26:27], v3 offset0:4 offset1:5
	;; [unrolled: 1-line block ×3, first 2 shown]
	v_mov_b32_e32 v7, s9
	s_waitcnt lgkmcnt(3)
	v_cmp_gt_i32_e32 vcc, v1, v22
	v_mov_b32_e32 v9, s9
	v_mov_b32_e32 v11, s9
	v_cndmask_b32_e64 v6, 0, 1, vcc
	v_cmp_gt_i32_e32 vcc, v1, v23
	v_lshl_add_u64 v[4:5], v[4:5], 0, v[6:7]
	v_mov_b32_e32 v13, s9
	v_cndmask_b32_e64 v8, 0, 1, vcc
	s_waitcnt lgkmcnt(2)
	v_cmp_gt_i32_e32 vcc, v1, v24
	v_lshl_add_u64 v[4:5], v[4:5], 0, v[8:9]
	v_mov_b32_e32 v15, s9
	v_cndmask_b32_e64 v10, 0, 1, vcc
	v_cmp_gt_i32_e32 vcc, v1, v25
	v_lshl_add_u64 v[4:5], v[4:5], 0, v[10:11]
	v_mov_b32_e32 v17, s9
	v_cndmask_b32_e64 v12, 0, 1, vcc
	s_waitcnt lgkmcnt(1)
	v_cmp_gt_i32_e32 vcc, v1, v26
	v_lshl_add_u64 v[4:5], v[4:5], 0, v[12:13]
	;; [unrolled: 9-line block ×3, first 2 shown]
	s_add_i32 s12, s12, 8
	v_cndmask_b32_e64 v18, 0, 1, vcc
	v_cmp_gt_i32_e32 vcc, v1, v29
	s_add_i32 s13, s13, 32
	v_lshl_add_u64 v[4:5], v[4:5], 0, v[18:19]
	v_cndmask_b32_e64 v20, 0, 1, vcc
	s_cmp_eq_u32 s11, s12
	v_lshl_add_u64 v[4:5], v[4:5], 0, v[20:21]
	s_cbranch_scc0 .LBB222_60
; %bb.61:                               ;   in Loop: Header=BB222_58 Depth=1
	s_mov_b32 s12, s11
.LBB222_62:                             ;   in Loop: Header=BB222_58 Depth=1
	s_and_b64 vcc, exec, s[2:3]
	s_cbranch_vccnz .LBB222_57
; %bb.63:                               ;   in Loop: Header=BB222_58 Depth=1
	s_lshl_b32 s12, s12, 2
	s_add_i32 s12, s12, 0
	s_mov_b32 s13, s10
.LBB222_64:                             ;   Parent Loop BB222_58 Depth=1
                                        ; =>  This Inner Loop Header: Depth=2
	v_mov_b32_e32 v3, s12
	ds_read_b32 v3, v3
	v_mov_b32_e32 v7, s9
	s_add_i32 s12, s12, 4
	s_add_i32 s13, s13, -1
	s_cmp_lg_u32 s13, 0
	s_waitcnt lgkmcnt(0)
	v_cmp_gt_i32_e32 vcc, v1, v3
	s_nop 1
	v_cndmask_b32_e64 v6, 0, 1, vcc
	v_lshl_add_u64 v[4:5], v[4:5], 0, v[6:7]
	s_cbranch_scc1 .LBB222_64
	s_branch .LBB222_57
.LBB222_65:
	s_endpgm
	.section	.rodata,"a",@progbits
	.p2align	6, 0x0
	.amdhsa_kernel _ZN9rocsparseL41csrgemm_numeric_fill_block_per_row_kernelILj128ELj16ELj256ELj137ELj32Eli21rocsparse_complex_numIdEEEvT5_PKS3_S5_NS_24const_host_device_scalarIT6_EEPKT4_S5_PKS7_SB_S5_SD_S8_SB_S5_SD_SB_S5_PS7_21rocsparse_index_base_SF_SF_SF_bbb
		.amdhsa_group_segment_fixed_size 0
		.amdhsa_private_segment_fixed_size 40
		.amdhsa_kernarg_size 172
		.amdhsa_user_sgpr_count 2
		.amdhsa_user_sgpr_dispatch_ptr 0
		.amdhsa_user_sgpr_queue_ptr 0
		.amdhsa_user_sgpr_kernarg_segment_ptr 1
		.amdhsa_user_sgpr_dispatch_id 0
		.amdhsa_user_sgpr_kernarg_preload_length 0
		.amdhsa_user_sgpr_kernarg_preload_offset 0
		.amdhsa_user_sgpr_private_segment_size 0
		.amdhsa_uses_dynamic_stack 0
		.amdhsa_enable_private_segment 1
		.amdhsa_system_sgpr_workgroup_id_x 1
		.amdhsa_system_sgpr_workgroup_id_y 0
		.amdhsa_system_sgpr_workgroup_id_z 0
		.amdhsa_system_sgpr_workgroup_info 0
		.amdhsa_system_vgpr_workitem_id 0
		.amdhsa_next_free_vgpr 31
		.amdhsa_next_free_sgpr 53
		.amdhsa_accum_offset 32
		.amdhsa_reserve_vcc 1
		.amdhsa_float_round_mode_32 0
		.amdhsa_float_round_mode_16_64 0
		.amdhsa_float_denorm_mode_32 3
		.amdhsa_float_denorm_mode_16_64 3
		.amdhsa_dx10_clamp 1
		.amdhsa_ieee_mode 1
		.amdhsa_fp16_overflow 0
		.amdhsa_tg_split 0
		.amdhsa_exception_fp_ieee_invalid_op 0
		.amdhsa_exception_fp_denorm_src 0
		.amdhsa_exception_fp_ieee_div_zero 0
		.amdhsa_exception_fp_ieee_overflow 0
		.amdhsa_exception_fp_ieee_underflow 0
		.amdhsa_exception_fp_ieee_inexact 0
		.amdhsa_exception_int_div_zero 0
	.end_amdhsa_kernel
	.section	.text._ZN9rocsparseL41csrgemm_numeric_fill_block_per_row_kernelILj128ELj16ELj256ELj137ELj32Eli21rocsparse_complex_numIdEEEvT5_PKS3_S5_NS_24const_host_device_scalarIT6_EEPKT4_S5_PKS7_SB_S5_SD_S8_SB_S5_SD_SB_S5_PS7_21rocsparse_index_base_SF_SF_SF_bbb,"axG",@progbits,_ZN9rocsparseL41csrgemm_numeric_fill_block_per_row_kernelILj128ELj16ELj256ELj137ELj32Eli21rocsparse_complex_numIdEEEvT5_PKS3_S5_NS_24const_host_device_scalarIT6_EEPKT4_S5_PKS7_SB_S5_SD_S8_SB_S5_SD_SB_S5_PS7_21rocsparse_index_base_SF_SF_SF_bbb,comdat
.Lfunc_end222:
	.size	_ZN9rocsparseL41csrgemm_numeric_fill_block_per_row_kernelILj128ELj16ELj256ELj137ELj32Eli21rocsparse_complex_numIdEEEvT5_PKS3_S5_NS_24const_host_device_scalarIT6_EEPKT4_S5_PKS7_SB_S5_SD_S8_SB_S5_SD_SB_S5_PS7_21rocsparse_index_base_SF_SF_SF_bbb, .Lfunc_end222-_ZN9rocsparseL41csrgemm_numeric_fill_block_per_row_kernelILj128ELj16ELj256ELj137ELj32Eli21rocsparse_complex_numIdEEEvT5_PKS3_S5_NS_24const_host_device_scalarIT6_EEPKT4_S5_PKS7_SB_S5_SD_S8_SB_S5_SD_SB_S5_PS7_21rocsparse_index_base_SF_SF_SF_bbb
                                        ; -- End function
	.set _ZN9rocsparseL41csrgemm_numeric_fill_block_per_row_kernelILj128ELj16ELj256ELj137ELj32Eli21rocsparse_complex_numIdEEEvT5_PKS3_S5_NS_24const_host_device_scalarIT6_EEPKT4_S5_PKS7_SB_S5_SD_S8_SB_S5_SD_SB_S5_PS7_21rocsparse_index_base_SF_SF_SF_bbb.num_vgpr, 31
	.set _ZN9rocsparseL41csrgemm_numeric_fill_block_per_row_kernelILj128ELj16ELj256ELj137ELj32Eli21rocsparse_complex_numIdEEEvT5_PKS3_S5_NS_24const_host_device_scalarIT6_EEPKT4_S5_PKS7_SB_S5_SD_S8_SB_S5_SD_SB_S5_PS7_21rocsparse_index_base_SF_SF_SF_bbb.num_agpr, 0
	.set _ZN9rocsparseL41csrgemm_numeric_fill_block_per_row_kernelILj128ELj16ELj256ELj137ELj32Eli21rocsparse_complex_numIdEEEvT5_PKS3_S5_NS_24const_host_device_scalarIT6_EEPKT4_S5_PKS7_SB_S5_SD_S8_SB_S5_SD_SB_S5_PS7_21rocsparse_index_base_SF_SF_SF_bbb.numbered_sgpr, 53
	.set _ZN9rocsparseL41csrgemm_numeric_fill_block_per_row_kernelILj128ELj16ELj256ELj137ELj32Eli21rocsparse_complex_numIdEEEvT5_PKS3_S5_NS_24const_host_device_scalarIT6_EEPKT4_S5_PKS7_SB_S5_SD_S8_SB_S5_SD_SB_S5_PS7_21rocsparse_index_base_SF_SF_SF_bbb.num_named_barrier, 0
	.set _ZN9rocsparseL41csrgemm_numeric_fill_block_per_row_kernelILj128ELj16ELj256ELj137ELj32Eli21rocsparse_complex_numIdEEEvT5_PKS3_S5_NS_24const_host_device_scalarIT6_EEPKT4_S5_PKS7_SB_S5_SD_S8_SB_S5_SD_SB_S5_PS7_21rocsparse_index_base_SF_SF_SF_bbb.private_seg_size, 40
	.set _ZN9rocsparseL41csrgemm_numeric_fill_block_per_row_kernelILj128ELj16ELj256ELj137ELj32Eli21rocsparse_complex_numIdEEEvT5_PKS3_S5_NS_24const_host_device_scalarIT6_EEPKT4_S5_PKS7_SB_S5_SD_S8_SB_S5_SD_SB_S5_PS7_21rocsparse_index_base_SF_SF_SF_bbb.uses_vcc, 1
	.set _ZN9rocsparseL41csrgemm_numeric_fill_block_per_row_kernelILj128ELj16ELj256ELj137ELj32Eli21rocsparse_complex_numIdEEEvT5_PKS3_S5_NS_24const_host_device_scalarIT6_EEPKT4_S5_PKS7_SB_S5_SD_S8_SB_S5_SD_SB_S5_PS7_21rocsparse_index_base_SF_SF_SF_bbb.uses_flat_scratch, 0
	.set _ZN9rocsparseL41csrgemm_numeric_fill_block_per_row_kernelILj128ELj16ELj256ELj137ELj32Eli21rocsparse_complex_numIdEEEvT5_PKS3_S5_NS_24const_host_device_scalarIT6_EEPKT4_S5_PKS7_SB_S5_SD_S8_SB_S5_SD_SB_S5_PS7_21rocsparse_index_base_SF_SF_SF_bbb.has_dyn_sized_stack, 0
	.set _ZN9rocsparseL41csrgemm_numeric_fill_block_per_row_kernelILj128ELj16ELj256ELj137ELj32Eli21rocsparse_complex_numIdEEEvT5_PKS3_S5_NS_24const_host_device_scalarIT6_EEPKT4_S5_PKS7_SB_S5_SD_S8_SB_S5_SD_SB_S5_PS7_21rocsparse_index_base_SF_SF_SF_bbb.has_recursion, 0
	.set _ZN9rocsparseL41csrgemm_numeric_fill_block_per_row_kernelILj128ELj16ELj256ELj137ELj32Eli21rocsparse_complex_numIdEEEvT5_PKS3_S5_NS_24const_host_device_scalarIT6_EEPKT4_S5_PKS7_SB_S5_SD_S8_SB_S5_SD_SB_S5_PS7_21rocsparse_index_base_SF_SF_SF_bbb.has_indirect_call, 0
	.section	.AMDGPU.csdata,"",@progbits
; Kernel info:
; codeLenInByte = 2684
; TotalNumSgprs: 59
; NumVgprs: 31
; NumAgprs: 0
; TotalNumVgprs: 31
; ScratchSize: 40
; MemoryBound: 0
; FloatMode: 240
; IeeeMode: 1
; LDSByteSize: 0 bytes/workgroup (compile time only)
; SGPRBlocks: 7
; VGPRBlocks: 3
; NumSGPRsForWavesPerEU: 59
; NumVGPRsForWavesPerEU: 31
; AccumOffset: 32
; Occupancy: 8
; WaveLimiterHint : 1
; COMPUTE_PGM_RSRC2:SCRATCH_EN: 1
; COMPUTE_PGM_RSRC2:USER_SGPR: 2
; COMPUTE_PGM_RSRC2:TRAP_HANDLER: 0
; COMPUTE_PGM_RSRC2:TGID_X_EN: 1
; COMPUTE_PGM_RSRC2:TGID_Y_EN: 0
; COMPUTE_PGM_RSRC2:TGID_Z_EN: 0
; COMPUTE_PGM_RSRC2:TIDIG_COMP_CNT: 0
; COMPUTE_PGM_RSRC3_GFX90A:ACCUM_OFFSET: 7
; COMPUTE_PGM_RSRC3_GFX90A:TG_SPLIT: 0
	.section	.text._ZN9rocsparseL41csrgemm_numeric_fill_block_per_row_kernelILj128ELj16ELj256ELj137ELj64Eli21rocsparse_complex_numIdEEEvT5_PKS3_S5_NS_24const_host_device_scalarIT6_EEPKT4_S5_PKS7_SB_S5_SD_S8_SB_S5_SD_SB_S5_PS7_21rocsparse_index_base_SF_SF_SF_bbb,"axG",@progbits,_ZN9rocsparseL41csrgemm_numeric_fill_block_per_row_kernelILj128ELj16ELj256ELj137ELj64Eli21rocsparse_complex_numIdEEEvT5_PKS3_S5_NS_24const_host_device_scalarIT6_EEPKT4_S5_PKS7_SB_S5_SD_S8_SB_S5_SD_SB_S5_PS7_21rocsparse_index_base_SF_SF_SF_bbb,comdat
	.globl	_ZN9rocsparseL41csrgemm_numeric_fill_block_per_row_kernelILj128ELj16ELj256ELj137ELj64Eli21rocsparse_complex_numIdEEEvT5_PKS3_S5_NS_24const_host_device_scalarIT6_EEPKT4_S5_PKS7_SB_S5_SD_S8_SB_S5_SD_SB_S5_PS7_21rocsparse_index_base_SF_SF_SF_bbb ; -- Begin function _ZN9rocsparseL41csrgemm_numeric_fill_block_per_row_kernelILj128ELj16ELj256ELj137ELj64Eli21rocsparse_complex_numIdEEEvT5_PKS3_S5_NS_24const_host_device_scalarIT6_EEPKT4_S5_PKS7_SB_S5_SD_S8_SB_S5_SD_SB_S5_PS7_21rocsparse_index_base_SF_SF_SF_bbb
	.p2align	8
	.type	_ZN9rocsparseL41csrgemm_numeric_fill_block_per_row_kernelILj128ELj16ELj256ELj137ELj64Eli21rocsparse_complex_numIdEEEvT5_PKS3_S5_NS_24const_host_device_scalarIT6_EEPKT4_S5_PKS7_SB_S5_SD_S8_SB_S5_SD_SB_S5_PS7_21rocsparse_index_base_SF_SF_SF_bbb,@function
_ZN9rocsparseL41csrgemm_numeric_fill_block_per_row_kernelILj128ELj16ELj256ELj137ELj64Eli21rocsparse_complex_numIdEEEvT5_PKS3_S5_NS_24const_host_device_scalarIT6_EEPKT4_S5_PKS7_SB_S5_SD_S8_SB_S5_SD_SB_S5_PS7_21rocsparse_index_base_SF_SF_SF_bbb: ; @_ZN9rocsparseL41csrgemm_numeric_fill_block_per_row_kernelILj128ELj16ELj256ELj137ELj64Eli21rocsparse_complex_numIdEEEvT5_PKS3_S5_NS_24const_host_device_scalarIT6_EEPKT4_S5_PKS7_SB_S5_SD_S8_SB_S5_SD_SB_S5_PS7_21rocsparse_index_base_SF_SF_SF_bbb
; %bb.0:
	s_load_dword s3, s[0:1], 0xa8
	s_load_dwordx4 s[12:15], s[0:1], 0x18
	s_load_dwordx4 s[8:11], s[0:1], 0x58
	v_mov_b64_e32 v[6:7], 0
	v_mov_b64_e32 v[10:11], 0
	s_waitcnt lgkmcnt(0)
	s_bitcmp1_b32 s3, 0
	s_cselect_b64 s[38:39], -1, 0
	s_bitcmp1_b32 s3, 16
	s_cselect_b64 s[6:7], -1, 0
	s_xor_b64 s[4:5], s[6:7], -1
	v_mov_b64_e32 v[2:3], s[12:13]
	v_cndmask_b32_e64 v1, 0, 1, s[4:5]
	scratch_store_dwordx2 off, v[2:3], off offset:16
	v_mov_b64_e32 v[2:3], s[8:9]
	s_bitcmp0_b32 s3, 0
	v_cmp_ne_u32_e64 s[4:5], 1, v1
	v_mov_b64_e32 v[12:13], 0
	scratch_store_dwordx2 off, v[2:3], off offset:24
	s_cbranch_scc1 .LBB223_3
; %bb.1:
	s_mov_b64 s[16:17], src_private_base
	s_and_b64 s[18:19], s[6:7], exec
	s_cselect_b32 s16, s17, s13
	s_cselect_b32 s17, 16, s12
	v_mov_b32_e32 v2, s17
	v_mov_b32_e32 v3, s16
	flat_load_dwordx2 v[10:11], v[2:3]
	s_and_b64 vcc, exec, s[4:5]
	v_mov_b64_e32 v[12:13], s[14:15]
	s_cbranch_vccnz .LBB223_3
; %bb.2:
	v_mov_b64_e32 v[2:3], s[12:13]
	flat_load_dwordx2 v[12:13], v[2:3] offset:8
.LBB223_3:
	s_load_dwordx4 s[20:23], s[0:1], 0x98
	s_bitcmp1_b32 s3, 8
	s_cselect_b64 s[36:37], -1, 0
	s_bfe_u32 s3, s3, 0x10008
	s_cmp_eq_u32 s3, 0
	v_mov_b64_e32 v[8:9], 0
	s_cbranch_scc1 .LBB223_6
; %bb.4:
	s_mov_b64 s[12:13], src_private_base
	s_and_b64 s[6:7], s[6:7], exec
	s_cselect_b32 s3, s13, s9
	s_cselect_b32 s6, 24, s8
	v_mov_b32_e32 v2, s6
	v_mov_b32_e32 v3, s3
	flat_load_dwordx2 v[8:9], v[2:3]
	s_and_b64 vcc, exec, s[4:5]
	v_mov_b64_e32 v[6:7], s[10:11]
	s_cbranch_vccnz .LBB223_6
; %bb.5:
	v_mov_b64_e32 v[2:3], s[8:9]
	flat_load_dwordx2 v[6:7], v[2:3] offset:8
.LBB223_6:
	s_load_dwordx2 s[34:35], s[0:1], 0x90
	s_load_dwordx8 s[4:11], s[0:1], 0x68
	s_load_dwordx4 s[24:27], s[0:1], 0x48
	s_load_dwordx8 s[12:19], s[0:1], 0x28
	s_load_dwordx4 s[28:31], s[0:1], 0x8
	s_load_dword s33, s[0:1], 0x0
	s_movk_i32 s0, 0x100
	v_cmp_gt_u32_e64 s[0:1], s0, v0
	v_lshl_add_u32 v26, v0, 4, 0
	v_lshl_add_u32 v1, v0, 2, 0
	s_and_saveexec_b64 s[40:41], s[0:1]
	s_cbranch_execz .LBB223_9
; %bb.7:
	s_mov_b32 s44, 0
	s_mov_b32 s45, s44
	;; [unrolled: 1-line block ×4, first 2 shown]
	v_add_u32_e32 v14, 0x400, v26
	v_or_b32_e32 v15, 0xffffff80, v0
	v_lshl_add_u32 v16, v0, 2, 0
	s_mov_b64 s[42:43], 0
	s_waitcnt lgkmcnt(0)
	v_mov_b32_e32 v17, s33
	v_mov_b64_e32 v[2:3], s[44:45]
	v_mov_b64_e32 v[4:5], s[46:47]
.LBB223_8:                              ; =>This Inner Loop Header: Depth=1
	v_add_co_u32_e32 v15, vcc, 0x80, v15
	s_xor_b64 s[44:45], vcc, -1
	s_and_b64 s[44:45], exec, s[44:45]
	ds_write_b32 v16, v17
	ds_write2_b64 v14, v[2:3], v[4:5] offset1:1
	v_add_u32_e32 v14, 0x800, v14
	s_or_b64 s[42:43], s[44:45], s[42:43]
	v_add_u32_e32 v16, 0x200, v16
	s_andn2_b64 exec, exec, s[42:43]
	s_cbranch_execnz .LBB223_8
.LBB223_9:
	s_or_b64 exec, exec, s[40:41]
	s_waitcnt lgkmcnt(0)
	s_barrier
	s_load_dword s3, s[28:29], 0x0
	v_lshrrev_b32_e32 v27, 4, v0
	s_waitcnt lgkmcnt(0)
	s_add_i32 s2, s3, s2
	s_mov_b32 s3, 0
	s_lshl_b64 s[2:3], s[2:3], 2
	s_add_u32 s2, s30, s2
	s_addc_u32 s3, s31, s3
	s_load_dword s28, s[2:3], 0x0
	s_and_b64 vcc, exec, s[38:39]
	s_cbranch_vccz .LBB223_27
; %bb.10:
	s_waitcnt lgkmcnt(0)
	s_ashr_i32 s29, s28, 31
	s_lshl_b64 s[2:3], s[28:29], 3
	s_add_u32 s2, s12, s2
	s_addc_u32 s3, s13, s3
	s_load_dwordx4 s[40:43], s[2:3], 0x0
	v_subrev_co_u32_e32 v2, vcc, s20, v27
	s_nop 1
	v_subb_co_u32_e64 v3, s[2:3], 0, 0, vcc
	s_waitcnt lgkmcnt(0)
	s_sub_u32 s2, s42, s20
	s_subb_u32 s3, s43, 0
	v_lshl_add_u64 v[14:15], s[40:41], 0, v[2:3]
	v_cmp_gt_i64_e32 vcc, s[2:3], v[14:15]
	s_and_saveexec_b64 s[12:13], vcc
	s_cbranch_execz .LBB223_26
; %bb.11:
	v_and_b32_e32 v2, 15, v0
	v_subrev_co_u32_e32 v16, vcc, s21, v2
	s_mov_b32 s29, s21
	s_nop 0
	v_subb_co_u32_e64 v17, s[30:31], 0, 0, vcc
	s_mov_b64 s[30:31], 0
	s_movk_i32 s52, 0x89
	s_branch .LBB223_13
.LBB223_12:                             ;   in Loop: Header=BB223_13 Depth=1
	s_or_b64 exec, exec, s[38:39]
	v_lshl_add_u64 v[14:15], v[14:15], 0, 8
	v_cmp_le_i64_e32 vcc, s[2:3], v[14:15]
	s_or_b64 s[30:31], vcc, s[30:31]
	s_andn2_b64 exec, exec, s[30:31]
	s_cbranch_execz .LBB223_26
.LBB223_13:                             ; =>This Loop Header: Depth=1
                                        ;     Child Loop BB223_17 Depth 2
                                        ;       Child Loop BB223_20 Depth 3
	v_lshl_add_u64 v[2:3], v[14:15], 2, s[14:15]
	global_load_dword v2, v[2:3], off
	s_waitcnt vmcnt(0)
	v_subrev_u32_e32 v2, s20, v2
	v_ashrrev_i32_e32 v3, 31, v2
	v_lshl_add_u64 v[2:3], v[2:3], 3, s[18:19]
	global_load_dwordx4 v[2:5], v[2:3], off
	s_waitcnt vmcnt(0)
	v_subrev_co_u32_e32 v18, vcc, s29, v4
	s_nop 1
	v_subbrev_co_u32_e32 v19, vcc, 0, v5, vcc
	v_lshl_add_u64 v[20:21], v[2:3], 0, v[16:17]
	v_cmp_lt_i64_e32 vcc, v[20:21], v[18:19]
	s_and_saveexec_b64 s[38:39], vcc
	s_cbranch_execz .LBB223_12
; %bb.14:                               ;   in Loop: Header=BB223_13 Depth=1
	v_lshl_add_u64 v[2:3], v[14:15], 4, s[16:17]
	global_load_dwordx4 v[2:5], v[2:3], off
	s_mov_b64 s[40:41], 0
	s_waitcnt vmcnt(0)
	v_mul_f64 v[22:23], v[4:5], -v[12:13]
	v_mul_f64 v[24:25], v[10:11], v[4:5]
	v_fmac_f64_e32 v[22:23], v[10:11], v[2:3]
	v_fmac_f64_e32 v[24:25], v[12:13], v[2:3]
	s_branch .LBB223_17
.LBB223_15:                             ;   in Loop: Header=BB223_17 Depth=2
	s_or_b64 exec, exec, s[44:45]
.LBB223_16:                             ;   in Loop: Header=BB223_17 Depth=2
	s_or_b64 exec, exec, s[42:43]
	s_waitcnt vmcnt(0)
	v_mul_f64 v[30:31], v[4:5], -v[24:25]
	v_mul_f64 v[4:5], v[22:23], v[4:5]
	v_fmac_f64_e32 v[30:31], v[22:23], v[2:3]
	v_fmac_f64_e32 v[4:5], v[24:25], v[2:3]
	v_lshl_add_u32 v2, v28, 4, 0
	ds_add_f64 v2, v[30:31] offset:1024
	ds_add_f64 v2, v[4:5] offset:1032
	v_lshl_add_u64 v[20:21], v[20:21], 0, 16
	v_cmp_ge_i64_e32 vcc, v[20:21], v[18:19]
	s_or_b64 s[40:41], vcc, s[40:41]
	s_andn2_b64 exec, exec, s[40:41]
	s_cbranch_execz .LBB223_12
.LBB223_17:                             ;   Parent Loop BB223_13 Depth=1
                                        ; =>  This Loop Header: Depth=2
                                        ;       Child Loop BB223_20 Depth 3
	v_lshl_add_u64 v[2:3], v[20:21], 2, s[24:25]
	global_load_dword v28, v[2:3], off
	v_lshl_add_u64 v[2:3], v[20:21], 4, s[26:27]
	global_load_dwordx4 v[2:5], v[2:3], off
	s_waitcnt vmcnt(1)
	v_subrev_u32_e32 v29, s21, v28
	v_mul_lo_u32 v28, v29, s52
	v_and_b32_e32 v28, 0xff, v28
	v_lshl_add_u32 v30, v28, 2, 0
	ds_read_b32 v31, v30
	s_waitcnt lgkmcnt(0)
	v_cmp_ne_u32_e32 vcc, v31, v29
	s_and_saveexec_b64 s[42:43], vcc
	s_cbranch_execz .LBB223_16
; %bb.18:                               ;   in Loop: Header=BB223_17 Depth=2
	s_mov_b64 s[44:45], 0
	s_branch .LBB223_20
.LBB223_19:                             ;   in Loop: Header=BB223_20 Depth=3
	s_or_b64 exec, exec, s[50:51]
	s_and_b64 s[46:47], exec, s[48:49]
	s_or_b64 s[44:45], s[46:47], s[44:45]
	s_andn2_b64 exec, exec, s[44:45]
	s_cbranch_execz .LBB223_15
.LBB223_20:                             ;   Parent Loop BB223_13 Depth=1
                                        ;     Parent Loop BB223_17 Depth=2
                                        ; =>    This Inner Loop Header: Depth=3
	v_cmp_ne_u32_e32 vcc, s33, v31
	s_mov_b64 s[46:47], 0
	s_and_saveexec_b64 s[48:49], vcc
	s_xor_b64 s[48:49], exec, s[48:49]
	s_cbranch_execz .LBB223_22
; %bb.21:                               ;   in Loop: Header=BB223_20 Depth=3
	v_add_u32_e32 v28, 1, v28
	s_mov_b64 s[46:47], exec
	v_and_b32_e32 v28, 0xff, v28
                                        ; implicit-def: $vgpr30
	s_andn2_saveexec_b64 s[48:49], s[48:49]
	s_cbranch_execz .LBB223_24
	s_branch .LBB223_23
.LBB223_22:                             ;   in Loop: Header=BB223_20 Depth=3
	s_andn2_saveexec_b64 s[48:49], s[48:49]
	s_cbranch_execz .LBB223_24
.LBB223_23:                             ;   in Loop: Header=BB223_20 Depth=3
	v_mov_b32_e32 v31, s33
	ds_cmpst_rtn_b32 v30, v30, v31, v29
	s_andn2_b64 s[46:47], s[46:47], exec
	s_waitcnt lgkmcnt(0)
	v_cmp_ne_u32_e32 vcc, s33, v30
	s_and_b64 s[50:51], vcc, exec
	s_or_b64 s[46:47], s[46:47], s[50:51]
.LBB223_24:                             ;   in Loop: Header=BB223_20 Depth=3
	s_or_b64 exec, exec, s[48:49]
	s_mov_b64 s[48:49], -1
                                        ; implicit-def: $vgpr30
                                        ; implicit-def: $vgpr31
	s_and_saveexec_b64 s[50:51], s[46:47]
	s_cbranch_execz .LBB223_19
; %bb.25:                               ;   in Loop: Header=BB223_20 Depth=3
	v_lshl_add_u32 v30, v28, 2, 0
	ds_read_b32 v31, v30
	s_waitcnt lgkmcnt(0)
	v_cmp_eq_u32_e32 vcc, v31, v29
	s_orn2_b64 s[48:49], vcc, exec
	s_branch .LBB223_19
.LBB223_26:
	s_or_b64 exec, exec, s[12:13]
.LBB223_27:
	s_andn2_b64 vcc, exec, s[36:37]
	s_cbranch_vccnz .LBB223_42
; %bb.28:
	s_waitcnt lgkmcnt(0)
	s_ashr_i32 s29, s28, 31
	s_lshl_b64 s[2:3], s[28:29], 3
	s_add_u32 s2, s4, s2
	s_addc_u32 s3, s5, s3
	s_load_dwordx4 s[12:15], s[2:3], 0x0
	v_subrev_co_u32_e32 v2, vcc, s23, v0
	s_nop 1
	v_subb_co_u32_e64 v3, s[2:3], 0, 0, vcc
	s_waitcnt lgkmcnt(0)
	s_sub_u32 s2, s14, s23
	s_subb_u32 s3, s15, 0
	s_waitcnt vmcnt(0)
	v_lshl_add_u64 v[10:11], s[12:13], 0, v[2:3]
	v_cmp_gt_i64_e32 vcc, s[2:3], v[10:11]
	s_and_saveexec_b64 s[4:5], vcc
	s_cbranch_execz .LBB223_41
; %bb.29:
	s_mov_b64 s[12:13], 0
	s_movk_i32 s29, 0x89
	s_mov_b64 s[14:15], 0x80
	s_branch .LBB223_32
.LBB223_30:                             ;   in Loop: Header=BB223_32 Depth=1
	s_or_b64 exec, exec, s[18:19]
.LBB223_31:                             ;   in Loop: Header=BB223_32 Depth=1
	s_or_b64 exec, exec, s[16:17]
	s_waitcnt vmcnt(0)
	v_mul_f64 v[14:15], v[4:5], -v[6:7]
	v_mul_f64 v[4:5], v[8:9], v[4:5]
	v_fmac_f64_e32 v[14:15], v[8:9], v[2:3]
	v_fmac_f64_e32 v[4:5], v[6:7], v[2:3]
	v_lshl_add_u32 v2, v12, 4, 0
	ds_add_f64 v2, v[14:15] offset:1024
	ds_add_f64 v2, v[4:5] offset:1032
	v_lshl_add_u64 v[10:11], v[10:11], 0, s[14:15]
	v_cmp_le_i64_e32 vcc, s[2:3], v[10:11]
	s_or_b64 s[12:13], vcc, s[12:13]
	s_andn2_b64 exec, exec, s[12:13]
	s_cbranch_execz .LBB223_41
.LBB223_32:                             ; =>This Loop Header: Depth=1
                                        ;     Child Loop BB223_35 Depth 2
	v_lshl_add_u64 v[2:3], v[10:11], 2, s[6:7]
	global_load_dword v12, v[2:3], off
	v_lshl_add_u64 v[2:3], v[10:11], 4, s[8:9]
	global_load_dwordx4 v[2:5], v[2:3], off
	s_waitcnt vmcnt(1)
	v_subrev_u32_e32 v13, s23, v12
	v_mul_lo_u32 v12, v13, s29
	v_and_b32_e32 v12, 0xff, v12
	v_lshl_add_u32 v14, v12, 2, 0
	ds_read_b32 v15, v14
	s_waitcnt lgkmcnt(0)
	v_cmp_ne_u32_e32 vcc, v15, v13
	s_and_saveexec_b64 s[16:17], vcc
	s_cbranch_execz .LBB223_31
; %bb.33:                               ;   in Loop: Header=BB223_32 Depth=1
	s_mov_b64 s[18:19], 0
	s_branch .LBB223_35
.LBB223_34:                             ;   in Loop: Header=BB223_35 Depth=2
	s_or_b64 exec, exec, s[26:27]
	s_and_b64 s[20:21], exec, s[24:25]
	s_or_b64 s[18:19], s[20:21], s[18:19]
	s_andn2_b64 exec, exec, s[18:19]
	s_cbranch_execz .LBB223_30
.LBB223_35:                             ;   Parent Loop BB223_32 Depth=1
                                        ; =>  This Inner Loop Header: Depth=2
	v_cmp_ne_u32_e32 vcc, s33, v15
	s_mov_b64 s[20:21], 0
	s_and_saveexec_b64 s[24:25], vcc
	s_xor_b64 s[24:25], exec, s[24:25]
	s_cbranch_execz .LBB223_37
; %bb.36:                               ;   in Loop: Header=BB223_35 Depth=2
	v_add_u32_e32 v12, 1, v12
	s_mov_b64 s[20:21], exec
	v_and_b32_e32 v12, 0xff, v12
                                        ; implicit-def: $vgpr14
	s_andn2_saveexec_b64 s[24:25], s[24:25]
	s_cbranch_execz .LBB223_39
	s_branch .LBB223_38
.LBB223_37:                             ;   in Loop: Header=BB223_35 Depth=2
	s_andn2_saveexec_b64 s[24:25], s[24:25]
	s_cbranch_execz .LBB223_39
.LBB223_38:                             ;   in Loop: Header=BB223_35 Depth=2
	v_mov_b32_e32 v15, s33
	ds_cmpst_rtn_b32 v14, v14, v15, v13
	s_andn2_b64 s[20:21], s[20:21], exec
	s_waitcnt lgkmcnt(0)
	v_cmp_ne_u32_e32 vcc, s33, v14
	s_and_b64 s[26:27], vcc, exec
	s_or_b64 s[20:21], s[20:21], s[26:27]
.LBB223_39:                             ;   in Loop: Header=BB223_35 Depth=2
	s_or_b64 exec, exec, s[24:25]
	s_mov_b64 s[24:25], -1
                                        ; implicit-def: $vgpr14
                                        ; implicit-def: $vgpr15
	s_and_saveexec_b64 s[26:27], s[20:21]
	s_cbranch_execz .LBB223_34
; %bb.40:                               ;   in Loop: Header=BB223_35 Depth=2
	v_lshl_add_u32 v14, v12, 2, 0
	ds_read_b32 v15, v14
	s_waitcnt lgkmcnt(0)
	v_cmp_eq_u32_e32 vcc, v15, v13
	s_orn2_b64 s[24:25], vcc, exec
	s_branch .LBB223_34
.LBB223_41:
	s_or_b64 exec, exec, s[4:5]
.LBB223_42:
	s_waitcnt lgkmcnt(0)
	s_barrier
	s_and_saveexec_b64 s[4:5], s[0:1]
	s_cbranch_execz .LBB223_51
; %bb.43:
	v_mbcnt_lo_u32_b32 v2, -1, 0
	v_mbcnt_hi_u32_b32 v2, -1, v2
	v_sub_u32_e32 v2, 63, v2
	v_and_b32_e32 v5, 4, v27
	s_movk_i32 s2, 0x7f
	v_mov_b32_e32 v4, 0
	v_lshrrev_b64 v[2:3], v2, -1
	v_add_u32_e32 v5, 0, v5
	v_cmp_lt_u32_e64 s[0:1], 63, v0
	v_cmp_eq_u32_e64 s[2:3], s2, v0
	s_waitcnt vmcnt(0)
	v_add_u32_e32 v6, 0x400, v26
	v_or_b32_e32 v7, 0xffffff80, v0
	s_mov_b64 s[6:7], 0
	v_mov_b32_e32 v8, 0
	s_branch .LBB223_45
.LBB223_44:                             ;   in Loop: Header=BB223_45 Depth=1
	s_or_b64 exec, exec, s[8:9]
	s_waitcnt lgkmcnt(0)
	s_barrier
	ds_read_b32 v9, v4 offset:5124
	v_add_co_u32_e32 v7, vcc, 0x80, v7
	s_xor_b64 s[8:9], vcc, -1
	s_and_b64 s[8:9], exec, s[8:9]
	v_add_u32_e32 v6, 0x800, v6
	s_waitcnt lgkmcnt(0)
	v_add_u32_e32 v8, v9, v8
	s_or_b64 s[6:7], s[8:9], s[6:7]
	v_add_u32_e32 v1, 0x200, v1
	s_andn2_b64 exec, exec, s[6:7]
	s_cbranch_execz .LBB223_51
.LBB223_45:                             ; =>This Inner Loop Header: Depth=1
	ds_read2_b64 v[12:15], v6 offset1:1
	ds_read_b32 v10, v1
	s_waitcnt lgkmcnt(1)
	scratch_store_dwordx4 off, v[12:15], off
	s_waitcnt lgkmcnt(0)
	v_cmp_gt_i32_e32 vcc, s33, v10
	s_bcnt1_i32_b64 s8, vcc
	s_nop 0
	v_and_b32_e32 v11, vcc_lo, v2
	v_and_b32_e32 v9, vcc_hi, v3
	v_bcnt_u32_b32 v11, v11, 0
	v_bcnt_u32_b32 v9, v9, v11
	v_mov_b32_e32 v11, s8
	s_barrier
	ds_write_b32 v5, v11 offset:5120
	s_waitcnt lgkmcnt(0)
	s_barrier
	s_and_saveexec_b64 s[8:9], s[0:1]
	s_cbranch_execz .LBB223_48
; %bb.46:                               ;   in Loop: Header=BB223_45 Depth=1
	ds_read_b32 v11, v4 offset:5120
	s_waitcnt lgkmcnt(0)
	v_add_u32_e32 v9, v11, v9
	s_or_b64 exec, exec, s[8:9]
	s_and_saveexec_b64 s[8:9], vcc
	s_cbranch_execnz .LBB223_49
.LBB223_47:                             ;   in Loop: Header=BB223_45 Depth=1
	s_or_b64 exec, exec, s[8:9]
	s_and_saveexec_b64 s[8:9], s[2:3]
	s_cbranch_execz .LBB223_44
	s_branch .LBB223_50
.LBB223_48:                             ;   in Loop: Header=BB223_45 Depth=1
	s_or_b64 exec, exec, s[8:9]
	s_and_saveexec_b64 s[8:9], vcc
	s_cbranch_execz .LBB223_47
.LBB223_49:                             ;   in Loop: Header=BB223_45 Depth=1
	scratch_load_dwordx4 v[12:15], off, off
	v_add3_u32 v11, v8, -1, v9
	v_lshl_add_u32 v11, v11, 2, 0
	v_add_u32_e32 v16, v8, v9
	v_lshl_add_u32 v16, v16, 4, 0
	ds_write_b32 v11, v10
	s_waitcnt vmcnt(0)
	ds_write2_b64 v16, v[12:13], v[14:15] offset0:126 offset1:127
	s_or_b64 exec, exec, s[8:9]
	s_and_saveexec_b64 s[8:9], s[2:3]
	s_cbranch_execz .LBB223_44
.LBB223_50:                             ;   in Loop: Header=BB223_45 Depth=1
	ds_write_b32 v4, v9 offset:5124
	s_branch .LBB223_44
.LBB223_51:
	s_or_b64 exec, exec, s[4:5]
	s_ashr_i32 s29, s28, 31
	s_lshl_b64 s[0:1], s[28:29], 3
	s_add_u32 s4, s10, s0
	s_addc_u32 s5, s11, s1
	s_load_dwordx4 s[0:3], s[4:5], 0x0
	s_waitcnt lgkmcnt(0)
	s_sub_i32 s8, s2, s0
	v_cmp_gt_i32_e32 vcc, s8, v0
	s_and_saveexec_b64 s[4:5], vcc
	s_cbranch_execz .LBB223_61
; %bb.52:
	s_sub_u32 s4, s0, s22
	s_subb_u32 s5, s1, 0
	s_and_b32 s10, s8, 7
	s_sub_i32 s0, s0, s2
	s_cmp_lt_u32 s0, -7
	s_cselect_b64 s[0:1], -1, 0
	s_and_b32 s11, s8, -8
	s_cmp_lg_u32 s10, 0
	v_cndmask_b32_e64 v1, 0, 1, s[0:1]
	s_cselect_b64 s[2:3], -1, 0
	v_cmp_ne_u32_e64 s[0:1], 1, v1
	v_cndmask_b32_e64 v1, 0, 1, s[2:3]
	s_mov_b32 s9, 0
	s_mov_b64 s[6:7], 0
	v_cmp_ne_u32_e64 s[2:3], 1, v1
	s_waitcnt vmcnt(0)
	s_branch .LBB223_54
.LBB223_53:                             ;   in Loop: Header=BB223_54 Depth=1
	v_mad_u64_u32 v[2:3], s[12:13], v0, 12, v[2:3]
	ds_read2_b64 v[6:9], v2 offset0:128 offset1:129
	v_add_u32_e32 v0, 0x80, v0
	v_cmp_le_i32_e32 vcc, s8, v0
	v_lshl_add_u64 v[2:3], v[4:5], 4, s[34:35]
	s_or_b64 s[6:7], vcc, s[6:7]
	s_waitcnt lgkmcnt(0)
	global_store_dwordx4 v[2:3], v[6:9], off
	s_andn2_b64 exec, exec, s[6:7]
	s_cbranch_execz .LBB223_61
.LBB223_54:                             ; =>This Loop Header: Depth=1
                                        ;     Child Loop BB223_56 Depth 2
                                        ;     Child Loop BB223_60 Depth 2
	v_lshl_add_u32 v2, v0, 2, 0
	ds_read_b32 v1, v2
	s_and_b64 vcc, exec, s[0:1]
	v_mov_b64_e32 v[4:5], s[4:5]
	s_mov_b32 s12, 0
	s_cbranch_vccnz .LBB223_58
; %bb.55:                               ;   in Loop: Header=BB223_54 Depth=1
	s_mov_b32 s13, 0
	v_mov_b64_e32 v[4:5], s[4:5]
.LBB223_56:                             ;   Parent Loop BB223_54 Depth=1
                                        ; =>  This Inner Loop Header: Depth=2
	v_mov_b32_e32 v3, s13
	ds_read2_b32 v[22:23], v3 offset1:1
	ds_read2_b32 v[24:25], v3 offset0:2 offset1:3
	ds_read2_b32 v[26:27], v3 offset0:4 offset1:5
	;; [unrolled: 1-line block ×3, first 2 shown]
	v_mov_b32_e32 v7, s9
	s_waitcnt lgkmcnt(3)
	v_cmp_gt_i32_e32 vcc, v1, v22
	v_mov_b32_e32 v9, s9
	v_mov_b32_e32 v11, s9
	v_cndmask_b32_e64 v6, 0, 1, vcc
	v_cmp_gt_i32_e32 vcc, v1, v23
	v_lshl_add_u64 v[4:5], v[4:5], 0, v[6:7]
	v_mov_b32_e32 v13, s9
	v_cndmask_b32_e64 v8, 0, 1, vcc
	s_waitcnt lgkmcnt(2)
	v_cmp_gt_i32_e32 vcc, v1, v24
	v_lshl_add_u64 v[4:5], v[4:5], 0, v[8:9]
	v_mov_b32_e32 v15, s9
	v_cndmask_b32_e64 v10, 0, 1, vcc
	v_cmp_gt_i32_e32 vcc, v1, v25
	v_lshl_add_u64 v[4:5], v[4:5], 0, v[10:11]
	v_mov_b32_e32 v17, s9
	v_cndmask_b32_e64 v12, 0, 1, vcc
	s_waitcnt lgkmcnt(1)
	v_cmp_gt_i32_e32 vcc, v1, v26
	v_lshl_add_u64 v[4:5], v[4:5], 0, v[12:13]
	;; [unrolled: 9-line block ×3, first 2 shown]
	s_add_i32 s12, s12, 8
	v_cndmask_b32_e64 v18, 0, 1, vcc
	v_cmp_gt_i32_e32 vcc, v1, v29
	s_add_i32 s13, s13, 32
	v_lshl_add_u64 v[4:5], v[4:5], 0, v[18:19]
	v_cndmask_b32_e64 v20, 0, 1, vcc
	s_cmp_eq_u32 s11, s12
	v_lshl_add_u64 v[4:5], v[4:5], 0, v[20:21]
	s_cbranch_scc0 .LBB223_56
; %bb.57:                               ;   in Loop: Header=BB223_54 Depth=1
	s_mov_b32 s12, s11
.LBB223_58:                             ;   in Loop: Header=BB223_54 Depth=1
	s_and_b64 vcc, exec, s[2:3]
	s_cbranch_vccnz .LBB223_53
; %bb.59:                               ;   in Loop: Header=BB223_54 Depth=1
	s_lshl_b32 s12, s12, 2
	s_add_i32 s12, s12, 0
	s_mov_b32 s13, s10
.LBB223_60:                             ;   Parent Loop BB223_54 Depth=1
                                        ; =>  This Inner Loop Header: Depth=2
	v_mov_b32_e32 v3, s12
	ds_read_b32 v3, v3
	v_mov_b32_e32 v7, s9
	s_add_i32 s12, s12, 4
	s_add_i32 s13, s13, -1
	s_cmp_lg_u32 s13, 0
	s_waitcnt lgkmcnt(0)
	v_cmp_gt_i32_e32 vcc, v1, v3
	s_nop 1
	v_cndmask_b32_e64 v6, 0, 1, vcc
	v_lshl_add_u64 v[4:5], v[4:5], 0, v[6:7]
	s_cbranch_scc1 .LBB223_60
	s_branch .LBB223_53
.LBB223_61:
	s_endpgm
	.section	.rodata,"a",@progbits
	.p2align	6, 0x0
	.amdhsa_kernel _ZN9rocsparseL41csrgemm_numeric_fill_block_per_row_kernelILj128ELj16ELj256ELj137ELj64Eli21rocsparse_complex_numIdEEEvT5_PKS3_S5_NS_24const_host_device_scalarIT6_EEPKT4_S5_PKS7_SB_S5_SD_S8_SB_S5_SD_SB_S5_PS7_21rocsparse_index_base_SF_SF_SF_bbb
		.amdhsa_group_segment_fixed_size 0
		.amdhsa_private_segment_fixed_size 40
		.amdhsa_kernarg_size 172
		.amdhsa_user_sgpr_count 2
		.amdhsa_user_sgpr_dispatch_ptr 0
		.amdhsa_user_sgpr_queue_ptr 0
		.amdhsa_user_sgpr_kernarg_segment_ptr 1
		.amdhsa_user_sgpr_dispatch_id 0
		.amdhsa_user_sgpr_kernarg_preload_length 0
		.amdhsa_user_sgpr_kernarg_preload_offset 0
		.amdhsa_user_sgpr_private_segment_size 0
		.amdhsa_uses_dynamic_stack 0
		.amdhsa_enable_private_segment 1
		.amdhsa_system_sgpr_workgroup_id_x 1
		.amdhsa_system_sgpr_workgroup_id_y 0
		.amdhsa_system_sgpr_workgroup_id_z 0
		.amdhsa_system_sgpr_workgroup_info 0
		.amdhsa_system_vgpr_workitem_id 0
		.amdhsa_next_free_vgpr 32
		.amdhsa_next_free_sgpr 53
		.amdhsa_accum_offset 32
		.amdhsa_reserve_vcc 1
		.amdhsa_float_round_mode_32 0
		.amdhsa_float_round_mode_16_64 0
		.amdhsa_float_denorm_mode_32 3
		.amdhsa_float_denorm_mode_16_64 3
		.amdhsa_dx10_clamp 1
		.amdhsa_ieee_mode 1
		.amdhsa_fp16_overflow 0
		.amdhsa_tg_split 0
		.amdhsa_exception_fp_ieee_invalid_op 0
		.amdhsa_exception_fp_denorm_src 0
		.amdhsa_exception_fp_ieee_div_zero 0
		.amdhsa_exception_fp_ieee_overflow 0
		.amdhsa_exception_fp_ieee_underflow 0
		.amdhsa_exception_fp_ieee_inexact 0
		.amdhsa_exception_int_div_zero 0
	.end_amdhsa_kernel
	.section	.text._ZN9rocsparseL41csrgemm_numeric_fill_block_per_row_kernelILj128ELj16ELj256ELj137ELj64Eli21rocsparse_complex_numIdEEEvT5_PKS3_S5_NS_24const_host_device_scalarIT6_EEPKT4_S5_PKS7_SB_S5_SD_S8_SB_S5_SD_SB_S5_PS7_21rocsparse_index_base_SF_SF_SF_bbb,"axG",@progbits,_ZN9rocsparseL41csrgemm_numeric_fill_block_per_row_kernelILj128ELj16ELj256ELj137ELj64Eli21rocsparse_complex_numIdEEEvT5_PKS3_S5_NS_24const_host_device_scalarIT6_EEPKT4_S5_PKS7_SB_S5_SD_S8_SB_S5_SD_SB_S5_PS7_21rocsparse_index_base_SF_SF_SF_bbb,comdat
.Lfunc_end223:
	.size	_ZN9rocsparseL41csrgemm_numeric_fill_block_per_row_kernelILj128ELj16ELj256ELj137ELj64Eli21rocsparse_complex_numIdEEEvT5_PKS3_S5_NS_24const_host_device_scalarIT6_EEPKT4_S5_PKS7_SB_S5_SD_S8_SB_S5_SD_SB_S5_PS7_21rocsparse_index_base_SF_SF_SF_bbb, .Lfunc_end223-_ZN9rocsparseL41csrgemm_numeric_fill_block_per_row_kernelILj128ELj16ELj256ELj137ELj64Eli21rocsparse_complex_numIdEEEvT5_PKS3_S5_NS_24const_host_device_scalarIT6_EEPKT4_S5_PKS7_SB_S5_SD_S8_SB_S5_SD_SB_S5_PS7_21rocsparse_index_base_SF_SF_SF_bbb
                                        ; -- End function
	.set _ZN9rocsparseL41csrgemm_numeric_fill_block_per_row_kernelILj128ELj16ELj256ELj137ELj64Eli21rocsparse_complex_numIdEEEvT5_PKS3_S5_NS_24const_host_device_scalarIT6_EEPKT4_S5_PKS7_SB_S5_SD_S8_SB_S5_SD_SB_S5_PS7_21rocsparse_index_base_SF_SF_SF_bbb.num_vgpr, 32
	.set _ZN9rocsparseL41csrgemm_numeric_fill_block_per_row_kernelILj128ELj16ELj256ELj137ELj64Eli21rocsparse_complex_numIdEEEvT5_PKS3_S5_NS_24const_host_device_scalarIT6_EEPKT4_S5_PKS7_SB_S5_SD_S8_SB_S5_SD_SB_S5_PS7_21rocsparse_index_base_SF_SF_SF_bbb.num_agpr, 0
	.set _ZN9rocsparseL41csrgemm_numeric_fill_block_per_row_kernelILj128ELj16ELj256ELj137ELj64Eli21rocsparse_complex_numIdEEEvT5_PKS3_S5_NS_24const_host_device_scalarIT6_EEPKT4_S5_PKS7_SB_S5_SD_S8_SB_S5_SD_SB_S5_PS7_21rocsparse_index_base_SF_SF_SF_bbb.numbered_sgpr, 53
	.set _ZN9rocsparseL41csrgemm_numeric_fill_block_per_row_kernelILj128ELj16ELj256ELj137ELj64Eli21rocsparse_complex_numIdEEEvT5_PKS3_S5_NS_24const_host_device_scalarIT6_EEPKT4_S5_PKS7_SB_S5_SD_S8_SB_S5_SD_SB_S5_PS7_21rocsparse_index_base_SF_SF_SF_bbb.num_named_barrier, 0
	.set _ZN9rocsparseL41csrgemm_numeric_fill_block_per_row_kernelILj128ELj16ELj256ELj137ELj64Eli21rocsparse_complex_numIdEEEvT5_PKS3_S5_NS_24const_host_device_scalarIT6_EEPKT4_S5_PKS7_SB_S5_SD_S8_SB_S5_SD_SB_S5_PS7_21rocsparse_index_base_SF_SF_SF_bbb.private_seg_size, 40
	.set _ZN9rocsparseL41csrgemm_numeric_fill_block_per_row_kernelILj128ELj16ELj256ELj137ELj64Eli21rocsparse_complex_numIdEEEvT5_PKS3_S5_NS_24const_host_device_scalarIT6_EEPKT4_S5_PKS7_SB_S5_SD_S8_SB_S5_SD_SB_S5_PS7_21rocsparse_index_base_SF_SF_SF_bbb.uses_vcc, 1
	.set _ZN9rocsparseL41csrgemm_numeric_fill_block_per_row_kernelILj128ELj16ELj256ELj137ELj64Eli21rocsparse_complex_numIdEEEvT5_PKS3_S5_NS_24const_host_device_scalarIT6_EEPKT4_S5_PKS7_SB_S5_SD_S8_SB_S5_SD_SB_S5_PS7_21rocsparse_index_base_SF_SF_SF_bbb.uses_flat_scratch, 0
	.set _ZN9rocsparseL41csrgemm_numeric_fill_block_per_row_kernelILj128ELj16ELj256ELj137ELj64Eli21rocsparse_complex_numIdEEEvT5_PKS3_S5_NS_24const_host_device_scalarIT6_EEPKT4_S5_PKS7_SB_S5_SD_S8_SB_S5_SD_SB_S5_PS7_21rocsparse_index_base_SF_SF_SF_bbb.has_dyn_sized_stack, 0
	.set _ZN9rocsparseL41csrgemm_numeric_fill_block_per_row_kernelILj128ELj16ELj256ELj137ELj64Eli21rocsparse_complex_numIdEEEvT5_PKS3_S5_NS_24const_host_device_scalarIT6_EEPKT4_S5_PKS7_SB_S5_SD_S8_SB_S5_SD_SB_S5_PS7_21rocsparse_index_base_SF_SF_SF_bbb.has_recursion, 0
	.set _ZN9rocsparseL41csrgemm_numeric_fill_block_per_row_kernelILj128ELj16ELj256ELj137ELj64Eli21rocsparse_complex_numIdEEEvT5_PKS3_S5_NS_24const_host_device_scalarIT6_EEPKT4_S5_PKS7_SB_S5_SD_S8_SB_S5_SD_SB_S5_PS7_21rocsparse_index_base_SF_SF_SF_bbb.has_indirect_call, 0
	.section	.AMDGPU.csdata,"",@progbits
; Kernel info:
; codeLenInByte = 2584
; TotalNumSgprs: 59
; NumVgprs: 32
; NumAgprs: 0
; TotalNumVgprs: 32
; ScratchSize: 40
; MemoryBound: 0
; FloatMode: 240
; IeeeMode: 1
; LDSByteSize: 0 bytes/workgroup (compile time only)
; SGPRBlocks: 7
; VGPRBlocks: 3
; NumSGPRsForWavesPerEU: 59
; NumVGPRsForWavesPerEU: 32
; AccumOffset: 32
; Occupancy: 8
; WaveLimiterHint : 1
; COMPUTE_PGM_RSRC2:SCRATCH_EN: 1
; COMPUTE_PGM_RSRC2:USER_SGPR: 2
; COMPUTE_PGM_RSRC2:TRAP_HANDLER: 0
; COMPUTE_PGM_RSRC2:TGID_X_EN: 1
; COMPUTE_PGM_RSRC2:TGID_Y_EN: 0
; COMPUTE_PGM_RSRC2:TGID_Z_EN: 0
; COMPUTE_PGM_RSRC2:TIDIG_COMP_CNT: 0
; COMPUTE_PGM_RSRC3_GFX90A:ACCUM_OFFSET: 7
; COMPUTE_PGM_RSRC3_GFX90A:TG_SPLIT: 0
	.section	.text._ZN9rocsparseL41csrgemm_numeric_fill_block_per_row_kernelILj256ELj32ELj512ELj137ELj32Eli21rocsparse_complex_numIdEEEvT5_PKS3_S5_NS_24const_host_device_scalarIT6_EEPKT4_S5_PKS7_SB_S5_SD_S8_SB_S5_SD_SB_S5_PS7_21rocsparse_index_base_SF_SF_SF_bbb,"axG",@progbits,_ZN9rocsparseL41csrgemm_numeric_fill_block_per_row_kernelILj256ELj32ELj512ELj137ELj32Eli21rocsparse_complex_numIdEEEvT5_PKS3_S5_NS_24const_host_device_scalarIT6_EEPKT4_S5_PKS7_SB_S5_SD_S8_SB_S5_SD_SB_S5_PS7_21rocsparse_index_base_SF_SF_SF_bbb,comdat
	.globl	_ZN9rocsparseL41csrgemm_numeric_fill_block_per_row_kernelILj256ELj32ELj512ELj137ELj32Eli21rocsparse_complex_numIdEEEvT5_PKS3_S5_NS_24const_host_device_scalarIT6_EEPKT4_S5_PKS7_SB_S5_SD_S8_SB_S5_SD_SB_S5_PS7_21rocsparse_index_base_SF_SF_SF_bbb ; -- Begin function _ZN9rocsparseL41csrgemm_numeric_fill_block_per_row_kernelILj256ELj32ELj512ELj137ELj32Eli21rocsparse_complex_numIdEEEvT5_PKS3_S5_NS_24const_host_device_scalarIT6_EEPKT4_S5_PKS7_SB_S5_SD_S8_SB_S5_SD_SB_S5_PS7_21rocsparse_index_base_SF_SF_SF_bbb
	.p2align	8
	.type	_ZN9rocsparseL41csrgemm_numeric_fill_block_per_row_kernelILj256ELj32ELj512ELj137ELj32Eli21rocsparse_complex_numIdEEEvT5_PKS3_S5_NS_24const_host_device_scalarIT6_EEPKT4_S5_PKS7_SB_S5_SD_S8_SB_S5_SD_SB_S5_PS7_21rocsparse_index_base_SF_SF_SF_bbb,@function
_ZN9rocsparseL41csrgemm_numeric_fill_block_per_row_kernelILj256ELj32ELj512ELj137ELj32Eli21rocsparse_complex_numIdEEEvT5_PKS3_S5_NS_24const_host_device_scalarIT6_EEPKT4_S5_PKS7_SB_S5_SD_S8_SB_S5_SD_SB_S5_PS7_21rocsparse_index_base_SF_SF_SF_bbb: ; @_ZN9rocsparseL41csrgemm_numeric_fill_block_per_row_kernelILj256ELj32ELj512ELj137ELj32Eli21rocsparse_complex_numIdEEEvT5_PKS3_S5_NS_24const_host_device_scalarIT6_EEPKT4_S5_PKS7_SB_S5_SD_S8_SB_S5_SD_SB_S5_PS7_21rocsparse_index_base_SF_SF_SF_bbb
; %bb.0:
	s_load_dword s3, s[0:1], 0xa8
	s_load_dwordx4 s[12:15], s[0:1], 0x18
	s_load_dwordx4 s[8:11], s[0:1], 0x58
	v_mov_b64_e32 v[6:7], 0
	v_mov_b64_e32 v[10:11], 0
	s_waitcnt lgkmcnt(0)
	s_bitcmp1_b32 s3, 0
	s_cselect_b64 s[38:39], -1, 0
	s_bitcmp1_b32 s3, 16
	s_cselect_b64 s[6:7], -1, 0
	s_xor_b64 s[4:5], s[6:7], -1
	v_mov_b64_e32 v[2:3], s[12:13]
	v_cndmask_b32_e64 v1, 0, 1, s[4:5]
	scratch_store_dwordx2 off, v[2:3], off offset:16
	v_mov_b64_e32 v[2:3], s[8:9]
	s_bitcmp0_b32 s3, 0
	v_cmp_ne_u32_e64 s[4:5], 1, v1
	v_mov_b64_e32 v[12:13], 0
	scratch_store_dwordx2 off, v[2:3], off offset:24
	s_cbranch_scc1 .LBB224_3
; %bb.1:
	s_mov_b64 s[16:17], src_private_base
	s_and_b64 s[18:19], s[6:7], exec
	s_cselect_b32 s16, s17, s13
	s_cselect_b32 s17, 16, s12
	v_mov_b32_e32 v2, s17
	v_mov_b32_e32 v3, s16
	flat_load_dwordx2 v[10:11], v[2:3]
	s_and_b64 vcc, exec, s[4:5]
	v_mov_b64_e32 v[12:13], s[14:15]
	s_cbranch_vccnz .LBB224_3
; %bb.2:
	v_mov_b64_e32 v[2:3], s[12:13]
	flat_load_dwordx2 v[12:13], v[2:3] offset:8
.LBB224_3:
	s_load_dwordx4 s[20:23], s[0:1], 0x98
	s_bitcmp1_b32 s3, 8
	s_cselect_b64 s[36:37], -1, 0
	s_bfe_u32 s3, s3, 0x10008
	s_cmp_eq_u32 s3, 0
	v_mov_b64_e32 v[8:9], 0
	s_cbranch_scc1 .LBB224_6
; %bb.4:
	s_mov_b64 s[12:13], src_private_base
	s_and_b64 s[6:7], s[6:7], exec
	s_cselect_b32 s3, s13, s9
	s_cselect_b32 s6, 24, s8
	v_mov_b32_e32 v2, s6
	v_mov_b32_e32 v3, s3
	flat_load_dwordx2 v[8:9], v[2:3]
	s_and_b64 vcc, exec, s[4:5]
	v_mov_b64_e32 v[6:7], s[10:11]
	s_cbranch_vccnz .LBB224_6
; %bb.5:
	v_mov_b64_e32 v[2:3], s[8:9]
	flat_load_dwordx2 v[6:7], v[2:3] offset:8
.LBB224_6:
	s_load_dwordx2 s[34:35], s[0:1], 0x90
	s_load_dwordx8 s[12:19], s[0:1], 0x68
	s_load_dwordx4 s[24:27], s[0:1], 0x48
	s_load_dwordx8 s[4:11], s[0:1], 0x28
	s_load_dwordx4 s[28:31], s[0:1], 0x8
	s_load_dword s33, s[0:1], 0x0
	s_movk_i32 s0, 0x200
	v_cmp_gt_u32_e64 s[0:1], s0, v0
	v_lshl_add_u32 v26, v0, 4, 0
	v_lshl_add_u32 v1, v0, 2, 0
	s_and_saveexec_b64 s[40:41], s[0:1]
	s_cbranch_execz .LBB224_9
; %bb.7:
	s_mov_b32 s44, 0
	s_mov_b32 s45, s44
	;; [unrolled: 1-line block ×4, first 2 shown]
	v_add_u32_e32 v14, 0x800, v26
	v_or_b32_e32 v15, 0xffffff00, v0
	v_lshl_add_u32 v16, v0, 2, 0
	s_mov_b64 s[42:43], 0
	s_waitcnt lgkmcnt(0)
	v_mov_b32_e32 v17, s33
	v_mov_b64_e32 v[2:3], s[44:45]
	v_mov_b64_e32 v[4:5], s[46:47]
.LBB224_8:                              ; =>This Inner Loop Header: Depth=1
	v_add_co_u32_e32 v15, vcc, 0x100, v15
	s_xor_b64 s[44:45], vcc, -1
	s_and_b64 s[44:45], exec, s[44:45]
	ds_write_b32 v16, v17
	ds_write2_b64 v14, v[2:3], v[4:5] offset1:1
	v_add_u32_e32 v14, 0x1000, v14
	s_or_b64 s[42:43], s[44:45], s[42:43]
	v_add_u32_e32 v16, 0x400, v16
	s_andn2_b64 exec, exec, s[42:43]
	s_cbranch_execnz .LBB224_8
.LBB224_9:
	s_or_b64 exec, exec, s[40:41]
	s_waitcnt lgkmcnt(0)
	s_barrier
	s_load_dword s3, s[28:29], 0x0
	v_lshrrev_b32_e32 v27, 5, v0
	s_waitcnt lgkmcnt(0)
	s_add_i32 s2, s3, s2
	s_mov_b32 s3, 0
	s_lshl_b64 s[2:3], s[2:3], 2
	s_add_u32 s2, s30, s2
	s_addc_u32 s3, s31, s3
	s_load_dword s28, s[2:3], 0x0
	s_and_b64 vcc, exec, s[38:39]
	s_cbranch_vccz .LBB224_27
; %bb.10:
	s_waitcnt lgkmcnt(0)
	s_ashr_i32 s29, s28, 31
	s_lshl_b64 s[2:3], s[28:29], 3
	s_add_u32 s2, s4, s2
	s_addc_u32 s3, s5, s3
	s_load_dwordx4 s[40:43], s[2:3], 0x0
	v_subrev_co_u32_e32 v2, vcc, s20, v27
	s_nop 1
	v_subb_co_u32_e64 v3, s[2:3], 0, 0, vcc
	s_waitcnt lgkmcnt(0)
	s_sub_u32 s2, s42, s20
	s_subb_u32 s3, s43, 0
	v_lshl_add_u64 v[14:15], s[40:41], 0, v[2:3]
	v_cmp_gt_i64_e32 vcc, s[2:3], v[14:15]
	s_and_saveexec_b64 s[4:5], vcc
	s_cbranch_execz .LBB224_26
; %bb.11:
	v_and_b32_e32 v2, 31, v0
	v_subrev_co_u32_e32 v16, vcc, s21, v2
	s_mov_b32 s29, s21
	s_nop 0
	v_subb_co_u32_e64 v17, s[30:31], 0, 0, vcc
	s_mov_b64 s[30:31], 0
	s_movk_i32 s52, 0x89
	s_branch .LBB224_13
.LBB224_12:                             ;   in Loop: Header=BB224_13 Depth=1
	s_or_b64 exec, exec, s[38:39]
	v_lshl_add_u64 v[14:15], v[14:15], 0, 8
	v_cmp_le_i64_e32 vcc, s[2:3], v[14:15]
	s_or_b64 s[30:31], vcc, s[30:31]
	s_andn2_b64 exec, exec, s[30:31]
	s_cbranch_execz .LBB224_26
.LBB224_13:                             ; =>This Loop Header: Depth=1
                                        ;     Child Loop BB224_17 Depth 2
                                        ;       Child Loop BB224_20 Depth 3
	v_lshl_add_u64 v[2:3], v[14:15], 2, s[6:7]
	global_load_dword v2, v[2:3], off
	s_waitcnt vmcnt(0)
	v_subrev_u32_e32 v2, s20, v2
	v_ashrrev_i32_e32 v3, 31, v2
	v_lshl_add_u64 v[2:3], v[2:3], 3, s[10:11]
	global_load_dwordx4 v[2:5], v[2:3], off
	s_waitcnt vmcnt(0)
	v_subrev_co_u32_e32 v18, vcc, s29, v4
	s_nop 1
	v_subbrev_co_u32_e32 v19, vcc, 0, v5, vcc
	v_lshl_add_u64 v[20:21], v[2:3], 0, v[16:17]
	v_cmp_lt_i64_e32 vcc, v[20:21], v[18:19]
	s_and_saveexec_b64 s[38:39], vcc
	s_cbranch_execz .LBB224_12
; %bb.14:                               ;   in Loop: Header=BB224_13 Depth=1
	v_lshl_add_u64 v[2:3], v[14:15], 4, s[8:9]
	global_load_dwordx4 v[2:5], v[2:3], off
	s_mov_b64 s[40:41], 0
	s_waitcnt vmcnt(0)
	v_mul_f64 v[22:23], v[4:5], -v[12:13]
	v_mul_f64 v[24:25], v[10:11], v[4:5]
	v_fmac_f64_e32 v[22:23], v[10:11], v[2:3]
	v_fmac_f64_e32 v[24:25], v[12:13], v[2:3]
	s_branch .LBB224_17
.LBB224_15:                             ;   in Loop: Header=BB224_17 Depth=2
	s_or_b64 exec, exec, s[44:45]
.LBB224_16:                             ;   in Loop: Header=BB224_17 Depth=2
	s_or_b64 exec, exec, s[42:43]
	s_waitcnt vmcnt(0)
	v_mul_f64 v[30:31], v[4:5], -v[24:25]
	v_mul_f64 v[4:5], v[22:23], v[4:5]
	v_fmac_f64_e32 v[30:31], v[22:23], v[2:3]
	v_fmac_f64_e32 v[4:5], v[24:25], v[2:3]
	v_lshl_add_u32 v2, v28, 4, 0
	ds_add_f64 v2, v[30:31] offset:2048
	ds_add_f64 v2, v[4:5] offset:2056
	v_lshl_add_u64 v[20:21], v[20:21], 0, 32
	v_cmp_ge_i64_e32 vcc, v[20:21], v[18:19]
	s_or_b64 s[40:41], vcc, s[40:41]
	s_andn2_b64 exec, exec, s[40:41]
	s_cbranch_execz .LBB224_12
.LBB224_17:                             ;   Parent Loop BB224_13 Depth=1
                                        ; =>  This Loop Header: Depth=2
                                        ;       Child Loop BB224_20 Depth 3
	v_lshl_add_u64 v[2:3], v[20:21], 2, s[24:25]
	global_load_dword v28, v[2:3], off
	v_lshl_add_u64 v[2:3], v[20:21], 4, s[26:27]
	global_load_dwordx4 v[2:5], v[2:3], off
	s_waitcnt vmcnt(1)
	v_subrev_u32_e32 v29, s21, v28
	v_mul_lo_u32 v28, v29, s52
	v_and_b32_e32 v28, 0x1ff, v28
	v_lshl_add_u32 v30, v28, 2, 0
	ds_read_b32 v31, v30
	s_waitcnt lgkmcnt(0)
	v_cmp_ne_u32_e32 vcc, v31, v29
	s_and_saveexec_b64 s[42:43], vcc
	s_cbranch_execz .LBB224_16
; %bb.18:                               ;   in Loop: Header=BB224_17 Depth=2
	s_mov_b64 s[44:45], 0
	s_branch .LBB224_20
.LBB224_19:                             ;   in Loop: Header=BB224_20 Depth=3
	s_or_b64 exec, exec, s[50:51]
	s_and_b64 s[46:47], exec, s[48:49]
	s_or_b64 s[44:45], s[46:47], s[44:45]
	s_andn2_b64 exec, exec, s[44:45]
	s_cbranch_execz .LBB224_15
.LBB224_20:                             ;   Parent Loop BB224_13 Depth=1
                                        ;     Parent Loop BB224_17 Depth=2
                                        ; =>    This Inner Loop Header: Depth=3
	v_cmp_ne_u32_e32 vcc, s33, v31
	s_mov_b64 s[46:47], 0
	s_and_saveexec_b64 s[48:49], vcc
	s_xor_b64 s[48:49], exec, s[48:49]
	s_cbranch_execz .LBB224_22
; %bb.21:                               ;   in Loop: Header=BB224_20 Depth=3
	v_add_u32_e32 v28, 1, v28
	s_mov_b64 s[46:47], exec
	v_and_b32_e32 v28, 0x1ff, v28
                                        ; implicit-def: $vgpr30
	s_andn2_saveexec_b64 s[48:49], s[48:49]
	s_cbranch_execz .LBB224_24
	s_branch .LBB224_23
.LBB224_22:                             ;   in Loop: Header=BB224_20 Depth=3
	s_andn2_saveexec_b64 s[48:49], s[48:49]
	s_cbranch_execz .LBB224_24
.LBB224_23:                             ;   in Loop: Header=BB224_20 Depth=3
	v_mov_b32_e32 v31, s33
	ds_cmpst_rtn_b32 v30, v30, v31, v29
	s_andn2_b64 s[46:47], s[46:47], exec
	s_waitcnt lgkmcnt(0)
	v_cmp_ne_u32_e32 vcc, s33, v30
	s_and_b64 s[50:51], vcc, exec
	s_or_b64 s[46:47], s[46:47], s[50:51]
.LBB224_24:                             ;   in Loop: Header=BB224_20 Depth=3
	s_or_b64 exec, exec, s[48:49]
	s_mov_b64 s[48:49], -1
                                        ; implicit-def: $vgpr30
                                        ; implicit-def: $vgpr31
	s_and_saveexec_b64 s[50:51], s[46:47]
	s_cbranch_execz .LBB224_19
; %bb.25:                               ;   in Loop: Header=BB224_20 Depth=3
	v_lshl_add_u32 v30, v28, 2, 0
	ds_read_b32 v31, v30
	s_waitcnt lgkmcnt(0)
	v_cmp_eq_u32_e32 vcc, v31, v29
	s_orn2_b64 s[48:49], vcc, exec
	s_branch .LBB224_19
.LBB224_26:
	s_or_b64 exec, exec, s[4:5]
.LBB224_27:
	s_andn2_b64 vcc, exec, s[36:37]
	s_cbranch_vccnz .LBB224_42
; %bb.28:
	s_waitcnt lgkmcnt(0)
	s_ashr_i32 s29, s28, 31
	s_lshl_b64 s[2:3], s[28:29], 3
	s_add_u32 s2, s12, s2
	s_addc_u32 s3, s13, s3
	s_load_dwordx4 s[4:7], s[2:3], 0x0
	v_subrev_co_u32_e32 v2, vcc, s23, v0
	s_nop 1
	v_subb_co_u32_e64 v3, s[2:3], 0, 0, vcc
	s_waitcnt lgkmcnt(0)
	s_sub_u32 s2, s6, s23
	s_subb_u32 s3, s7, 0
	s_waitcnt vmcnt(0)
	v_lshl_add_u64 v[10:11], s[4:5], 0, v[2:3]
	v_cmp_gt_i64_e32 vcc, s[2:3], v[10:11]
	s_and_saveexec_b64 s[4:5], vcc
	s_cbranch_execz .LBB224_41
; %bb.29:
	s_mov_b64 s[6:7], 0
	s_movk_i32 s29, 0x89
	s_mov_b64 s[8:9], 0x100
	s_branch .LBB224_32
.LBB224_30:                             ;   in Loop: Header=BB224_32 Depth=1
	s_or_b64 exec, exec, s[12:13]
.LBB224_31:                             ;   in Loop: Header=BB224_32 Depth=1
	s_or_b64 exec, exec, s[10:11]
	s_waitcnt vmcnt(0)
	v_mul_f64 v[14:15], v[4:5], -v[6:7]
	v_mul_f64 v[4:5], v[8:9], v[4:5]
	v_fmac_f64_e32 v[14:15], v[8:9], v[2:3]
	v_fmac_f64_e32 v[4:5], v[6:7], v[2:3]
	v_lshl_add_u32 v2, v12, 4, 0
	ds_add_f64 v2, v[14:15] offset:2048
	ds_add_f64 v2, v[4:5] offset:2056
	v_lshl_add_u64 v[10:11], v[10:11], 0, s[8:9]
	v_cmp_le_i64_e32 vcc, s[2:3], v[10:11]
	s_or_b64 s[6:7], vcc, s[6:7]
	s_andn2_b64 exec, exec, s[6:7]
	s_cbranch_execz .LBB224_41
.LBB224_32:                             ; =>This Loop Header: Depth=1
                                        ;     Child Loop BB224_35 Depth 2
	v_lshl_add_u64 v[2:3], v[10:11], 2, s[14:15]
	global_load_dword v12, v[2:3], off
	v_lshl_add_u64 v[2:3], v[10:11], 4, s[16:17]
	global_load_dwordx4 v[2:5], v[2:3], off
	s_waitcnt vmcnt(1)
	v_subrev_u32_e32 v13, s23, v12
	v_mul_lo_u32 v12, v13, s29
	v_and_b32_e32 v12, 0x1ff, v12
	v_lshl_add_u32 v14, v12, 2, 0
	ds_read_b32 v15, v14
	s_waitcnt lgkmcnt(0)
	v_cmp_ne_u32_e32 vcc, v15, v13
	s_and_saveexec_b64 s[10:11], vcc
	s_cbranch_execz .LBB224_31
; %bb.33:                               ;   in Loop: Header=BB224_32 Depth=1
	s_mov_b64 s[12:13], 0
	s_branch .LBB224_35
.LBB224_34:                             ;   in Loop: Header=BB224_35 Depth=2
	s_or_b64 exec, exec, s[26:27]
	s_and_b64 s[20:21], exec, s[24:25]
	s_or_b64 s[12:13], s[20:21], s[12:13]
	s_andn2_b64 exec, exec, s[12:13]
	s_cbranch_execz .LBB224_30
.LBB224_35:                             ;   Parent Loop BB224_32 Depth=1
                                        ; =>  This Inner Loop Header: Depth=2
	v_cmp_ne_u32_e32 vcc, s33, v15
	s_mov_b64 s[20:21], 0
	s_and_saveexec_b64 s[24:25], vcc
	s_xor_b64 s[24:25], exec, s[24:25]
	s_cbranch_execz .LBB224_37
; %bb.36:                               ;   in Loop: Header=BB224_35 Depth=2
	v_add_u32_e32 v12, 1, v12
	s_mov_b64 s[20:21], exec
	v_and_b32_e32 v12, 0x1ff, v12
                                        ; implicit-def: $vgpr14
	s_andn2_saveexec_b64 s[24:25], s[24:25]
	s_cbranch_execz .LBB224_39
	s_branch .LBB224_38
.LBB224_37:                             ;   in Loop: Header=BB224_35 Depth=2
	s_andn2_saveexec_b64 s[24:25], s[24:25]
	s_cbranch_execz .LBB224_39
.LBB224_38:                             ;   in Loop: Header=BB224_35 Depth=2
	v_mov_b32_e32 v15, s33
	ds_cmpst_rtn_b32 v14, v14, v15, v13
	s_andn2_b64 s[20:21], s[20:21], exec
	s_waitcnt lgkmcnt(0)
	v_cmp_ne_u32_e32 vcc, s33, v14
	s_and_b64 s[26:27], vcc, exec
	s_or_b64 s[20:21], s[20:21], s[26:27]
.LBB224_39:                             ;   in Loop: Header=BB224_35 Depth=2
	s_or_b64 exec, exec, s[24:25]
	s_mov_b64 s[24:25], -1
                                        ; implicit-def: $vgpr14
                                        ; implicit-def: $vgpr15
	s_and_saveexec_b64 s[26:27], s[20:21]
	s_cbranch_execz .LBB224_34
; %bb.40:                               ;   in Loop: Header=BB224_35 Depth=2
	v_lshl_add_u32 v14, v12, 2, 0
	ds_read_b32 v15, v14
	s_waitcnt lgkmcnt(0)
	v_cmp_eq_u32_e32 vcc, v15, v13
	s_orn2_b64 s[24:25], vcc, exec
	s_branch .LBB224_34
.LBB224_41:
	s_or_b64 exec, exec, s[4:5]
.LBB224_42:
	s_waitcnt lgkmcnt(0)
	s_barrier
	s_and_saveexec_b64 s[16:17], s[0:1]
	s_cbranch_execz .LBB224_63
; %bb.43:
	v_mbcnt_lo_u32_b32 v2, -1, 0
	v_mbcnt_hi_u32_b32 v2, -1, v2
	v_sub_u32_e32 v2, 63, v2
	s_movk_i32 s0, 0xff
	s_movk_i32 s6, 0x5f
	;; [unrolled: 1-line block ×6, first 2 shown]
	v_mov_b32_e32 v4, 0
	v_lshrrev_b64 v[2:3], v2, -1
	v_lshl_add_u32 v5, v27, 2, 0
	v_cmp_eq_u32_e64 s[0:1], s0, v0
	v_cmp_lt_u32_e64 s[2:3], 31, v0
	v_cmp_lt_u32_e64 s[4:5], 63, v0
	;; [unrolled: 1-line block ×7, first 2 shown]
	s_waitcnt vmcnt(0)
	v_add_u32_e32 v6, 0x800, v26
	v_or_b32_e32 v7, 0xffffff00, v0
	s_mov_b64 s[20:21], 0
	v_mov_b32_e32 v8, 0
	s_branch .LBB224_45
.LBB224_44:                             ;   in Loop: Header=BB224_45 Depth=1
	s_or_b64 exec, exec, s[24:25]
	s_waitcnt lgkmcnt(0)
	s_barrier
	ds_read_b32 v9, v4 offset:10268
	v_add_co_u32_e32 v7, vcc, 0x100, v7
	s_xor_b64 s[24:25], vcc, -1
	s_and_b64 s[24:25], exec, s[24:25]
	v_add_u32_e32 v6, 0x1000, v6
	s_waitcnt lgkmcnt(0)
	v_add_u32_e32 v8, v9, v8
	s_or_b64 s[20:21], s[24:25], s[20:21]
	v_add_u32_e32 v1, 0x400, v1
	s_andn2_b64 exec, exec, s[20:21]
	s_cbranch_execz .LBB224_63
.LBB224_45:                             ; =>This Inner Loop Header: Depth=1
	ds_read2_b64 v[12:15], v6 offset1:1
	ds_read_b32 v10, v1
	s_waitcnt lgkmcnt(1)
	scratch_store_dwordx4 off, v[12:15], off
	s_waitcnt lgkmcnt(0)
	v_cmp_gt_i32_e32 vcc, s33, v10
	s_bcnt1_i32_b64 s23, vcc
	s_nop 0
	v_and_b32_e32 v11, vcc_lo, v2
	v_and_b32_e32 v9, vcc_hi, v3
	v_bcnt_u32_b32 v11, v11, 0
	v_bcnt_u32_b32 v9, v9, v11
	v_mov_b32_e32 v11, s23
	s_barrier
	ds_write_b32 v5, v11 offset:10240
	s_waitcnt lgkmcnt(0)
	s_barrier
	s_and_saveexec_b64 s[24:25], s[2:3]
	s_cbranch_execz .LBB224_54
; %bb.46:                               ;   in Loop: Header=BB224_45 Depth=1
	ds_read_b32 v11, v4 offset:10240
	s_waitcnt lgkmcnt(0)
	v_add_u32_e32 v9, v11, v9
	s_or_b64 exec, exec, s[24:25]
	s_and_saveexec_b64 s[24:25], s[4:5]
	s_cbranch_execnz .LBB224_55
.LBB224_47:                             ;   in Loop: Header=BB224_45 Depth=1
	s_or_b64 exec, exec, s[24:25]
	s_and_saveexec_b64 s[24:25], s[6:7]
	s_cbranch_execz .LBB224_56
.LBB224_48:                             ;   in Loop: Header=BB224_45 Depth=1
	ds_read_b32 v11, v4 offset:10248
	s_waitcnt lgkmcnt(0)
	v_add_u32_e32 v9, v11, v9
	s_or_b64 exec, exec, s[24:25]
	s_and_saveexec_b64 s[24:25], s[8:9]
	s_cbranch_execnz .LBB224_57
.LBB224_49:                             ;   in Loop: Header=BB224_45 Depth=1
	s_or_b64 exec, exec, s[24:25]
	s_and_saveexec_b64 s[24:25], s[10:11]
	s_cbranch_execz .LBB224_58
.LBB224_50:                             ;   in Loop: Header=BB224_45 Depth=1
	ds_read_b32 v11, v4 offset:10256
	s_waitcnt lgkmcnt(0)
	v_add_u32_e32 v9, v11, v9
	s_or_b64 exec, exec, s[24:25]
	s_and_saveexec_b64 s[24:25], s[12:13]
	s_cbranch_execnz .LBB224_59
.LBB224_51:                             ;   in Loop: Header=BB224_45 Depth=1
	s_or_b64 exec, exec, s[24:25]
	s_and_saveexec_b64 s[24:25], s[14:15]
	s_cbranch_execz .LBB224_60
.LBB224_52:                             ;   in Loop: Header=BB224_45 Depth=1
	ds_read_b32 v11, v4 offset:10264
	s_waitcnt lgkmcnt(0)
	v_add_u32_e32 v9, v11, v9
	s_or_b64 exec, exec, s[24:25]
	s_and_saveexec_b64 s[24:25], vcc
	s_cbranch_execnz .LBB224_61
.LBB224_53:                             ;   in Loop: Header=BB224_45 Depth=1
	s_or_b64 exec, exec, s[24:25]
	s_and_saveexec_b64 s[24:25], s[0:1]
	s_cbranch_execz .LBB224_44
	s_branch .LBB224_62
.LBB224_54:                             ;   in Loop: Header=BB224_45 Depth=1
	s_or_b64 exec, exec, s[24:25]
	s_and_saveexec_b64 s[24:25], s[4:5]
	s_cbranch_execz .LBB224_47
.LBB224_55:                             ;   in Loop: Header=BB224_45 Depth=1
	ds_read_b32 v11, v4 offset:10244
	s_waitcnt lgkmcnt(0)
	v_add_u32_e32 v9, v11, v9
	s_or_b64 exec, exec, s[24:25]
	s_and_saveexec_b64 s[24:25], s[6:7]
	s_cbranch_execnz .LBB224_48
.LBB224_56:                             ;   in Loop: Header=BB224_45 Depth=1
	s_or_b64 exec, exec, s[24:25]
	s_and_saveexec_b64 s[24:25], s[8:9]
	s_cbranch_execz .LBB224_49
.LBB224_57:                             ;   in Loop: Header=BB224_45 Depth=1
	ds_read_b32 v11, v4 offset:10252
	s_waitcnt lgkmcnt(0)
	v_add_u32_e32 v9, v11, v9
	s_or_b64 exec, exec, s[24:25]
	s_and_saveexec_b64 s[24:25], s[10:11]
	s_cbranch_execnz .LBB224_50
.LBB224_58:                             ;   in Loop: Header=BB224_45 Depth=1
	s_or_b64 exec, exec, s[24:25]
	s_and_saveexec_b64 s[24:25], s[12:13]
	s_cbranch_execz .LBB224_51
.LBB224_59:                             ;   in Loop: Header=BB224_45 Depth=1
	ds_read_b32 v11, v4 offset:10260
	s_waitcnt lgkmcnt(0)
	v_add_u32_e32 v9, v11, v9
	s_or_b64 exec, exec, s[24:25]
	s_and_saveexec_b64 s[24:25], s[14:15]
	s_cbranch_execnz .LBB224_52
.LBB224_60:                             ;   in Loop: Header=BB224_45 Depth=1
	s_or_b64 exec, exec, s[24:25]
	s_and_saveexec_b64 s[24:25], vcc
	s_cbranch_execz .LBB224_53
.LBB224_61:                             ;   in Loop: Header=BB224_45 Depth=1
	scratch_load_dwordx4 v[12:15], off, off
	v_add3_u32 v11, v8, -1, v9
	v_lshl_add_u32 v11, v11, 2, 0
	v_add_u32_e32 v16, v8, v9
	v_lshl_add_u32 v16, v16, 4, 0
	ds_write_b32 v11, v10
	s_waitcnt vmcnt(0)
	ds_write2_b64 v16, v[12:13], v[14:15] offset0:254 offset1:255
	s_or_b64 exec, exec, s[24:25]
	s_and_saveexec_b64 s[24:25], s[0:1]
	s_cbranch_execz .LBB224_44
.LBB224_62:                             ;   in Loop: Header=BB224_45 Depth=1
	ds_write_b32 v4, v9 offset:10268
	s_branch .LBB224_44
.LBB224_63:
	s_or_b64 exec, exec, s[16:17]
	s_ashr_i32 s29, s28, 31
	s_lshl_b64 s[0:1], s[28:29], 3
	s_add_u32 s4, s18, s0
	s_addc_u32 s5, s19, s1
	s_load_dwordx4 s[0:3], s[4:5], 0x0
	s_waitcnt lgkmcnt(0)
	s_sub_i32 s8, s2, s0
	v_cmp_gt_i32_e32 vcc, s8, v0
	s_and_saveexec_b64 s[4:5], vcc
	s_cbranch_execz .LBB224_73
; %bb.64:
	s_sub_u32 s4, s0, s22
	s_subb_u32 s5, s1, 0
	s_and_b32 s10, s8, 7
	s_sub_i32 s0, s0, s2
	s_cmp_lt_u32 s0, -7
	s_cselect_b64 s[0:1], -1, 0
	s_and_b32 s11, s8, -8
	s_cmp_lg_u32 s10, 0
	v_cndmask_b32_e64 v1, 0, 1, s[0:1]
	s_cselect_b64 s[2:3], -1, 0
	v_cmp_ne_u32_e64 s[0:1], 1, v1
	v_cndmask_b32_e64 v1, 0, 1, s[2:3]
	s_mov_b32 s9, 0
	s_mov_b64 s[6:7], 0
	v_cmp_ne_u32_e64 s[2:3], 1, v1
	s_movk_i32 s12, 0x800
	s_waitcnt vmcnt(0)
	s_branch .LBB224_66
.LBB224_65:                             ;   in Loop: Header=BB224_66 Depth=1
	s_waitcnt lgkmcnt(0)
	v_mul_lo_u32 v4, v0, 12
	v_add3_u32 v1, v1, v4, s12
	ds_read2_b64 v[4:7], v1 offset1:1
	v_add_u32_e32 v0, 0x100, v0
	v_cmp_le_i32_e32 vcc, s8, v0
	v_lshl_add_u64 v[2:3], v[2:3], 4, s[34:35]
	s_or_b64 s[6:7], vcc, s[6:7]
	s_waitcnt lgkmcnt(0)
	global_store_dwordx4 v[2:3], v[4:7], off
	s_andn2_b64 exec, exec, s[6:7]
	s_cbranch_execz .LBB224_73
.LBB224_66:                             ; =>This Loop Header: Depth=1
                                        ;     Child Loop BB224_68 Depth 2
                                        ;     Child Loop BB224_72 Depth 2
	v_lshl_add_u32 v1, v0, 2, 0
	ds_read_b32 v4, v1
	s_and_b64 vcc, exec, s[0:1]
	v_mov_b64_e32 v[2:3], s[4:5]
	s_mov_b32 s13, 0
	s_cbranch_vccnz .LBB224_70
; %bb.67:                               ;   in Loop: Header=BB224_66 Depth=1
	s_mov_b32 s14, 0
	v_mov_b64_e32 v[2:3], s[4:5]
.LBB224_68:                             ;   Parent Loop BB224_66 Depth=1
                                        ; =>  This Inner Loop Header: Depth=2
	v_mov_b32_e32 v5, s14
	ds_read2_b32 v[22:23], v5 offset1:1
	ds_read2_b32 v[24:25], v5 offset0:2 offset1:3
	ds_read2_b32 v[26:27], v5 offset0:4 offset1:5
	;; [unrolled: 1-line block ×3, first 2 shown]
	v_mov_b32_e32 v7, s9
	s_waitcnt lgkmcnt(3)
	v_cmp_gt_i32_e32 vcc, v4, v22
	v_mov_b32_e32 v9, s9
	v_mov_b32_e32 v11, s9
	v_cndmask_b32_e64 v6, 0, 1, vcc
	v_cmp_gt_i32_e32 vcc, v4, v23
	v_lshl_add_u64 v[2:3], v[2:3], 0, v[6:7]
	v_mov_b32_e32 v13, s9
	v_cndmask_b32_e64 v8, 0, 1, vcc
	s_waitcnt lgkmcnt(2)
	v_cmp_gt_i32_e32 vcc, v4, v24
	v_lshl_add_u64 v[2:3], v[2:3], 0, v[8:9]
	v_mov_b32_e32 v15, s9
	v_cndmask_b32_e64 v10, 0, 1, vcc
	v_cmp_gt_i32_e32 vcc, v4, v25
	v_lshl_add_u64 v[2:3], v[2:3], 0, v[10:11]
	v_mov_b32_e32 v17, s9
	v_cndmask_b32_e64 v12, 0, 1, vcc
	s_waitcnt lgkmcnt(1)
	v_cmp_gt_i32_e32 vcc, v4, v26
	v_lshl_add_u64 v[2:3], v[2:3], 0, v[12:13]
	;; [unrolled: 9-line block ×3, first 2 shown]
	s_add_i32 s13, s13, 8
	v_cndmask_b32_e64 v18, 0, 1, vcc
	v_cmp_gt_i32_e32 vcc, v4, v29
	s_add_i32 s14, s14, 32
	v_lshl_add_u64 v[2:3], v[2:3], 0, v[18:19]
	v_cndmask_b32_e64 v20, 0, 1, vcc
	s_cmp_eq_u32 s11, s13
	v_lshl_add_u64 v[2:3], v[2:3], 0, v[20:21]
	s_cbranch_scc0 .LBB224_68
; %bb.69:                               ;   in Loop: Header=BB224_66 Depth=1
	s_mov_b32 s13, s11
.LBB224_70:                             ;   in Loop: Header=BB224_66 Depth=1
	s_and_b64 vcc, exec, s[2:3]
	s_cbranch_vccnz .LBB224_65
; %bb.71:                               ;   in Loop: Header=BB224_66 Depth=1
	s_lshl_b32 s13, s13, 2
	s_add_i32 s13, s13, 0
	s_mov_b32 s14, s10
.LBB224_72:                             ;   Parent Loop BB224_66 Depth=1
                                        ; =>  This Inner Loop Header: Depth=2
	v_mov_b32_e32 v5, s13
	ds_read_b32 v5, v5
	v_mov_b32_e32 v7, s9
	s_add_i32 s13, s13, 4
	s_add_i32 s14, s14, -1
	s_cmp_lg_u32 s14, 0
	s_waitcnt lgkmcnt(0)
	v_cmp_gt_i32_e32 vcc, v4, v5
	s_nop 1
	v_cndmask_b32_e64 v6, 0, 1, vcc
	v_lshl_add_u64 v[2:3], v[2:3], 0, v[6:7]
	s_cbranch_scc1 .LBB224_72
	s_branch .LBB224_65
.LBB224_73:
	s_endpgm
	.section	.rodata,"a",@progbits
	.p2align	6, 0x0
	.amdhsa_kernel _ZN9rocsparseL41csrgemm_numeric_fill_block_per_row_kernelILj256ELj32ELj512ELj137ELj32Eli21rocsparse_complex_numIdEEEvT5_PKS3_S5_NS_24const_host_device_scalarIT6_EEPKT4_S5_PKS7_SB_S5_SD_S8_SB_S5_SD_SB_S5_PS7_21rocsparse_index_base_SF_SF_SF_bbb
		.amdhsa_group_segment_fixed_size 0
		.amdhsa_private_segment_fixed_size 40
		.amdhsa_kernarg_size 172
		.amdhsa_user_sgpr_count 2
		.amdhsa_user_sgpr_dispatch_ptr 0
		.amdhsa_user_sgpr_queue_ptr 0
		.amdhsa_user_sgpr_kernarg_segment_ptr 1
		.amdhsa_user_sgpr_dispatch_id 0
		.amdhsa_user_sgpr_kernarg_preload_length 0
		.amdhsa_user_sgpr_kernarg_preload_offset 0
		.amdhsa_user_sgpr_private_segment_size 0
		.amdhsa_uses_dynamic_stack 0
		.amdhsa_enable_private_segment 1
		.amdhsa_system_sgpr_workgroup_id_x 1
		.amdhsa_system_sgpr_workgroup_id_y 0
		.amdhsa_system_sgpr_workgroup_id_z 0
		.amdhsa_system_sgpr_workgroup_info 0
		.amdhsa_system_vgpr_workitem_id 0
		.amdhsa_next_free_vgpr 32
		.amdhsa_next_free_sgpr 53
		.amdhsa_accum_offset 32
		.amdhsa_reserve_vcc 1
		.amdhsa_float_round_mode_32 0
		.amdhsa_float_round_mode_16_64 0
		.amdhsa_float_denorm_mode_32 3
		.amdhsa_float_denorm_mode_16_64 3
		.amdhsa_dx10_clamp 1
		.amdhsa_ieee_mode 1
		.amdhsa_fp16_overflow 0
		.amdhsa_tg_split 0
		.amdhsa_exception_fp_ieee_invalid_op 0
		.amdhsa_exception_fp_denorm_src 0
		.amdhsa_exception_fp_ieee_div_zero 0
		.amdhsa_exception_fp_ieee_overflow 0
		.amdhsa_exception_fp_ieee_underflow 0
		.amdhsa_exception_fp_ieee_inexact 0
		.amdhsa_exception_int_div_zero 0
	.end_amdhsa_kernel
	.section	.text._ZN9rocsparseL41csrgemm_numeric_fill_block_per_row_kernelILj256ELj32ELj512ELj137ELj32Eli21rocsparse_complex_numIdEEEvT5_PKS3_S5_NS_24const_host_device_scalarIT6_EEPKT4_S5_PKS7_SB_S5_SD_S8_SB_S5_SD_SB_S5_PS7_21rocsparse_index_base_SF_SF_SF_bbb,"axG",@progbits,_ZN9rocsparseL41csrgemm_numeric_fill_block_per_row_kernelILj256ELj32ELj512ELj137ELj32Eli21rocsparse_complex_numIdEEEvT5_PKS3_S5_NS_24const_host_device_scalarIT6_EEPKT4_S5_PKS7_SB_S5_SD_S8_SB_S5_SD_SB_S5_PS7_21rocsparse_index_base_SF_SF_SF_bbb,comdat
.Lfunc_end224:
	.size	_ZN9rocsparseL41csrgemm_numeric_fill_block_per_row_kernelILj256ELj32ELj512ELj137ELj32Eli21rocsparse_complex_numIdEEEvT5_PKS3_S5_NS_24const_host_device_scalarIT6_EEPKT4_S5_PKS7_SB_S5_SD_S8_SB_S5_SD_SB_S5_PS7_21rocsparse_index_base_SF_SF_SF_bbb, .Lfunc_end224-_ZN9rocsparseL41csrgemm_numeric_fill_block_per_row_kernelILj256ELj32ELj512ELj137ELj32Eli21rocsparse_complex_numIdEEEvT5_PKS3_S5_NS_24const_host_device_scalarIT6_EEPKT4_S5_PKS7_SB_S5_SD_S8_SB_S5_SD_SB_S5_PS7_21rocsparse_index_base_SF_SF_SF_bbb
                                        ; -- End function
	.set _ZN9rocsparseL41csrgemm_numeric_fill_block_per_row_kernelILj256ELj32ELj512ELj137ELj32Eli21rocsparse_complex_numIdEEEvT5_PKS3_S5_NS_24const_host_device_scalarIT6_EEPKT4_S5_PKS7_SB_S5_SD_S8_SB_S5_SD_SB_S5_PS7_21rocsparse_index_base_SF_SF_SF_bbb.num_vgpr, 32
	.set _ZN9rocsparseL41csrgemm_numeric_fill_block_per_row_kernelILj256ELj32ELj512ELj137ELj32Eli21rocsparse_complex_numIdEEEvT5_PKS3_S5_NS_24const_host_device_scalarIT6_EEPKT4_S5_PKS7_SB_S5_SD_S8_SB_S5_SD_SB_S5_PS7_21rocsparse_index_base_SF_SF_SF_bbb.num_agpr, 0
	.set _ZN9rocsparseL41csrgemm_numeric_fill_block_per_row_kernelILj256ELj32ELj512ELj137ELj32Eli21rocsparse_complex_numIdEEEvT5_PKS3_S5_NS_24const_host_device_scalarIT6_EEPKT4_S5_PKS7_SB_S5_SD_S8_SB_S5_SD_SB_S5_PS7_21rocsparse_index_base_SF_SF_SF_bbb.numbered_sgpr, 53
	.set _ZN9rocsparseL41csrgemm_numeric_fill_block_per_row_kernelILj256ELj32ELj512ELj137ELj32Eli21rocsparse_complex_numIdEEEvT5_PKS3_S5_NS_24const_host_device_scalarIT6_EEPKT4_S5_PKS7_SB_S5_SD_S8_SB_S5_SD_SB_S5_PS7_21rocsparse_index_base_SF_SF_SF_bbb.num_named_barrier, 0
	.set _ZN9rocsparseL41csrgemm_numeric_fill_block_per_row_kernelILj256ELj32ELj512ELj137ELj32Eli21rocsparse_complex_numIdEEEvT5_PKS3_S5_NS_24const_host_device_scalarIT6_EEPKT4_S5_PKS7_SB_S5_SD_S8_SB_S5_SD_SB_S5_PS7_21rocsparse_index_base_SF_SF_SF_bbb.private_seg_size, 40
	.set _ZN9rocsparseL41csrgemm_numeric_fill_block_per_row_kernelILj256ELj32ELj512ELj137ELj32Eli21rocsparse_complex_numIdEEEvT5_PKS3_S5_NS_24const_host_device_scalarIT6_EEPKT4_S5_PKS7_SB_S5_SD_S8_SB_S5_SD_SB_S5_PS7_21rocsparse_index_base_SF_SF_SF_bbb.uses_vcc, 1
	.set _ZN9rocsparseL41csrgemm_numeric_fill_block_per_row_kernelILj256ELj32ELj512ELj137ELj32Eli21rocsparse_complex_numIdEEEvT5_PKS3_S5_NS_24const_host_device_scalarIT6_EEPKT4_S5_PKS7_SB_S5_SD_S8_SB_S5_SD_SB_S5_PS7_21rocsparse_index_base_SF_SF_SF_bbb.uses_flat_scratch, 0
	.set _ZN9rocsparseL41csrgemm_numeric_fill_block_per_row_kernelILj256ELj32ELj512ELj137ELj32Eli21rocsparse_complex_numIdEEEvT5_PKS3_S5_NS_24const_host_device_scalarIT6_EEPKT4_S5_PKS7_SB_S5_SD_S8_SB_S5_SD_SB_S5_PS7_21rocsparse_index_base_SF_SF_SF_bbb.has_dyn_sized_stack, 0
	.set _ZN9rocsparseL41csrgemm_numeric_fill_block_per_row_kernelILj256ELj32ELj512ELj137ELj32Eli21rocsparse_complex_numIdEEEvT5_PKS3_S5_NS_24const_host_device_scalarIT6_EEPKT4_S5_PKS7_SB_S5_SD_S8_SB_S5_SD_SB_S5_PS7_21rocsparse_index_base_SF_SF_SF_bbb.has_recursion, 0
	.set _ZN9rocsparseL41csrgemm_numeric_fill_block_per_row_kernelILj256ELj32ELj512ELj137ELj32Eli21rocsparse_complex_numIdEEEvT5_PKS3_S5_NS_24const_host_device_scalarIT6_EEPKT4_S5_PKS7_SB_S5_SD_S8_SB_S5_SD_SB_S5_PS7_21rocsparse_index_base_SF_SF_SF_bbb.has_indirect_call, 0
	.section	.AMDGPU.csdata,"",@progbits
; Kernel info:
; codeLenInByte = 2908
; TotalNumSgprs: 59
; NumVgprs: 32
; NumAgprs: 0
; TotalNumVgprs: 32
; ScratchSize: 40
; MemoryBound: 0
; FloatMode: 240
; IeeeMode: 1
; LDSByteSize: 0 bytes/workgroup (compile time only)
; SGPRBlocks: 7
; VGPRBlocks: 3
; NumSGPRsForWavesPerEU: 59
; NumVGPRsForWavesPerEU: 32
; AccumOffset: 32
; Occupancy: 8
; WaveLimiterHint : 1
; COMPUTE_PGM_RSRC2:SCRATCH_EN: 1
; COMPUTE_PGM_RSRC2:USER_SGPR: 2
; COMPUTE_PGM_RSRC2:TRAP_HANDLER: 0
; COMPUTE_PGM_RSRC2:TGID_X_EN: 1
; COMPUTE_PGM_RSRC2:TGID_Y_EN: 0
; COMPUTE_PGM_RSRC2:TGID_Z_EN: 0
; COMPUTE_PGM_RSRC2:TIDIG_COMP_CNT: 0
; COMPUTE_PGM_RSRC3_GFX90A:ACCUM_OFFSET: 7
; COMPUTE_PGM_RSRC3_GFX90A:TG_SPLIT: 0
	.section	.text._ZN9rocsparseL41csrgemm_numeric_fill_block_per_row_kernelILj256ELj32ELj512ELj137ELj64Eli21rocsparse_complex_numIdEEEvT5_PKS3_S5_NS_24const_host_device_scalarIT6_EEPKT4_S5_PKS7_SB_S5_SD_S8_SB_S5_SD_SB_S5_PS7_21rocsparse_index_base_SF_SF_SF_bbb,"axG",@progbits,_ZN9rocsparseL41csrgemm_numeric_fill_block_per_row_kernelILj256ELj32ELj512ELj137ELj64Eli21rocsparse_complex_numIdEEEvT5_PKS3_S5_NS_24const_host_device_scalarIT6_EEPKT4_S5_PKS7_SB_S5_SD_S8_SB_S5_SD_SB_S5_PS7_21rocsparse_index_base_SF_SF_SF_bbb,comdat
	.globl	_ZN9rocsparseL41csrgemm_numeric_fill_block_per_row_kernelILj256ELj32ELj512ELj137ELj64Eli21rocsparse_complex_numIdEEEvT5_PKS3_S5_NS_24const_host_device_scalarIT6_EEPKT4_S5_PKS7_SB_S5_SD_S8_SB_S5_SD_SB_S5_PS7_21rocsparse_index_base_SF_SF_SF_bbb ; -- Begin function _ZN9rocsparseL41csrgemm_numeric_fill_block_per_row_kernelILj256ELj32ELj512ELj137ELj64Eli21rocsparse_complex_numIdEEEvT5_PKS3_S5_NS_24const_host_device_scalarIT6_EEPKT4_S5_PKS7_SB_S5_SD_S8_SB_S5_SD_SB_S5_PS7_21rocsparse_index_base_SF_SF_SF_bbb
	.p2align	8
	.type	_ZN9rocsparseL41csrgemm_numeric_fill_block_per_row_kernelILj256ELj32ELj512ELj137ELj64Eli21rocsparse_complex_numIdEEEvT5_PKS3_S5_NS_24const_host_device_scalarIT6_EEPKT4_S5_PKS7_SB_S5_SD_S8_SB_S5_SD_SB_S5_PS7_21rocsparse_index_base_SF_SF_SF_bbb,@function
_ZN9rocsparseL41csrgemm_numeric_fill_block_per_row_kernelILj256ELj32ELj512ELj137ELj64Eli21rocsparse_complex_numIdEEEvT5_PKS3_S5_NS_24const_host_device_scalarIT6_EEPKT4_S5_PKS7_SB_S5_SD_S8_SB_S5_SD_SB_S5_PS7_21rocsparse_index_base_SF_SF_SF_bbb: ; @_ZN9rocsparseL41csrgemm_numeric_fill_block_per_row_kernelILj256ELj32ELj512ELj137ELj64Eli21rocsparse_complex_numIdEEEvT5_PKS3_S5_NS_24const_host_device_scalarIT6_EEPKT4_S5_PKS7_SB_S5_SD_S8_SB_S5_SD_SB_S5_PS7_21rocsparse_index_base_SF_SF_SF_bbb
; %bb.0:
	s_load_dword s3, s[0:1], 0xa8
	s_load_dwordx4 s[12:15], s[0:1], 0x18
	s_load_dwordx4 s[8:11], s[0:1], 0x58
	v_mov_b64_e32 v[6:7], 0
	v_mov_b64_e32 v[10:11], 0
	s_waitcnt lgkmcnt(0)
	s_bitcmp1_b32 s3, 0
	s_cselect_b64 s[38:39], -1, 0
	s_bitcmp1_b32 s3, 16
	s_cselect_b64 s[6:7], -1, 0
	s_xor_b64 s[4:5], s[6:7], -1
	v_mov_b64_e32 v[2:3], s[12:13]
	v_cndmask_b32_e64 v1, 0, 1, s[4:5]
	scratch_store_dwordx2 off, v[2:3], off offset:16
	v_mov_b64_e32 v[2:3], s[8:9]
	s_bitcmp0_b32 s3, 0
	v_cmp_ne_u32_e64 s[4:5], 1, v1
	v_mov_b64_e32 v[12:13], 0
	scratch_store_dwordx2 off, v[2:3], off offset:24
	s_cbranch_scc1 .LBB225_3
; %bb.1:
	s_mov_b64 s[16:17], src_private_base
	s_and_b64 s[18:19], s[6:7], exec
	s_cselect_b32 s16, s17, s13
	s_cselect_b32 s17, 16, s12
	v_mov_b32_e32 v2, s17
	v_mov_b32_e32 v3, s16
	flat_load_dwordx2 v[10:11], v[2:3]
	s_and_b64 vcc, exec, s[4:5]
	v_mov_b64_e32 v[12:13], s[14:15]
	s_cbranch_vccnz .LBB225_3
; %bb.2:
	v_mov_b64_e32 v[2:3], s[12:13]
	flat_load_dwordx2 v[12:13], v[2:3] offset:8
.LBB225_3:
	s_load_dwordx4 s[20:23], s[0:1], 0x98
	s_bitcmp1_b32 s3, 8
	s_cselect_b64 s[36:37], -1, 0
	s_bfe_u32 s3, s3, 0x10008
	s_cmp_eq_u32 s3, 0
	v_mov_b64_e32 v[8:9], 0
	s_cbranch_scc1 .LBB225_6
; %bb.4:
	s_mov_b64 s[12:13], src_private_base
	s_and_b64 s[6:7], s[6:7], exec
	s_cselect_b32 s3, s13, s9
	s_cselect_b32 s6, 24, s8
	v_mov_b32_e32 v2, s6
	v_mov_b32_e32 v3, s3
	flat_load_dwordx2 v[8:9], v[2:3]
	s_and_b64 vcc, exec, s[4:5]
	v_mov_b64_e32 v[6:7], s[10:11]
	s_cbranch_vccnz .LBB225_6
; %bb.5:
	v_mov_b64_e32 v[2:3], s[8:9]
	flat_load_dwordx2 v[6:7], v[2:3] offset:8
.LBB225_6:
	s_load_dwordx2 s[34:35], s[0:1], 0x90
	s_load_dwordx8 s[4:11], s[0:1], 0x68
	s_load_dwordx4 s[24:27], s[0:1], 0x48
	s_load_dwordx8 s[12:19], s[0:1], 0x28
	s_load_dwordx4 s[28:31], s[0:1], 0x8
	s_load_dword s33, s[0:1], 0x0
	s_movk_i32 s0, 0x200
	v_cmp_gt_u32_e64 s[0:1], s0, v0
	v_lshl_add_u32 v26, v0, 4, 0
	v_lshl_add_u32 v1, v0, 2, 0
	s_and_saveexec_b64 s[40:41], s[0:1]
	s_cbranch_execz .LBB225_9
; %bb.7:
	s_mov_b32 s44, 0
	s_mov_b32 s45, s44
	;; [unrolled: 1-line block ×4, first 2 shown]
	v_add_u32_e32 v14, 0x800, v26
	v_or_b32_e32 v15, 0xffffff00, v0
	v_lshl_add_u32 v16, v0, 2, 0
	s_mov_b64 s[42:43], 0
	s_waitcnt lgkmcnt(0)
	v_mov_b32_e32 v17, s33
	v_mov_b64_e32 v[2:3], s[44:45]
	v_mov_b64_e32 v[4:5], s[46:47]
.LBB225_8:                              ; =>This Inner Loop Header: Depth=1
	v_add_co_u32_e32 v15, vcc, 0x100, v15
	s_xor_b64 s[44:45], vcc, -1
	s_and_b64 s[44:45], exec, s[44:45]
	ds_write_b32 v16, v17
	ds_write2_b64 v14, v[2:3], v[4:5] offset1:1
	v_add_u32_e32 v14, 0x1000, v14
	s_or_b64 s[42:43], s[44:45], s[42:43]
	v_add_u32_e32 v16, 0x400, v16
	s_andn2_b64 exec, exec, s[42:43]
	s_cbranch_execnz .LBB225_8
.LBB225_9:
	s_or_b64 exec, exec, s[40:41]
	s_waitcnt lgkmcnt(0)
	s_barrier
	s_load_dword s3, s[28:29], 0x0
	s_waitcnt lgkmcnt(0)
	s_add_i32 s2, s3, s2
	s_mov_b32 s3, 0
	s_lshl_b64 s[2:3], s[2:3], 2
	s_add_u32 s2, s30, s2
	s_addc_u32 s3, s31, s3
	s_load_dword s28, s[2:3], 0x0
	s_and_b64 vcc, exec, s[38:39]
	s_cbranch_vccz .LBB225_27
; %bb.10:
	s_waitcnt lgkmcnt(0)
	s_ashr_i32 s29, s28, 31
	s_lshl_b64 s[2:3], s[28:29], 3
	s_add_u32 s2, s12, s2
	s_addc_u32 s3, s13, s3
	s_load_dwordx4 s[40:43], s[2:3], 0x0
	v_lshrrev_b32_e32 v2, 5, v0
	v_subrev_co_u32_e32 v2, vcc, s20, v2
	s_waitcnt lgkmcnt(0)
	s_sub_u32 s2, s42, s20
	v_subb_co_u32_e64 v3, s[12:13], 0, 0, vcc
	s_subb_u32 s3, s43, 0
	v_lshl_add_u64 v[14:15], s[40:41], 0, v[2:3]
	v_cmp_gt_i64_e32 vcc, s[2:3], v[14:15]
	s_and_saveexec_b64 s[12:13], vcc
	s_cbranch_execz .LBB225_26
; %bb.11:
	v_and_b32_e32 v2, 31, v0
	v_subrev_co_u32_e32 v16, vcc, s21, v2
	s_mov_b32 s29, s21
	s_nop 0
	v_subb_co_u32_e64 v17, s[30:31], 0, 0, vcc
	s_mov_b64 s[30:31], 0
	s_movk_i32 s52, 0x89
	s_branch .LBB225_13
.LBB225_12:                             ;   in Loop: Header=BB225_13 Depth=1
	s_or_b64 exec, exec, s[38:39]
	v_lshl_add_u64 v[14:15], v[14:15], 0, 8
	v_cmp_le_i64_e32 vcc, s[2:3], v[14:15]
	s_or_b64 s[30:31], vcc, s[30:31]
	s_andn2_b64 exec, exec, s[30:31]
	s_cbranch_execz .LBB225_26
.LBB225_13:                             ; =>This Loop Header: Depth=1
                                        ;     Child Loop BB225_17 Depth 2
                                        ;       Child Loop BB225_20 Depth 3
	v_lshl_add_u64 v[2:3], v[14:15], 2, s[14:15]
	global_load_dword v2, v[2:3], off
	s_waitcnt vmcnt(0)
	v_subrev_u32_e32 v2, s20, v2
	v_ashrrev_i32_e32 v3, 31, v2
	v_lshl_add_u64 v[2:3], v[2:3], 3, s[18:19]
	global_load_dwordx4 v[2:5], v[2:3], off
	s_waitcnt vmcnt(0)
	v_subrev_co_u32_e32 v18, vcc, s29, v4
	s_nop 1
	v_subbrev_co_u32_e32 v19, vcc, 0, v5, vcc
	v_lshl_add_u64 v[20:21], v[2:3], 0, v[16:17]
	v_cmp_lt_i64_e32 vcc, v[20:21], v[18:19]
	s_and_saveexec_b64 s[38:39], vcc
	s_cbranch_execz .LBB225_12
; %bb.14:                               ;   in Loop: Header=BB225_13 Depth=1
	v_lshl_add_u64 v[2:3], v[14:15], 4, s[16:17]
	global_load_dwordx4 v[2:5], v[2:3], off
	s_mov_b64 s[40:41], 0
	s_waitcnt vmcnt(0)
	v_mul_f64 v[22:23], v[4:5], -v[12:13]
	v_mul_f64 v[24:25], v[10:11], v[4:5]
	v_fmac_f64_e32 v[22:23], v[10:11], v[2:3]
	v_fmac_f64_e32 v[24:25], v[12:13], v[2:3]
	s_branch .LBB225_17
.LBB225_15:                             ;   in Loop: Header=BB225_17 Depth=2
	s_or_b64 exec, exec, s[44:45]
.LBB225_16:                             ;   in Loop: Header=BB225_17 Depth=2
	s_or_b64 exec, exec, s[42:43]
	s_waitcnt vmcnt(0)
	v_mul_f64 v[28:29], v[4:5], -v[24:25]
	v_mul_f64 v[4:5], v[22:23], v[4:5]
	v_fmac_f64_e32 v[28:29], v[22:23], v[2:3]
	v_fmac_f64_e32 v[4:5], v[24:25], v[2:3]
	v_lshl_add_u32 v2, v27, 4, 0
	ds_add_f64 v2, v[28:29] offset:2048
	ds_add_f64 v2, v[4:5] offset:2056
	v_lshl_add_u64 v[20:21], v[20:21], 0, 32
	v_cmp_ge_i64_e32 vcc, v[20:21], v[18:19]
	s_or_b64 s[40:41], vcc, s[40:41]
	s_andn2_b64 exec, exec, s[40:41]
	s_cbranch_execz .LBB225_12
.LBB225_17:                             ;   Parent Loop BB225_13 Depth=1
                                        ; =>  This Loop Header: Depth=2
                                        ;       Child Loop BB225_20 Depth 3
	v_lshl_add_u64 v[2:3], v[20:21], 2, s[24:25]
	global_load_dword v27, v[2:3], off
	v_lshl_add_u64 v[2:3], v[20:21], 4, s[26:27]
	global_load_dwordx4 v[2:5], v[2:3], off
	s_waitcnt vmcnt(1)
	v_subrev_u32_e32 v28, s21, v27
	v_mul_lo_u32 v27, v28, s52
	v_and_b32_e32 v27, 0x1ff, v27
	v_lshl_add_u32 v29, v27, 2, 0
	ds_read_b32 v30, v29
	s_waitcnt lgkmcnt(0)
	v_cmp_ne_u32_e32 vcc, v30, v28
	s_and_saveexec_b64 s[42:43], vcc
	s_cbranch_execz .LBB225_16
; %bb.18:                               ;   in Loop: Header=BB225_17 Depth=2
	s_mov_b64 s[44:45], 0
	s_branch .LBB225_20
.LBB225_19:                             ;   in Loop: Header=BB225_20 Depth=3
	s_or_b64 exec, exec, s[50:51]
	s_and_b64 s[46:47], exec, s[48:49]
	s_or_b64 s[44:45], s[46:47], s[44:45]
	s_andn2_b64 exec, exec, s[44:45]
	s_cbranch_execz .LBB225_15
.LBB225_20:                             ;   Parent Loop BB225_13 Depth=1
                                        ;     Parent Loop BB225_17 Depth=2
                                        ; =>    This Inner Loop Header: Depth=3
	v_cmp_ne_u32_e32 vcc, s33, v30
	s_mov_b64 s[46:47], 0
	s_and_saveexec_b64 s[48:49], vcc
	s_xor_b64 s[48:49], exec, s[48:49]
	s_cbranch_execz .LBB225_22
; %bb.21:                               ;   in Loop: Header=BB225_20 Depth=3
	v_add_u32_e32 v27, 1, v27
	s_mov_b64 s[46:47], exec
	v_and_b32_e32 v27, 0x1ff, v27
                                        ; implicit-def: $vgpr29
	s_andn2_saveexec_b64 s[48:49], s[48:49]
	s_cbranch_execz .LBB225_24
	s_branch .LBB225_23
.LBB225_22:                             ;   in Loop: Header=BB225_20 Depth=3
	s_andn2_saveexec_b64 s[48:49], s[48:49]
	s_cbranch_execz .LBB225_24
.LBB225_23:                             ;   in Loop: Header=BB225_20 Depth=3
	v_mov_b32_e32 v30, s33
	ds_cmpst_rtn_b32 v29, v29, v30, v28
	s_andn2_b64 s[46:47], s[46:47], exec
	s_waitcnt lgkmcnt(0)
	v_cmp_ne_u32_e32 vcc, s33, v29
	s_and_b64 s[50:51], vcc, exec
	s_or_b64 s[46:47], s[46:47], s[50:51]
.LBB225_24:                             ;   in Loop: Header=BB225_20 Depth=3
	s_or_b64 exec, exec, s[48:49]
	s_mov_b64 s[48:49], -1
                                        ; implicit-def: $vgpr29
                                        ; implicit-def: $vgpr30
	s_and_saveexec_b64 s[50:51], s[46:47]
	s_cbranch_execz .LBB225_19
; %bb.25:                               ;   in Loop: Header=BB225_20 Depth=3
	v_lshl_add_u32 v29, v27, 2, 0
	ds_read_b32 v30, v29
	s_waitcnt lgkmcnt(0)
	v_cmp_eq_u32_e32 vcc, v30, v28
	s_orn2_b64 s[48:49], vcc, exec
	s_branch .LBB225_19
.LBB225_26:
	s_or_b64 exec, exec, s[12:13]
.LBB225_27:
	s_andn2_b64 vcc, exec, s[36:37]
	s_cbranch_vccnz .LBB225_42
; %bb.28:
	s_waitcnt lgkmcnt(0)
	s_ashr_i32 s29, s28, 31
	s_lshl_b64 s[2:3], s[28:29], 3
	s_add_u32 s2, s4, s2
	s_addc_u32 s3, s5, s3
	s_load_dwordx4 s[12:15], s[2:3], 0x0
	v_subrev_co_u32_e32 v2, vcc, s23, v0
	s_nop 1
	v_subb_co_u32_e64 v3, s[2:3], 0, 0, vcc
	s_waitcnt lgkmcnt(0)
	s_sub_u32 s2, s14, s23
	s_subb_u32 s3, s15, 0
	s_waitcnt vmcnt(0)
	v_lshl_add_u64 v[10:11], s[12:13], 0, v[2:3]
	v_cmp_gt_i64_e32 vcc, s[2:3], v[10:11]
	s_and_saveexec_b64 s[4:5], vcc
	s_cbranch_execz .LBB225_41
; %bb.29:
	s_mov_b64 s[12:13], 0
	s_movk_i32 s29, 0x89
	s_mov_b64 s[14:15], 0x100
	s_branch .LBB225_32
.LBB225_30:                             ;   in Loop: Header=BB225_32 Depth=1
	s_or_b64 exec, exec, s[18:19]
.LBB225_31:                             ;   in Loop: Header=BB225_32 Depth=1
	s_or_b64 exec, exec, s[16:17]
	s_waitcnt vmcnt(0)
	v_mul_f64 v[14:15], v[4:5], -v[6:7]
	v_mul_f64 v[4:5], v[8:9], v[4:5]
	v_fmac_f64_e32 v[14:15], v[8:9], v[2:3]
	v_fmac_f64_e32 v[4:5], v[6:7], v[2:3]
	v_lshl_add_u32 v2, v12, 4, 0
	ds_add_f64 v2, v[14:15] offset:2048
	ds_add_f64 v2, v[4:5] offset:2056
	v_lshl_add_u64 v[10:11], v[10:11], 0, s[14:15]
	v_cmp_le_i64_e32 vcc, s[2:3], v[10:11]
	s_or_b64 s[12:13], vcc, s[12:13]
	s_andn2_b64 exec, exec, s[12:13]
	s_cbranch_execz .LBB225_41
.LBB225_32:                             ; =>This Loop Header: Depth=1
                                        ;     Child Loop BB225_35 Depth 2
	v_lshl_add_u64 v[2:3], v[10:11], 2, s[6:7]
	global_load_dword v12, v[2:3], off
	v_lshl_add_u64 v[2:3], v[10:11], 4, s[8:9]
	global_load_dwordx4 v[2:5], v[2:3], off
	s_waitcnt vmcnt(1)
	v_subrev_u32_e32 v13, s23, v12
	v_mul_lo_u32 v12, v13, s29
	v_and_b32_e32 v12, 0x1ff, v12
	v_lshl_add_u32 v14, v12, 2, 0
	ds_read_b32 v15, v14
	s_waitcnt lgkmcnt(0)
	v_cmp_ne_u32_e32 vcc, v15, v13
	s_and_saveexec_b64 s[16:17], vcc
	s_cbranch_execz .LBB225_31
; %bb.33:                               ;   in Loop: Header=BB225_32 Depth=1
	s_mov_b64 s[18:19], 0
	s_branch .LBB225_35
.LBB225_34:                             ;   in Loop: Header=BB225_35 Depth=2
	s_or_b64 exec, exec, s[26:27]
	s_and_b64 s[20:21], exec, s[24:25]
	s_or_b64 s[18:19], s[20:21], s[18:19]
	s_andn2_b64 exec, exec, s[18:19]
	s_cbranch_execz .LBB225_30
.LBB225_35:                             ;   Parent Loop BB225_32 Depth=1
                                        ; =>  This Inner Loop Header: Depth=2
	v_cmp_ne_u32_e32 vcc, s33, v15
	s_mov_b64 s[20:21], 0
	s_and_saveexec_b64 s[24:25], vcc
	s_xor_b64 s[24:25], exec, s[24:25]
	s_cbranch_execz .LBB225_37
; %bb.36:                               ;   in Loop: Header=BB225_35 Depth=2
	v_add_u32_e32 v12, 1, v12
	s_mov_b64 s[20:21], exec
	v_and_b32_e32 v12, 0x1ff, v12
                                        ; implicit-def: $vgpr14
	s_andn2_saveexec_b64 s[24:25], s[24:25]
	s_cbranch_execz .LBB225_39
	s_branch .LBB225_38
.LBB225_37:                             ;   in Loop: Header=BB225_35 Depth=2
	s_andn2_saveexec_b64 s[24:25], s[24:25]
	s_cbranch_execz .LBB225_39
.LBB225_38:                             ;   in Loop: Header=BB225_35 Depth=2
	v_mov_b32_e32 v15, s33
	ds_cmpst_rtn_b32 v14, v14, v15, v13
	s_andn2_b64 s[20:21], s[20:21], exec
	s_waitcnt lgkmcnt(0)
	v_cmp_ne_u32_e32 vcc, s33, v14
	s_and_b64 s[26:27], vcc, exec
	s_or_b64 s[20:21], s[20:21], s[26:27]
.LBB225_39:                             ;   in Loop: Header=BB225_35 Depth=2
	s_or_b64 exec, exec, s[24:25]
	s_mov_b64 s[24:25], -1
                                        ; implicit-def: $vgpr14
                                        ; implicit-def: $vgpr15
	s_and_saveexec_b64 s[26:27], s[20:21]
	s_cbranch_execz .LBB225_34
; %bb.40:                               ;   in Loop: Header=BB225_35 Depth=2
	v_lshl_add_u32 v14, v12, 2, 0
	ds_read_b32 v15, v14
	s_waitcnt lgkmcnt(0)
	v_cmp_eq_u32_e32 vcc, v15, v13
	s_orn2_b64 s[24:25], vcc, exec
	s_branch .LBB225_34
.LBB225_41:
	s_or_b64 exec, exec, s[4:5]
.LBB225_42:
	s_waitcnt lgkmcnt(0)
	s_barrier
	s_and_saveexec_b64 s[8:9], s[0:1]
	s_cbranch_execz .LBB225_55
; %bb.43:
	v_mbcnt_lo_u32_b32 v2, -1, 0
	v_mbcnt_hi_u32_b32 v2, -1, v2
	v_lshrrev_b32_e32 v5, 4, v0
	v_sub_u32_e32 v2, 63, v2
	v_and_b32_e32 v5, 12, v5
	s_movk_i32 s0, 0xff
	s_movk_i32 s4, 0x7f
	s_movk_i32 s6, 0xbf
	v_mov_b32_e32 v4, 0
	v_lshrrev_b64 v[2:3], v2, -1
	v_add_u32_e32 v5, 0, v5
	v_cmp_eq_u32_e64 s[0:1], s0, v0
	v_cmp_lt_u32_e64 s[2:3], 63, v0
	v_cmp_lt_u32_e64 s[4:5], s4, v0
	;; [unrolled: 1-line block ×3, first 2 shown]
	s_waitcnt vmcnt(0)
	v_add_u32_e32 v6, 0x800, v26
	v_or_b32_e32 v7, 0xffffff00, v0
	s_mov_b64 s[12:13], 0
	v_mov_b32_e32 v8, 0
	s_branch .LBB225_45
.LBB225_44:                             ;   in Loop: Header=BB225_45 Depth=1
	s_or_b64 exec, exec, s[14:15]
	s_waitcnt lgkmcnt(0)
	s_barrier
	ds_read_b32 v9, v4 offset:10252
	v_add_co_u32_e32 v7, vcc, 0x100, v7
	s_xor_b64 s[14:15], vcc, -1
	s_and_b64 s[14:15], exec, s[14:15]
	v_add_u32_e32 v6, 0x1000, v6
	s_waitcnt lgkmcnt(0)
	v_add_u32_e32 v8, v9, v8
	s_or_b64 s[12:13], s[14:15], s[12:13]
	v_add_u32_e32 v1, 0x400, v1
	s_andn2_b64 exec, exec, s[12:13]
	s_cbranch_execz .LBB225_55
.LBB225_45:                             ; =>This Inner Loop Header: Depth=1
	ds_read2_b64 v[12:15], v6 offset1:1
	ds_read_b32 v10, v1
	s_waitcnt lgkmcnt(1)
	scratch_store_dwordx4 off, v[12:15], off
	s_waitcnt lgkmcnt(0)
	v_cmp_gt_i32_e32 vcc, s33, v10
	s_bcnt1_i32_b64 s14, vcc
	s_nop 0
	v_and_b32_e32 v11, vcc_lo, v2
	v_and_b32_e32 v9, vcc_hi, v3
	v_bcnt_u32_b32 v11, v11, 0
	v_bcnt_u32_b32 v9, v9, v11
	v_mov_b32_e32 v11, s14
	s_barrier
	ds_write_b32 v5, v11 offset:10240
	s_waitcnt lgkmcnt(0)
	s_barrier
	s_and_saveexec_b64 s[14:15], s[2:3]
	s_cbranch_execz .LBB225_50
; %bb.46:                               ;   in Loop: Header=BB225_45 Depth=1
	ds_read_b32 v11, v4 offset:10240
	s_waitcnt lgkmcnt(0)
	v_add_u32_e32 v9, v11, v9
	s_or_b64 exec, exec, s[14:15]
	s_and_saveexec_b64 s[14:15], s[4:5]
	s_cbranch_execnz .LBB225_51
.LBB225_47:                             ;   in Loop: Header=BB225_45 Depth=1
	s_or_b64 exec, exec, s[14:15]
	s_and_saveexec_b64 s[14:15], s[6:7]
	s_cbranch_execz .LBB225_52
.LBB225_48:                             ;   in Loop: Header=BB225_45 Depth=1
	ds_read_b32 v11, v4 offset:10248
	s_waitcnt lgkmcnt(0)
	v_add_u32_e32 v9, v11, v9
	s_or_b64 exec, exec, s[14:15]
	s_and_saveexec_b64 s[14:15], vcc
	s_cbranch_execnz .LBB225_53
.LBB225_49:                             ;   in Loop: Header=BB225_45 Depth=1
	s_or_b64 exec, exec, s[14:15]
	s_and_saveexec_b64 s[14:15], s[0:1]
	s_cbranch_execz .LBB225_44
	s_branch .LBB225_54
.LBB225_50:                             ;   in Loop: Header=BB225_45 Depth=1
	s_or_b64 exec, exec, s[14:15]
	s_and_saveexec_b64 s[14:15], s[4:5]
	s_cbranch_execz .LBB225_47
.LBB225_51:                             ;   in Loop: Header=BB225_45 Depth=1
	ds_read_b32 v11, v4 offset:10244
	s_waitcnt lgkmcnt(0)
	v_add_u32_e32 v9, v11, v9
	s_or_b64 exec, exec, s[14:15]
	s_and_saveexec_b64 s[14:15], s[6:7]
	s_cbranch_execnz .LBB225_48
.LBB225_52:                             ;   in Loop: Header=BB225_45 Depth=1
	s_or_b64 exec, exec, s[14:15]
	s_and_saveexec_b64 s[14:15], vcc
	s_cbranch_execz .LBB225_49
.LBB225_53:                             ;   in Loop: Header=BB225_45 Depth=1
	scratch_load_dwordx4 v[12:15], off, off
	v_add3_u32 v11, v8, -1, v9
	v_lshl_add_u32 v11, v11, 2, 0
	v_add_u32_e32 v16, v8, v9
	v_lshl_add_u32 v16, v16, 4, 0
	ds_write_b32 v11, v10
	s_waitcnt vmcnt(0)
	ds_write2_b64 v16, v[12:13], v[14:15] offset0:254 offset1:255
	s_or_b64 exec, exec, s[14:15]
	s_and_saveexec_b64 s[14:15], s[0:1]
	s_cbranch_execz .LBB225_44
.LBB225_54:                             ;   in Loop: Header=BB225_45 Depth=1
	ds_write_b32 v4, v9 offset:10252
	s_branch .LBB225_44
.LBB225_55:
	s_or_b64 exec, exec, s[8:9]
	s_ashr_i32 s29, s28, 31
	s_lshl_b64 s[0:1], s[28:29], 3
	s_add_u32 s4, s10, s0
	s_addc_u32 s5, s11, s1
	s_load_dwordx4 s[0:3], s[4:5], 0x0
	s_waitcnt lgkmcnt(0)
	s_sub_i32 s8, s2, s0
	v_cmp_gt_i32_e32 vcc, s8, v0
	s_and_saveexec_b64 s[4:5], vcc
	s_cbranch_execz .LBB225_65
; %bb.56:
	s_sub_u32 s4, s0, s22
	s_subb_u32 s5, s1, 0
	s_and_b32 s10, s8, 7
	s_sub_i32 s0, s0, s2
	s_cmp_lt_u32 s0, -7
	s_cselect_b64 s[0:1], -1, 0
	s_and_b32 s11, s8, -8
	s_cmp_lg_u32 s10, 0
	v_cndmask_b32_e64 v1, 0, 1, s[0:1]
	s_cselect_b64 s[2:3], -1, 0
	v_cmp_ne_u32_e64 s[0:1], 1, v1
	v_cndmask_b32_e64 v1, 0, 1, s[2:3]
	s_mov_b32 s9, 0
	s_mov_b64 s[6:7], 0
	v_cmp_ne_u32_e64 s[2:3], 1, v1
	s_movk_i32 s12, 0x800
	s_waitcnt vmcnt(0)
	s_branch .LBB225_58
.LBB225_57:                             ;   in Loop: Header=BB225_58 Depth=1
	s_waitcnt lgkmcnt(0)
	v_mul_lo_u32 v4, v0, 12
	v_add3_u32 v1, v1, v4, s12
	ds_read2_b64 v[4:7], v1 offset1:1
	v_add_u32_e32 v0, 0x100, v0
	v_cmp_le_i32_e32 vcc, s8, v0
	v_lshl_add_u64 v[2:3], v[2:3], 4, s[34:35]
	s_or_b64 s[6:7], vcc, s[6:7]
	s_waitcnt lgkmcnt(0)
	global_store_dwordx4 v[2:3], v[4:7], off
	s_andn2_b64 exec, exec, s[6:7]
	s_cbranch_execz .LBB225_65
.LBB225_58:                             ; =>This Loop Header: Depth=1
                                        ;     Child Loop BB225_60 Depth 2
                                        ;     Child Loop BB225_64 Depth 2
	v_lshl_add_u32 v1, v0, 2, 0
	ds_read_b32 v4, v1
	s_and_b64 vcc, exec, s[0:1]
	v_mov_b64_e32 v[2:3], s[4:5]
	s_mov_b32 s13, 0
	s_cbranch_vccnz .LBB225_62
; %bb.59:                               ;   in Loop: Header=BB225_58 Depth=1
	s_mov_b32 s14, 0
	v_mov_b64_e32 v[2:3], s[4:5]
.LBB225_60:                             ;   Parent Loop BB225_58 Depth=1
                                        ; =>  This Inner Loop Header: Depth=2
	v_mov_b32_e32 v5, s14
	ds_read2_b32 v[22:23], v5 offset1:1
	ds_read2_b32 v[24:25], v5 offset0:2 offset1:3
	ds_read2_b32 v[26:27], v5 offset0:4 offset1:5
	;; [unrolled: 1-line block ×3, first 2 shown]
	v_mov_b32_e32 v7, s9
	s_waitcnt lgkmcnt(3)
	v_cmp_gt_i32_e32 vcc, v4, v22
	v_mov_b32_e32 v9, s9
	v_mov_b32_e32 v11, s9
	v_cndmask_b32_e64 v6, 0, 1, vcc
	v_cmp_gt_i32_e32 vcc, v4, v23
	v_lshl_add_u64 v[2:3], v[2:3], 0, v[6:7]
	v_mov_b32_e32 v13, s9
	v_cndmask_b32_e64 v8, 0, 1, vcc
	s_waitcnt lgkmcnt(2)
	v_cmp_gt_i32_e32 vcc, v4, v24
	v_lshl_add_u64 v[2:3], v[2:3], 0, v[8:9]
	v_mov_b32_e32 v15, s9
	v_cndmask_b32_e64 v10, 0, 1, vcc
	v_cmp_gt_i32_e32 vcc, v4, v25
	v_lshl_add_u64 v[2:3], v[2:3], 0, v[10:11]
	v_mov_b32_e32 v17, s9
	v_cndmask_b32_e64 v12, 0, 1, vcc
	s_waitcnt lgkmcnt(1)
	v_cmp_gt_i32_e32 vcc, v4, v26
	v_lshl_add_u64 v[2:3], v[2:3], 0, v[12:13]
	;; [unrolled: 9-line block ×3, first 2 shown]
	s_add_i32 s13, s13, 8
	v_cndmask_b32_e64 v18, 0, 1, vcc
	v_cmp_gt_i32_e32 vcc, v4, v29
	s_add_i32 s14, s14, 32
	v_lshl_add_u64 v[2:3], v[2:3], 0, v[18:19]
	v_cndmask_b32_e64 v20, 0, 1, vcc
	s_cmp_eq_u32 s11, s13
	v_lshl_add_u64 v[2:3], v[2:3], 0, v[20:21]
	s_cbranch_scc0 .LBB225_60
; %bb.61:                               ;   in Loop: Header=BB225_58 Depth=1
	s_mov_b32 s13, s11
.LBB225_62:                             ;   in Loop: Header=BB225_58 Depth=1
	s_and_b64 vcc, exec, s[2:3]
	s_cbranch_vccnz .LBB225_57
; %bb.63:                               ;   in Loop: Header=BB225_58 Depth=1
	s_lshl_b32 s13, s13, 2
	s_add_i32 s13, s13, 0
	s_mov_b32 s14, s10
.LBB225_64:                             ;   Parent Loop BB225_58 Depth=1
                                        ; =>  This Inner Loop Header: Depth=2
	v_mov_b32_e32 v5, s13
	ds_read_b32 v5, v5
	v_mov_b32_e32 v7, s9
	s_add_i32 s13, s13, 4
	s_add_i32 s14, s14, -1
	s_cmp_lg_u32 s14, 0
	s_waitcnt lgkmcnt(0)
	v_cmp_gt_i32_e32 vcc, v4, v5
	s_nop 1
	v_cndmask_b32_e64 v6, 0, 1, vcc
	v_lshl_add_u64 v[2:3], v[2:3], 0, v[6:7]
	s_cbranch_scc1 .LBB225_64
	s_branch .LBB225_57
.LBB225_65:
	s_endpgm
	.section	.rodata,"a",@progbits
	.p2align	6, 0x0
	.amdhsa_kernel _ZN9rocsparseL41csrgemm_numeric_fill_block_per_row_kernelILj256ELj32ELj512ELj137ELj64Eli21rocsparse_complex_numIdEEEvT5_PKS3_S5_NS_24const_host_device_scalarIT6_EEPKT4_S5_PKS7_SB_S5_SD_S8_SB_S5_SD_SB_S5_PS7_21rocsparse_index_base_SF_SF_SF_bbb
		.amdhsa_group_segment_fixed_size 0
		.amdhsa_private_segment_fixed_size 40
		.amdhsa_kernarg_size 172
		.amdhsa_user_sgpr_count 2
		.amdhsa_user_sgpr_dispatch_ptr 0
		.amdhsa_user_sgpr_queue_ptr 0
		.amdhsa_user_sgpr_kernarg_segment_ptr 1
		.amdhsa_user_sgpr_dispatch_id 0
		.amdhsa_user_sgpr_kernarg_preload_length 0
		.amdhsa_user_sgpr_kernarg_preload_offset 0
		.amdhsa_user_sgpr_private_segment_size 0
		.amdhsa_uses_dynamic_stack 0
		.amdhsa_enable_private_segment 1
		.amdhsa_system_sgpr_workgroup_id_x 1
		.amdhsa_system_sgpr_workgroup_id_y 0
		.amdhsa_system_sgpr_workgroup_id_z 0
		.amdhsa_system_sgpr_workgroup_info 0
		.amdhsa_system_vgpr_workitem_id 0
		.amdhsa_next_free_vgpr 31
		.amdhsa_next_free_sgpr 53
		.amdhsa_accum_offset 32
		.amdhsa_reserve_vcc 1
		.amdhsa_float_round_mode_32 0
		.amdhsa_float_round_mode_16_64 0
		.amdhsa_float_denorm_mode_32 3
		.amdhsa_float_denorm_mode_16_64 3
		.amdhsa_dx10_clamp 1
		.amdhsa_ieee_mode 1
		.amdhsa_fp16_overflow 0
		.amdhsa_tg_split 0
		.amdhsa_exception_fp_ieee_invalid_op 0
		.amdhsa_exception_fp_denorm_src 0
		.amdhsa_exception_fp_ieee_div_zero 0
		.amdhsa_exception_fp_ieee_overflow 0
		.amdhsa_exception_fp_ieee_underflow 0
		.amdhsa_exception_fp_ieee_inexact 0
		.amdhsa_exception_int_div_zero 0
	.end_amdhsa_kernel
	.section	.text._ZN9rocsparseL41csrgemm_numeric_fill_block_per_row_kernelILj256ELj32ELj512ELj137ELj64Eli21rocsparse_complex_numIdEEEvT5_PKS3_S5_NS_24const_host_device_scalarIT6_EEPKT4_S5_PKS7_SB_S5_SD_S8_SB_S5_SD_SB_S5_PS7_21rocsparse_index_base_SF_SF_SF_bbb,"axG",@progbits,_ZN9rocsparseL41csrgemm_numeric_fill_block_per_row_kernelILj256ELj32ELj512ELj137ELj64Eli21rocsparse_complex_numIdEEEvT5_PKS3_S5_NS_24const_host_device_scalarIT6_EEPKT4_S5_PKS7_SB_S5_SD_S8_SB_S5_SD_SB_S5_PS7_21rocsparse_index_base_SF_SF_SF_bbb,comdat
.Lfunc_end225:
	.size	_ZN9rocsparseL41csrgemm_numeric_fill_block_per_row_kernelILj256ELj32ELj512ELj137ELj64Eli21rocsparse_complex_numIdEEEvT5_PKS3_S5_NS_24const_host_device_scalarIT6_EEPKT4_S5_PKS7_SB_S5_SD_S8_SB_S5_SD_SB_S5_PS7_21rocsparse_index_base_SF_SF_SF_bbb, .Lfunc_end225-_ZN9rocsparseL41csrgemm_numeric_fill_block_per_row_kernelILj256ELj32ELj512ELj137ELj64Eli21rocsparse_complex_numIdEEEvT5_PKS3_S5_NS_24const_host_device_scalarIT6_EEPKT4_S5_PKS7_SB_S5_SD_S8_SB_S5_SD_SB_S5_PS7_21rocsparse_index_base_SF_SF_SF_bbb
                                        ; -- End function
	.set _ZN9rocsparseL41csrgemm_numeric_fill_block_per_row_kernelILj256ELj32ELj512ELj137ELj64Eli21rocsparse_complex_numIdEEEvT5_PKS3_S5_NS_24const_host_device_scalarIT6_EEPKT4_S5_PKS7_SB_S5_SD_S8_SB_S5_SD_SB_S5_PS7_21rocsparse_index_base_SF_SF_SF_bbb.num_vgpr, 31
	.set _ZN9rocsparseL41csrgemm_numeric_fill_block_per_row_kernelILj256ELj32ELj512ELj137ELj64Eli21rocsparse_complex_numIdEEEvT5_PKS3_S5_NS_24const_host_device_scalarIT6_EEPKT4_S5_PKS7_SB_S5_SD_S8_SB_S5_SD_SB_S5_PS7_21rocsparse_index_base_SF_SF_SF_bbb.num_agpr, 0
	.set _ZN9rocsparseL41csrgemm_numeric_fill_block_per_row_kernelILj256ELj32ELj512ELj137ELj64Eli21rocsparse_complex_numIdEEEvT5_PKS3_S5_NS_24const_host_device_scalarIT6_EEPKT4_S5_PKS7_SB_S5_SD_S8_SB_S5_SD_SB_S5_PS7_21rocsparse_index_base_SF_SF_SF_bbb.numbered_sgpr, 53
	.set _ZN9rocsparseL41csrgemm_numeric_fill_block_per_row_kernelILj256ELj32ELj512ELj137ELj64Eli21rocsparse_complex_numIdEEEvT5_PKS3_S5_NS_24const_host_device_scalarIT6_EEPKT4_S5_PKS7_SB_S5_SD_S8_SB_S5_SD_SB_S5_PS7_21rocsparse_index_base_SF_SF_SF_bbb.num_named_barrier, 0
	.set _ZN9rocsparseL41csrgemm_numeric_fill_block_per_row_kernelILj256ELj32ELj512ELj137ELj64Eli21rocsparse_complex_numIdEEEvT5_PKS3_S5_NS_24const_host_device_scalarIT6_EEPKT4_S5_PKS7_SB_S5_SD_S8_SB_S5_SD_SB_S5_PS7_21rocsparse_index_base_SF_SF_SF_bbb.private_seg_size, 40
	.set _ZN9rocsparseL41csrgemm_numeric_fill_block_per_row_kernelILj256ELj32ELj512ELj137ELj64Eli21rocsparse_complex_numIdEEEvT5_PKS3_S5_NS_24const_host_device_scalarIT6_EEPKT4_S5_PKS7_SB_S5_SD_S8_SB_S5_SD_SB_S5_PS7_21rocsparse_index_base_SF_SF_SF_bbb.uses_vcc, 1
	.set _ZN9rocsparseL41csrgemm_numeric_fill_block_per_row_kernelILj256ELj32ELj512ELj137ELj64Eli21rocsparse_complex_numIdEEEvT5_PKS3_S5_NS_24const_host_device_scalarIT6_EEPKT4_S5_PKS7_SB_S5_SD_S8_SB_S5_SD_SB_S5_PS7_21rocsparse_index_base_SF_SF_SF_bbb.uses_flat_scratch, 0
	.set _ZN9rocsparseL41csrgemm_numeric_fill_block_per_row_kernelILj256ELj32ELj512ELj137ELj64Eli21rocsparse_complex_numIdEEEvT5_PKS3_S5_NS_24const_host_device_scalarIT6_EEPKT4_S5_PKS7_SB_S5_SD_S8_SB_S5_SD_SB_S5_PS7_21rocsparse_index_base_SF_SF_SF_bbb.has_dyn_sized_stack, 0
	.set _ZN9rocsparseL41csrgemm_numeric_fill_block_per_row_kernelILj256ELj32ELj512ELj137ELj64Eli21rocsparse_complex_numIdEEEvT5_PKS3_S5_NS_24const_host_device_scalarIT6_EEPKT4_S5_PKS7_SB_S5_SD_S8_SB_S5_SD_SB_S5_PS7_21rocsparse_index_base_SF_SF_SF_bbb.has_recursion, 0
	.set _ZN9rocsparseL41csrgemm_numeric_fill_block_per_row_kernelILj256ELj32ELj512ELj137ELj64Eli21rocsparse_complex_numIdEEEvT5_PKS3_S5_NS_24const_host_device_scalarIT6_EEPKT4_S5_PKS7_SB_S5_SD_S8_SB_S5_SD_SB_S5_PS7_21rocsparse_index_base_SF_SF_SF_bbb.has_indirect_call, 0
	.section	.AMDGPU.csdata,"",@progbits
; Kernel info:
; codeLenInByte = 2704
; TotalNumSgprs: 59
; NumVgprs: 31
; NumAgprs: 0
; TotalNumVgprs: 31
; ScratchSize: 40
; MemoryBound: 0
; FloatMode: 240
; IeeeMode: 1
; LDSByteSize: 0 bytes/workgroup (compile time only)
; SGPRBlocks: 7
; VGPRBlocks: 3
; NumSGPRsForWavesPerEU: 59
; NumVGPRsForWavesPerEU: 31
; AccumOffset: 32
; Occupancy: 8
; WaveLimiterHint : 1
; COMPUTE_PGM_RSRC2:SCRATCH_EN: 1
; COMPUTE_PGM_RSRC2:USER_SGPR: 2
; COMPUTE_PGM_RSRC2:TRAP_HANDLER: 0
; COMPUTE_PGM_RSRC2:TGID_X_EN: 1
; COMPUTE_PGM_RSRC2:TGID_Y_EN: 0
; COMPUTE_PGM_RSRC2:TGID_Z_EN: 0
; COMPUTE_PGM_RSRC2:TIDIG_COMP_CNT: 0
; COMPUTE_PGM_RSRC3_GFX90A:ACCUM_OFFSET: 7
; COMPUTE_PGM_RSRC3_GFX90A:TG_SPLIT: 0
	.section	.text._ZN9rocsparseL41csrgemm_numeric_fill_block_per_row_kernelILj512ELj32ELj1024ELj137ELj32Eli21rocsparse_complex_numIdEEEvT5_PKS3_S5_NS_24const_host_device_scalarIT6_EEPKT4_S5_PKS7_SB_S5_SD_S8_SB_S5_SD_SB_S5_PS7_21rocsparse_index_base_SF_SF_SF_bbb,"axG",@progbits,_ZN9rocsparseL41csrgemm_numeric_fill_block_per_row_kernelILj512ELj32ELj1024ELj137ELj32Eli21rocsparse_complex_numIdEEEvT5_PKS3_S5_NS_24const_host_device_scalarIT6_EEPKT4_S5_PKS7_SB_S5_SD_S8_SB_S5_SD_SB_S5_PS7_21rocsparse_index_base_SF_SF_SF_bbb,comdat
	.globl	_ZN9rocsparseL41csrgemm_numeric_fill_block_per_row_kernelILj512ELj32ELj1024ELj137ELj32Eli21rocsparse_complex_numIdEEEvT5_PKS3_S5_NS_24const_host_device_scalarIT6_EEPKT4_S5_PKS7_SB_S5_SD_S8_SB_S5_SD_SB_S5_PS7_21rocsparse_index_base_SF_SF_SF_bbb ; -- Begin function _ZN9rocsparseL41csrgemm_numeric_fill_block_per_row_kernelILj512ELj32ELj1024ELj137ELj32Eli21rocsparse_complex_numIdEEEvT5_PKS3_S5_NS_24const_host_device_scalarIT6_EEPKT4_S5_PKS7_SB_S5_SD_S8_SB_S5_SD_SB_S5_PS7_21rocsparse_index_base_SF_SF_SF_bbb
	.p2align	8
	.type	_ZN9rocsparseL41csrgemm_numeric_fill_block_per_row_kernelILj512ELj32ELj1024ELj137ELj32Eli21rocsparse_complex_numIdEEEvT5_PKS3_S5_NS_24const_host_device_scalarIT6_EEPKT4_S5_PKS7_SB_S5_SD_S8_SB_S5_SD_SB_S5_PS7_21rocsparse_index_base_SF_SF_SF_bbb,@function
_ZN9rocsparseL41csrgemm_numeric_fill_block_per_row_kernelILj512ELj32ELj1024ELj137ELj32Eli21rocsparse_complex_numIdEEEvT5_PKS3_S5_NS_24const_host_device_scalarIT6_EEPKT4_S5_PKS7_SB_S5_SD_S8_SB_S5_SD_SB_S5_PS7_21rocsparse_index_base_SF_SF_SF_bbb: ; @_ZN9rocsparseL41csrgemm_numeric_fill_block_per_row_kernelILj512ELj32ELj1024ELj137ELj32Eli21rocsparse_complex_numIdEEEvT5_PKS3_S5_NS_24const_host_device_scalarIT6_EEPKT4_S5_PKS7_SB_S5_SD_S8_SB_S5_SD_SB_S5_PS7_21rocsparse_index_base_SF_SF_SF_bbb
; %bb.0:
	s_load_dword s3, s[0:1], 0xa8
	s_load_dwordx4 s[44:47], s[0:1], 0x98
	s_load_dwordx4 s[8:11], s[0:1], 0x18
	;; [unrolled: 1-line block ×3, first 2 shown]
	v_mov_b64_e32 v[6:7], 0
	s_waitcnt lgkmcnt(0)
	s_bitcmp1_b32 s3, 0
	s_cselect_b64 s[28:29], -1, 0
	s_bitcmp1_b32 s3, 16
	s_cselect_b64 s[30:31], -1, 0
	s_xor_b64 s[4:5], s[30:31], -1
	v_mov_b64_e32 v[2:3], s[8:9]
	v_cndmask_b32_e64 v1, 0, 1, s[4:5]
	scratch_store_dwordx2 off, v[2:3], off offset:16
	v_mov_b64_e32 v[2:3], s[24:25]
	s_bitcmp0_b32 s3, 0
	v_cmp_ne_u32_e64 s[4:5], 1, v1
	v_mov_b64_e32 v[10:11], 0
	v_mov_b64_e32 v[12:13], 0
	scratch_store_dwordx2 off, v[2:3], off offset:24
	s_cbranch_scc1 .LBB226_3
; %bb.1:
	s_mov_b64 s[6:7], src_private_base
	s_and_b64 s[12:13], s[30:31], exec
	s_cselect_b32 s6, s7, s9
	s_cselect_b32 s7, 16, s8
	v_mov_b32_e32 v2, s7
	v_mov_b32_e32 v3, s6
	flat_load_dwordx2 v[10:11], v[2:3]
	s_and_b64 vcc, exec, s[4:5]
	v_mov_b64_e32 v[12:13], s[10:11]
	s_cbranch_vccnz .LBB226_3
; %bb.2:
	v_mov_b64_e32 v[2:3], s[8:9]
	flat_load_dwordx2 v[12:13], v[2:3] offset:8
.LBB226_3:
	s_load_dwordx2 s[34:35], s[0:1], 0x90
	s_load_dwordx8 s[36:43], s[0:1], 0x68
	s_load_dwordx4 s[16:19], s[0:1], 0x48
	s_load_dwordx4 s[20:23], s[0:1], 0x8
	s_load_dwordx8 s[8:15], s[0:1], 0x28
	s_bitcmp1_b32 s3, 8
	s_cselect_b64 s[6:7], -1, 0
	s_bfe_u32 s3, s3, 0x10008
	s_cmp_eq_u32 s3, 0
	v_mov_b64_e32 v[8:9], 0
	s_cbranch_scc1 .LBB226_6
; %bb.4:
	s_mov_b64 s[48:49], src_private_base
	s_and_b64 s[30:31], s[30:31], exec
	s_cselect_b32 s3, s49, s25
	s_cselect_b32 s30, 24, s24
	v_mov_b32_e32 v2, s30
	v_mov_b32_e32 v3, s3
	flat_load_dwordx2 v[8:9], v[2:3]
	s_and_b64 vcc, exec, s[4:5]
	v_mov_b64_e32 v[6:7], s[26:27]
	s_cbranch_vccnz .LBB226_6
; %bb.5:
	v_mov_b64_e32 v[2:3], s[24:25]
	flat_load_dwordx2 v[6:7], v[2:3] offset:8
.LBB226_6:
	s_load_dword s33, s[0:1], 0x0
	s_mov_b32 s4, 0
	v_lshl_add_u32 v1, v0, 4, 0
	v_add_u32_e32 v1, 0x1000, v1
	v_or_b32_e32 v26, 0xfffffe00, v0
	v_lshl_add_u32 v27, v0, 2, 0
	s_mov_b32 s5, s4
	s_mov_b32 s24, s4
	;; [unrolled: 1-line block ×3, first 2 shown]
	s_mov_b64 s[0:1], 0
	s_waitcnt lgkmcnt(0)
	v_mov_b32_e32 v17, s33
	v_mov_b64_e32 v[2:3], s[4:5]
	v_mov_b64_e32 v[4:5], s[24:25]
	v_mov_b32_e32 v14, v27
	v_mov_b32_e32 v15, v26
	;; [unrolled: 1-line block ×3, first 2 shown]
.LBB226_7:                              ; =>This Inner Loop Header: Depth=1
	v_add_co_u32_e32 v15, vcc, 0x200, v15
	s_xor_b64 s[4:5], vcc, -1
	s_and_b64 s[4:5], exec, s[4:5]
	ds_write_b32 v14, v17
	ds_write2_b64 v16, v[2:3], v[4:5] offset1:1
	v_add_u32_e32 v16, 0x2000, v16
	s_or_b64 s[0:1], s[4:5], s[0:1]
	v_add_u32_e32 v14, 0x800, v14
	s_andn2_b64 exec, exec, s[0:1]
	s_cbranch_execnz .LBB226_7
; %bb.8:
	s_or_b64 exec, exec, s[0:1]
	s_waitcnt lgkmcnt(0)
	s_barrier
	s_load_dword s0, s[20:21], 0x0
	s_mov_b32 s1, 0
	v_lshrrev_b32_e32 v28, 5, v0
	s_waitcnt lgkmcnt(0)
	s_add_i32 s0, s0, s2
	s_lshl_b64 s[0:1], s[0:1], 2
	s_add_u32 s0, s22, s0
	s_addc_u32 s1, s23, s1
	s_load_dword s48, s[0:1], 0x0
	s_and_b64 vcc, exec, s[28:29]
	s_cbranch_vccz .LBB226_26
; %bb.9:
	s_waitcnt lgkmcnt(0)
	s_ashr_i32 s49, s48, 31
	s_lshl_b64 s[0:1], s[48:49], 3
	s_add_u32 s0, s8, s0
	s_addc_u32 s1, s9, s1
	s_load_dwordx4 s[20:23], s[0:1], 0x0
	v_subrev_co_u32_e32 v2, vcc, s44, v28
	s_nop 1
	v_subb_co_u32_e64 v3, s[0:1], 0, 0, vcc
	s_waitcnt lgkmcnt(0)
	s_sub_u32 s0, s22, s44
	s_subb_u32 s1, s23, 0
	v_lshl_add_u64 v[14:15], s[20:21], 0, v[2:3]
	v_cmp_gt_i64_e32 vcc, s[0:1], v[14:15]
	s_and_saveexec_b64 s[2:3], vcc
	s_cbranch_execz .LBB226_25
; %bb.10:
	v_and_b32_e32 v2, 31, v0
	v_subrev_co_u32_e32 v16, vcc, s45, v2
	s_mov_b32 s49, s45
	s_nop 0
	v_subb_co_u32_e64 v17, s[4:5], 0, 0, vcc
	s_mov_b64 s[4:5], 0
	s_movk_i32 s50, 0x89
	s_branch .LBB226_12
.LBB226_11:                             ;   in Loop: Header=BB226_12 Depth=1
	s_or_b64 exec, exec, s[8:9]
	v_lshl_add_u64 v[14:15], v[14:15], 0, 16
	v_cmp_le_i64_e32 vcc, s[0:1], v[14:15]
	s_or_b64 s[4:5], vcc, s[4:5]
	s_andn2_b64 exec, exec, s[4:5]
	s_cbranch_execz .LBB226_25
.LBB226_12:                             ; =>This Loop Header: Depth=1
                                        ;     Child Loop BB226_16 Depth 2
                                        ;       Child Loop BB226_19 Depth 3
	v_lshl_add_u64 v[2:3], v[14:15], 2, s[10:11]
	global_load_dword v2, v[2:3], off
	s_waitcnt vmcnt(0)
	v_subrev_u32_e32 v2, s44, v2
	v_ashrrev_i32_e32 v3, 31, v2
	v_lshl_add_u64 v[2:3], v[2:3], 3, s[14:15]
	global_load_dwordx4 v[2:5], v[2:3], off
	s_waitcnt vmcnt(0)
	v_subrev_co_u32_e32 v18, vcc, s49, v4
	s_nop 1
	v_subbrev_co_u32_e32 v19, vcc, 0, v5, vcc
	v_lshl_add_u64 v[20:21], v[2:3], 0, v[16:17]
	v_cmp_lt_i64_e32 vcc, v[20:21], v[18:19]
	s_and_saveexec_b64 s[8:9], vcc
	s_cbranch_execz .LBB226_11
; %bb.13:                               ;   in Loop: Header=BB226_12 Depth=1
	v_lshl_add_u64 v[2:3], v[14:15], 4, s[12:13]
	global_load_dwordx4 v[2:5], v[2:3], off
	s_mov_b64 s[20:21], 0
	s_waitcnt vmcnt(0)
	v_mul_f64 v[22:23], v[4:5], -v[12:13]
	v_mul_f64 v[24:25], v[10:11], v[4:5]
	v_fmac_f64_e32 v[22:23], v[10:11], v[2:3]
	v_fmac_f64_e32 v[24:25], v[12:13], v[2:3]
	s_branch .LBB226_16
.LBB226_14:                             ;   in Loop: Header=BB226_16 Depth=2
	s_or_b64 exec, exec, s[24:25]
.LBB226_15:                             ;   in Loop: Header=BB226_16 Depth=2
	s_or_b64 exec, exec, s[22:23]
	s_waitcnt vmcnt(0)
	v_mul_f64 v[30:31], v[4:5], -v[24:25]
	v_mul_f64 v[4:5], v[22:23], v[4:5]
	v_fmac_f64_e32 v[30:31], v[22:23], v[2:3]
	v_fmac_f64_e32 v[4:5], v[24:25], v[2:3]
	v_lshl_add_u32 v2, v29, 4, 0
	ds_add_f64 v2, v[30:31] offset:4096
	ds_add_f64 v2, v[4:5] offset:4104
	v_lshl_add_u64 v[20:21], v[20:21], 0, 32
	v_cmp_ge_i64_e32 vcc, v[20:21], v[18:19]
	s_or_b64 s[20:21], vcc, s[20:21]
	s_andn2_b64 exec, exec, s[20:21]
	s_cbranch_execz .LBB226_11
.LBB226_16:                             ;   Parent Loop BB226_12 Depth=1
                                        ; =>  This Loop Header: Depth=2
                                        ;       Child Loop BB226_19 Depth 3
	v_lshl_add_u64 v[2:3], v[20:21], 2, s[16:17]
	global_load_dword v29, v[2:3], off
	v_lshl_add_u64 v[2:3], v[20:21], 4, s[18:19]
	global_load_dwordx4 v[2:5], v[2:3], off
	s_waitcnt vmcnt(1)
	v_subrev_u32_e32 v30, s45, v29
	v_mul_lo_u32 v29, v30, s50
	v_and_b32_e32 v29, 0x3ff, v29
	v_lshl_add_u32 v31, v29, 2, 0
	ds_read_b32 v32, v31
	s_waitcnt lgkmcnt(0)
	v_cmp_ne_u32_e32 vcc, v32, v30
	s_and_saveexec_b64 s[22:23], vcc
	s_cbranch_execz .LBB226_15
; %bb.17:                               ;   in Loop: Header=BB226_16 Depth=2
	s_mov_b64 s[24:25], 0
	s_branch .LBB226_19
.LBB226_18:                             ;   in Loop: Header=BB226_19 Depth=3
	s_or_b64 exec, exec, s[30:31]
	s_and_b64 s[26:27], exec, s[28:29]
	s_or_b64 s[24:25], s[26:27], s[24:25]
	s_andn2_b64 exec, exec, s[24:25]
	s_cbranch_execz .LBB226_14
.LBB226_19:                             ;   Parent Loop BB226_12 Depth=1
                                        ;     Parent Loop BB226_16 Depth=2
                                        ; =>    This Inner Loop Header: Depth=3
	v_cmp_ne_u32_e32 vcc, s33, v32
	s_mov_b64 s[26:27], 0
	s_and_saveexec_b64 s[28:29], vcc
	s_xor_b64 s[28:29], exec, s[28:29]
	s_cbranch_execz .LBB226_21
; %bb.20:                               ;   in Loop: Header=BB226_19 Depth=3
	v_add_u32_e32 v29, 1, v29
	s_mov_b64 s[26:27], exec
	v_and_b32_e32 v29, 0x3ff, v29
                                        ; implicit-def: $vgpr31
	s_andn2_saveexec_b64 s[28:29], s[28:29]
	s_cbranch_execz .LBB226_23
	s_branch .LBB226_22
.LBB226_21:                             ;   in Loop: Header=BB226_19 Depth=3
	s_andn2_saveexec_b64 s[28:29], s[28:29]
	s_cbranch_execz .LBB226_23
.LBB226_22:                             ;   in Loop: Header=BB226_19 Depth=3
	v_mov_b32_e32 v32, s33
	ds_cmpst_rtn_b32 v31, v31, v32, v30
	s_andn2_b64 s[26:27], s[26:27], exec
	s_waitcnt lgkmcnt(0)
	v_cmp_ne_u32_e32 vcc, s33, v31
	s_and_b64 s[30:31], vcc, exec
	s_or_b64 s[26:27], s[26:27], s[30:31]
.LBB226_23:                             ;   in Loop: Header=BB226_19 Depth=3
	s_or_b64 exec, exec, s[28:29]
	s_mov_b64 s[28:29], -1
                                        ; implicit-def: $vgpr31
                                        ; implicit-def: $vgpr32
	s_and_saveexec_b64 s[30:31], s[26:27]
	s_cbranch_execz .LBB226_18
; %bb.24:                               ;   in Loop: Header=BB226_19 Depth=3
	v_lshl_add_u32 v31, v29, 2, 0
	ds_read_b32 v32, v31
	s_waitcnt lgkmcnt(0)
	v_cmp_eq_u32_e32 vcc, v32, v30
	s_orn2_b64 s[28:29], vcc, exec
	s_branch .LBB226_18
.LBB226_25:
	s_or_b64 exec, exec, s[2:3]
.LBB226_26:
	s_andn2_b64 vcc, exec, s[6:7]
	s_cbranch_vccnz .LBB226_41
; %bb.27:
	s_waitcnt lgkmcnt(0)
	s_ashr_i32 s49, s48, 31
	s_lshl_b64 s[0:1], s[48:49], 3
	s_add_u32 s0, s36, s0
	s_addc_u32 s1, s37, s1
	s_load_dwordx4 s[4:7], s[0:1], 0x0
	v_subrev_co_u32_e32 v2, vcc, s47, v0
	s_nop 1
	v_subb_co_u32_e64 v3, s[0:1], 0, 0, vcc
	s_waitcnt lgkmcnt(0)
	s_sub_u32 s0, s6, s47
	s_subb_u32 s1, s7, 0
	s_waitcnt vmcnt(0)
	v_lshl_add_u64 v[10:11], s[4:5], 0, v[2:3]
	v_cmp_gt_i64_e32 vcc, s[0:1], v[10:11]
	s_and_saveexec_b64 s[2:3], vcc
	s_cbranch_execz .LBB226_40
; %bb.28:
	s_mov_b64 s[4:5], 0
	s_movk_i32 s18, 0x89
	s_mov_b64 s[6:7], 0x200
	s_branch .LBB226_31
.LBB226_29:                             ;   in Loop: Header=BB226_31 Depth=1
	s_or_b64 exec, exec, s[10:11]
.LBB226_30:                             ;   in Loop: Header=BB226_31 Depth=1
	s_or_b64 exec, exec, s[8:9]
	s_waitcnt vmcnt(0)
	v_mul_f64 v[14:15], v[4:5], -v[6:7]
	v_mul_f64 v[4:5], v[8:9], v[4:5]
	v_fmac_f64_e32 v[14:15], v[8:9], v[2:3]
	v_fmac_f64_e32 v[4:5], v[6:7], v[2:3]
	v_lshl_add_u32 v2, v12, 4, 0
	ds_add_f64 v2, v[14:15] offset:4096
	ds_add_f64 v2, v[4:5] offset:4104
	v_lshl_add_u64 v[10:11], v[10:11], 0, s[6:7]
	v_cmp_le_i64_e32 vcc, s[0:1], v[10:11]
	s_or_b64 s[4:5], vcc, s[4:5]
	s_andn2_b64 exec, exec, s[4:5]
	s_cbranch_execz .LBB226_40
.LBB226_31:                             ; =>This Loop Header: Depth=1
                                        ;     Child Loop BB226_34 Depth 2
	v_lshl_add_u64 v[2:3], v[10:11], 2, s[38:39]
	global_load_dword v12, v[2:3], off
	v_lshl_add_u64 v[2:3], v[10:11], 4, s[40:41]
	global_load_dwordx4 v[2:5], v[2:3], off
	s_waitcnt vmcnt(1)
	v_subrev_u32_e32 v13, s47, v12
	v_mul_lo_u32 v12, v13, s18
	v_and_b32_e32 v12, 0x3ff, v12
	v_lshl_add_u32 v14, v12, 2, 0
	ds_read_b32 v15, v14
	s_waitcnt lgkmcnt(0)
	v_cmp_ne_u32_e32 vcc, v15, v13
	s_and_saveexec_b64 s[8:9], vcc
	s_cbranch_execz .LBB226_30
; %bb.32:                               ;   in Loop: Header=BB226_31 Depth=1
	s_mov_b64 s[10:11], 0
	s_branch .LBB226_34
.LBB226_33:                             ;   in Loop: Header=BB226_34 Depth=2
	s_or_b64 exec, exec, s[16:17]
	s_and_b64 s[12:13], exec, s[14:15]
	s_or_b64 s[10:11], s[12:13], s[10:11]
	s_andn2_b64 exec, exec, s[10:11]
	s_cbranch_execz .LBB226_29
.LBB226_34:                             ;   Parent Loop BB226_31 Depth=1
                                        ; =>  This Inner Loop Header: Depth=2
	v_cmp_ne_u32_e32 vcc, s33, v15
	s_mov_b64 s[12:13], 0
	s_and_saveexec_b64 s[14:15], vcc
	s_xor_b64 s[14:15], exec, s[14:15]
	s_cbranch_execz .LBB226_36
; %bb.35:                               ;   in Loop: Header=BB226_34 Depth=2
	v_add_u32_e32 v12, 1, v12
	s_mov_b64 s[12:13], exec
	v_and_b32_e32 v12, 0x3ff, v12
                                        ; implicit-def: $vgpr14
	s_andn2_saveexec_b64 s[14:15], s[14:15]
	s_cbranch_execz .LBB226_38
	s_branch .LBB226_37
.LBB226_36:                             ;   in Loop: Header=BB226_34 Depth=2
	s_andn2_saveexec_b64 s[14:15], s[14:15]
	s_cbranch_execz .LBB226_38
.LBB226_37:                             ;   in Loop: Header=BB226_34 Depth=2
	v_mov_b32_e32 v15, s33
	ds_cmpst_rtn_b32 v14, v14, v15, v13
	s_andn2_b64 s[12:13], s[12:13], exec
	s_waitcnt lgkmcnt(0)
	v_cmp_ne_u32_e32 vcc, s33, v14
	s_and_b64 s[16:17], vcc, exec
	s_or_b64 s[12:13], s[12:13], s[16:17]
.LBB226_38:                             ;   in Loop: Header=BB226_34 Depth=2
	s_or_b64 exec, exec, s[14:15]
	s_mov_b64 s[14:15], -1
                                        ; implicit-def: $vgpr14
                                        ; implicit-def: $vgpr15
	s_and_saveexec_b64 s[16:17], s[12:13]
	s_cbranch_execz .LBB226_33
; %bb.39:                               ;   in Loop: Header=BB226_34 Depth=2
	v_lshl_add_u32 v14, v12, 2, 0
	ds_read_b32 v15, v14
	s_waitcnt lgkmcnt(0)
	v_cmp_eq_u32_e32 vcc, v15, v13
	s_orn2_b64 s[14:15], vcc, exec
	s_branch .LBB226_33
.LBB226_40:
	s_or_b64 exec, exec, s[2:3]
.LBB226_41:
	v_mbcnt_lo_u32_b32 v2, -1, 0
	v_mbcnt_hi_u32_b32 v2, -1, v2
	v_sub_u32_e32 v2, 63, v2
	s_movk_i32 s0, 0x1ff
	s_movk_i32 s6, 0x5f
	s_movk_i32 s8, 0x7f
	s_movk_i32 s10, 0x9f
	s_movk_i32 s12, 0xbf
	s_movk_i32 s14, 0xdf
	s_movk_i32 s16, 0xff
	s_movk_i32 s18, 0x11f
	s_movk_i32 s20, 0x13f
	s_movk_i32 s22, 0x15f
	s_movk_i32 s24, 0x17f
	s_movk_i32 s26, 0x19f
	s_movk_i32 s28, 0x1bf
	s_movk_i32 s30, 0x1df
	v_mov_b32_e32 v4, 0
	v_lshrrev_b64 v[2:3], v2, -1
	v_lshl_add_u32 v5, v28, 2, 0
	v_cmp_eq_u32_e64 s[0:1], s0, v0
	v_cmp_lt_u32_e64 s[2:3], 31, v0
	v_cmp_lt_u32_e64 s[4:5], 63, v0
	;; [unrolled: 1-line block ×15, first 2 shown]
	s_mov_b64 s[36:37], 0
	s_waitcnt vmcnt(0)
	v_mov_b32_e32 v6, 0
	s_waitcnt lgkmcnt(0)
	s_barrier
	s_branch .LBB226_43
.LBB226_42:                             ;   in Loop: Header=BB226_43 Depth=1
	s_or_b64 exec, exec, s[38:39]
	s_waitcnt lgkmcnt(0)
	s_barrier
	ds_read_b32 v7, v4 offset:20540
	v_add_co_u32_e32 v26, vcc, 0x200, v26
	s_xor_b64 s[38:39], vcc, -1
	s_and_b64 s[38:39], exec, s[38:39]
	v_add_u32_e32 v1, 0x2000, v1
	s_waitcnt lgkmcnt(0)
	v_add_u32_e32 v6, v7, v6
	s_or_b64 s[36:37], s[38:39], s[36:37]
	v_add_u32_e32 v27, 0x800, v27
	s_andn2_b64 exec, exec, s[36:37]
	s_cbranch_execz .LBB226_77
.LBB226_43:                             ; =>This Inner Loop Header: Depth=1
	ds_read2_b64 v[10:13], v1 offset1:1
	ds_read_b32 v8, v27
	s_waitcnt lgkmcnt(1)
	scratch_store_dwordx4 off, v[10:13], off
	s_waitcnt lgkmcnt(0)
	v_cmp_gt_i32_e32 vcc, s33, v8
	s_bcnt1_i32_b64 s38, vcc
	s_nop 0
	v_and_b32_e32 v9, vcc_lo, v2
	v_and_b32_e32 v7, vcc_hi, v3
	v_bcnt_u32_b32 v9, v9, 0
	v_bcnt_u32_b32 v7, v7, v9
	v_mov_b32_e32 v9, s38
	s_barrier
	ds_write_b32 v5, v9 offset:20480
	s_waitcnt lgkmcnt(0)
	s_barrier
	s_and_saveexec_b64 s[38:39], s[2:3]
	s_cbranch_execz .LBB226_60
; %bb.44:                               ;   in Loop: Header=BB226_43 Depth=1
	ds_read_b32 v9, v4 offset:20480
	s_waitcnt lgkmcnt(0)
	v_add_u32_e32 v7, v9, v7
	s_or_b64 exec, exec, s[38:39]
	s_and_saveexec_b64 s[38:39], s[4:5]
	s_cbranch_execnz .LBB226_61
.LBB226_45:                             ;   in Loop: Header=BB226_43 Depth=1
	s_or_b64 exec, exec, s[38:39]
	s_and_saveexec_b64 s[38:39], s[6:7]
	s_cbranch_execz .LBB226_62
.LBB226_46:                             ;   in Loop: Header=BB226_43 Depth=1
	ds_read_b32 v9, v4 offset:20488
	s_waitcnt lgkmcnt(0)
	v_add_u32_e32 v7, v9, v7
	s_or_b64 exec, exec, s[38:39]
	s_and_saveexec_b64 s[38:39], s[8:9]
	s_cbranch_execnz .LBB226_63
.LBB226_47:                             ;   in Loop: Header=BB226_43 Depth=1
	s_or_b64 exec, exec, s[38:39]
	s_and_saveexec_b64 s[38:39], s[10:11]
	s_cbranch_execz .LBB226_64
.LBB226_48:                             ;   in Loop: Header=BB226_43 Depth=1
	ds_read_b32 v9, v4 offset:20496
	s_waitcnt lgkmcnt(0)
	v_add_u32_e32 v7, v9, v7
	s_or_b64 exec, exec, s[38:39]
	s_and_saveexec_b64 s[38:39], s[12:13]
	s_cbranch_execnz .LBB226_65
.LBB226_49:                             ;   in Loop: Header=BB226_43 Depth=1
	s_or_b64 exec, exec, s[38:39]
	s_and_saveexec_b64 s[38:39], s[14:15]
	s_cbranch_execz .LBB226_66
.LBB226_50:                             ;   in Loop: Header=BB226_43 Depth=1
	ds_read_b32 v9, v4 offset:20504
	s_waitcnt lgkmcnt(0)
	v_add_u32_e32 v7, v9, v7
	s_or_b64 exec, exec, s[38:39]
	s_and_saveexec_b64 s[38:39], s[16:17]
	s_cbranch_execnz .LBB226_67
.LBB226_51:                             ;   in Loop: Header=BB226_43 Depth=1
	s_or_b64 exec, exec, s[38:39]
	s_and_saveexec_b64 s[38:39], s[18:19]
	s_cbranch_execz .LBB226_68
.LBB226_52:                             ;   in Loop: Header=BB226_43 Depth=1
	ds_read_b32 v9, v4 offset:20512
	s_waitcnt lgkmcnt(0)
	v_add_u32_e32 v7, v9, v7
	s_or_b64 exec, exec, s[38:39]
	s_and_saveexec_b64 s[38:39], s[20:21]
	s_cbranch_execnz .LBB226_69
.LBB226_53:                             ;   in Loop: Header=BB226_43 Depth=1
	s_or_b64 exec, exec, s[38:39]
	s_and_saveexec_b64 s[38:39], s[22:23]
	s_cbranch_execz .LBB226_70
.LBB226_54:                             ;   in Loop: Header=BB226_43 Depth=1
	ds_read_b32 v9, v4 offset:20520
	s_waitcnt lgkmcnt(0)
	v_add_u32_e32 v7, v9, v7
	s_or_b64 exec, exec, s[38:39]
	s_and_saveexec_b64 s[38:39], s[24:25]
	s_cbranch_execnz .LBB226_71
.LBB226_55:                             ;   in Loop: Header=BB226_43 Depth=1
	s_or_b64 exec, exec, s[38:39]
	s_and_saveexec_b64 s[38:39], s[26:27]
	s_cbranch_execz .LBB226_72
.LBB226_56:                             ;   in Loop: Header=BB226_43 Depth=1
	ds_read_b32 v9, v4 offset:20528
	s_waitcnt lgkmcnt(0)
	v_add_u32_e32 v7, v9, v7
	s_or_b64 exec, exec, s[38:39]
	s_and_saveexec_b64 s[38:39], s[28:29]
	s_cbranch_execnz .LBB226_73
.LBB226_57:                             ;   in Loop: Header=BB226_43 Depth=1
	s_or_b64 exec, exec, s[38:39]
	s_and_saveexec_b64 s[38:39], s[30:31]
	s_cbranch_execz .LBB226_74
.LBB226_58:                             ;   in Loop: Header=BB226_43 Depth=1
	ds_read_b32 v9, v4 offset:20536
	s_waitcnt lgkmcnt(0)
	v_add_u32_e32 v7, v9, v7
	s_or_b64 exec, exec, s[38:39]
	s_and_saveexec_b64 s[38:39], vcc
	s_cbranch_execnz .LBB226_75
.LBB226_59:                             ;   in Loop: Header=BB226_43 Depth=1
	s_or_b64 exec, exec, s[38:39]
	s_and_saveexec_b64 s[38:39], s[0:1]
	s_cbranch_execz .LBB226_42
	s_branch .LBB226_76
.LBB226_60:                             ;   in Loop: Header=BB226_43 Depth=1
	s_or_b64 exec, exec, s[38:39]
	s_and_saveexec_b64 s[38:39], s[4:5]
	s_cbranch_execz .LBB226_45
.LBB226_61:                             ;   in Loop: Header=BB226_43 Depth=1
	ds_read_b32 v9, v4 offset:20484
	s_waitcnt lgkmcnt(0)
	v_add_u32_e32 v7, v9, v7
	s_or_b64 exec, exec, s[38:39]
	s_and_saveexec_b64 s[38:39], s[6:7]
	s_cbranch_execnz .LBB226_46
.LBB226_62:                             ;   in Loop: Header=BB226_43 Depth=1
	s_or_b64 exec, exec, s[38:39]
	s_and_saveexec_b64 s[38:39], s[8:9]
	s_cbranch_execz .LBB226_47
.LBB226_63:                             ;   in Loop: Header=BB226_43 Depth=1
	ds_read_b32 v9, v4 offset:20492
	s_waitcnt lgkmcnt(0)
	v_add_u32_e32 v7, v9, v7
	s_or_b64 exec, exec, s[38:39]
	s_and_saveexec_b64 s[38:39], s[10:11]
	s_cbranch_execnz .LBB226_48
.LBB226_64:                             ;   in Loop: Header=BB226_43 Depth=1
	s_or_b64 exec, exec, s[38:39]
	s_and_saveexec_b64 s[38:39], s[12:13]
	s_cbranch_execz .LBB226_49
.LBB226_65:                             ;   in Loop: Header=BB226_43 Depth=1
	ds_read_b32 v9, v4 offset:20500
	s_waitcnt lgkmcnt(0)
	v_add_u32_e32 v7, v9, v7
	s_or_b64 exec, exec, s[38:39]
	s_and_saveexec_b64 s[38:39], s[14:15]
	s_cbranch_execnz .LBB226_50
.LBB226_66:                             ;   in Loop: Header=BB226_43 Depth=1
	s_or_b64 exec, exec, s[38:39]
	s_and_saveexec_b64 s[38:39], s[16:17]
	s_cbranch_execz .LBB226_51
.LBB226_67:                             ;   in Loop: Header=BB226_43 Depth=1
	ds_read_b32 v9, v4 offset:20508
	s_waitcnt lgkmcnt(0)
	v_add_u32_e32 v7, v9, v7
	s_or_b64 exec, exec, s[38:39]
	s_and_saveexec_b64 s[38:39], s[18:19]
	s_cbranch_execnz .LBB226_52
.LBB226_68:                             ;   in Loop: Header=BB226_43 Depth=1
	s_or_b64 exec, exec, s[38:39]
	s_and_saveexec_b64 s[38:39], s[20:21]
	s_cbranch_execz .LBB226_53
.LBB226_69:                             ;   in Loop: Header=BB226_43 Depth=1
	ds_read_b32 v9, v4 offset:20516
	s_waitcnt lgkmcnt(0)
	v_add_u32_e32 v7, v9, v7
	s_or_b64 exec, exec, s[38:39]
	s_and_saveexec_b64 s[38:39], s[22:23]
	s_cbranch_execnz .LBB226_54
.LBB226_70:                             ;   in Loop: Header=BB226_43 Depth=1
	s_or_b64 exec, exec, s[38:39]
	s_and_saveexec_b64 s[38:39], s[24:25]
	s_cbranch_execz .LBB226_55
.LBB226_71:                             ;   in Loop: Header=BB226_43 Depth=1
	ds_read_b32 v9, v4 offset:20524
	s_waitcnt lgkmcnt(0)
	v_add_u32_e32 v7, v9, v7
	s_or_b64 exec, exec, s[38:39]
	s_and_saveexec_b64 s[38:39], s[26:27]
	s_cbranch_execnz .LBB226_56
.LBB226_72:                             ;   in Loop: Header=BB226_43 Depth=1
	s_or_b64 exec, exec, s[38:39]
	s_and_saveexec_b64 s[38:39], s[28:29]
	s_cbranch_execz .LBB226_57
.LBB226_73:                             ;   in Loop: Header=BB226_43 Depth=1
	ds_read_b32 v9, v4 offset:20532
	s_waitcnt lgkmcnt(0)
	v_add_u32_e32 v7, v9, v7
	s_or_b64 exec, exec, s[38:39]
	s_and_saveexec_b64 s[38:39], s[30:31]
	s_cbranch_execnz .LBB226_58
.LBB226_74:                             ;   in Loop: Header=BB226_43 Depth=1
	s_or_b64 exec, exec, s[38:39]
	s_and_saveexec_b64 s[38:39], vcc
	s_cbranch_execz .LBB226_59
.LBB226_75:                             ;   in Loop: Header=BB226_43 Depth=1
	scratch_load_dwordx4 v[10:13], off, off
	v_add3_u32 v9, v6, -1, v7
	v_add_u32_e32 v14, v6, v7
	v_lshl_add_u32 v9, v9, 2, 0
	v_lshl_add_u32 v14, v14, 4, 0
	v_add_u32_e32 v14, 0xff0, v14
	ds_write_b32 v9, v8
	s_waitcnt vmcnt(0)
	ds_write2_b64 v14, v[10:11], v[12:13] offset1:1
	s_or_b64 exec, exec, s[38:39]
	s_and_saveexec_b64 s[38:39], s[0:1]
	s_cbranch_execz .LBB226_42
.LBB226_76:                             ;   in Loop: Header=BB226_43 Depth=1
	ds_write_b32 v4, v7 offset:20540
	s_branch .LBB226_42
.LBB226_77:
	s_or_b64 exec, exec, s[36:37]
	s_ashr_i32 s49, s48, 31
	s_lshl_b64 s[0:1], s[48:49], 3
	s_add_u32 s4, s42, s0
	s_addc_u32 s5, s43, s1
	s_load_dwordx4 s[0:3], s[4:5], 0x0
	s_waitcnt lgkmcnt(0)
	s_sub_i32 s8, s2, s0
	v_cmp_gt_i32_e32 vcc, s8, v0
	s_and_saveexec_b64 s[4:5], vcc
	s_cbranch_execz .LBB226_87
; %bb.78:
	s_sub_u32 s4, s0, s46
	s_subb_u32 s5, s1, 0
	s_and_b32 s10, s8, 7
	s_sub_i32 s0, s0, s2
	s_cmp_lt_u32 s0, -7
	s_cselect_b64 s[0:1], -1, 0
	s_and_b32 s11, s8, -8
	s_cmp_lg_u32 s10, 0
	v_cndmask_b32_e64 v1, 0, 1, s[0:1]
	s_cselect_b64 s[2:3], -1, 0
	v_cmp_ne_u32_e64 s[0:1], 1, v1
	v_cndmask_b32_e64 v1, 0, 1, s[2:3]
	s_mov_b32 s9, 0
	s_mov_b64 s[6:7], 0
	v_cmp_ne_u32_e64 s[2:3], 1, v1
	s_movk_i32 s12, 0x1000
	s_branch .LBB226_80
.LBB226_79:                             ;   in Loop: Header=BB226_80 Depth=1
	s_waitcnt lgkmcnt(0)
	v_mul_lo_u32 v4, v0, 12
	v_add3_u32 v1, v1, v4, s12
	ds_read2_b64 v[4:7], v1 offset1:1
	v_add_u32_e32 v0, 0x200, v0
	v_cmp_le_i32_e32 vcc, s8, v0
	v_lshl_add_u64 v[2:3], v[2:3], 4, s[34:35]
	s_or_b64 s[6:7], vcc, s[6:7]
	s_waitcnt lgkmcnt(0)
	global_store_dwordx4 v[2:3], v[4:7], off
	s_andn2_b64 exec, exec, s[6:7]
	s_cbranch_execz .LBB226_87
.LBB226_80:                             ; =>This Loop Header: Depth=1
                                        ;     Child Loop BB226_82 Depth 2
                                        ;     Child Loop BB226_86 Depth 2
	v_lshl_add_u32 v1, v0, 2, 0
	ds_read_b32 v4, v1
	s_and_b64 vcc, exec, s[0:1]
	v_mov_b64_e32 v[2:3], s[4:5]
	s_mov_b32 s13, 0
	s_cbranch_vccnz .LBB226_84
; %bb.81:                               ;   in Loop: Header=BB226_80 Depth=1
	s_mov_b32 s14, 0
	v_mov_b64_e32 v[2:3], s[4:5]
.LBB226_82:                             ;   Parent Loop BB226_80 Depth=1
                                        ; =>  This Inner Loop Header: Depth=2
	v_mov_b32_e32 v5, s14
	ds_read2_b32 v[22:23], v5 offset1:1
	ds_read2_b32 v[24:25], v5 offset0:2 offset1:3
	ds_read2_b32 v[26:27], v5 offset0:4 offset1:5
	;; [unrolled: 1-line block ×3, first 2 shown]
	v_mov_b32_e32 v7, s9
	s_waitcnt lgkmcnt(3)
	v_cmp_gt_i32_e32 vcc, v4, v22
	v_mov_b32_e32 v9, s9
	v_mov_b32_e32 v11, s9
	v_cndmask_b32_e64 v6, 0, 1, vcc
	v_cmp_gt_i32_e32 vcc, v4, v23
	v_lshl_add_u64 v[2:3], v[2:3], 0, v[6:7]
	v_mov_b32_e32 v13, s9
	v_cndmask_b32_e64 v8, 0, 1, vcc
	s_waitcnt lgkmcnt(2)
	v_cmp_gt_i32_e32 vcc, v4, v24
	v_lshl_add_u64 v[2:3], v[2:3], 0, v[8:9]
	v_mov_b32_e32 v15, s9
	v_cndmask_b32_e64 v10, 0, 1, vcc
	v_cmp_gt_i32_e32 vcc, v4, v25
	v_lshl_add_u64 v[2:3], v[2:3], 0, v[10:11]
	v_mov_b32_e32 v17, s9
	v_cndmask_b32_e64 v12, 0, 1, vcc
	s_waitcnt lgkmcnt(1)
	v_cmp_gt_i32_e32 vcc, v4, v26
	v_lshl_add_u64 v[2:3], v[2:3], 0, v[12:13]
	;; [unrolled: 9-line block ×3, first 2 shown]
	s_add_i32 s13, s13, 8
	v_cndmask_b32_e64 v18, 0, 1, vcc
	v_cmp_gt_i32_e32 vcc, v4, v29
	s_add_i32 s14, s14, 32
	v_lshl_add_u64 v[2:3], v[2:3], 0, v[18:19]
	v_cndmask_b32_e64 v20, 0, 1, vcc
	s_cmp_eq_u32 s11, s13
	v_lshl_add_u64 v[2:3], v[2:3], 0, v[20:21]
	s_cbranch_scc0 .LBB226_82
; %bb.83:                               ;   in Loop: Header=BB226_80 Depth=1
	s_mov_b32 s13, s11
.LBB226_84:                             ;   in Loop: Header=BB226_80 Depth=1
	s_and_b64 vcc, exec, s[2:3]
	s_cbranch_vccnz .LBB226_79
; %bb.85:                               ;   in Loop: Header=BB226_80 Depth=1
	s_lshl_b32 s13, s13, 2
	s_add_i32 s13, s13, 0
	s_mov_b32 s14, s10
.LBB226_86:                             ;   Parent Loop BB226_80 Depth=1
                                        ; =>  This Inner Loop Header: Depth=2
	v_mov_b32_e32 v5, s13
	ds_read_b32 v5, v5
	v_mov_b32_e32 v7, s9
	s_add_i32 s13, s13, 4
	s_add_i32 s14, s14, -1
	s_cmp_lg_u32 s14, 0
	s_waitcnt lgkmcnt(0)
	v_cmp_gt_i32_e32 vcc, v4, v5
	s_nop 1
	v_cndmask_b32_e64 v6, 0, 1, vcc
	v_lshl_add_u64 v[2:3], v[2:3], 0, v[6:7]
	s_cbranch_scc1 .LBB226_86
	s_branch .LBB226_79
.LBB226_87:
	s_endpgm
	.section	.rodata,"a",@progbits
	.p2align	6, 0x0
	.amdhsa_kernel _ZN9rocsparseL41csrgemm_numeric_fill_block_per_row_kernelILj512ELj32ELj1024ELj137ELj32Eli21rocsparse_complex_numIdEEEvT5_PKS3_S5_NS_24const_host_device_scalarIT6_EEPKT4_S5_PKS7_SB_S5_SD_S8_SB_S5_SD_SB_S5_PS7_21rocsparse_index_base_SF_SF_SF_bbb
		.amdhsa_group_segment_fixed_size 0
		.amdhsa_private_segment_fixed_size 40
		.amdhsa_kernarg_size 172
		.amdhsa_user_sgpr_count 2
		.amdhsa_user_sgpr_dispatch_ptr 0
		.amdhsa_user_sgpr_queue_ptr 0
		.amdhsa_user_sgpr_kernarg_segment_ptr 1
		.amdhsa_user_sgpr_dispatch_id 0
		.amdhsa_user_sgpr_kernarg_preload_length 0
		.amdhsa_user_sgpr_kernarg_preload_offset 0
		.amdhsa_user_sgpr_private_segment_size 0
		.amdhsa_uses_dynamic_stack 0
		.amdhsa_enable_private_segment 1
		.amdhsa_system_sgpr_workgroup_id_x 1
		.amdhsa_system_sgpr_workgroup_id_y 0
		.amdhsa_system_sgpr_workgroup_id_z 0
		.amdhsa_system_sgpr_workgroup_info 0
		.amdhsa_system_vgpr_workitem_id 0
		.amdhsa_next_free_vgpr 33
		.amdhsa_next_free_sgpr 51
		.amdhsa_accum_offset 36
		.amdhsa_reserve_vcc 1
		.amdhsa_float_round_mode_32 0
		.amdhsa_float_round_mode_16_64 0
		.amdhsa_float_denorm_mode_32 3
		.amdhsa_float_denorm_mode_16_64 3
		.amdhsa_dx10_clamp 1
		.amdhsa_ieee_mode 1
		.amdhsa_fp16_overflow 0
		.amdhsa_tg_split 0
		.amdhsa_exception_fp_ieee_invalid_op 0
		.amdhsa_exception_fp_denorm_src 0
		.amdhsa_exception_fp_ieee_div_zero 0
		.amdhsa_exception_fp_ieee_overflow 0
		.amdhsa_exception_fp_ieee_underflow 0
		.amdhsa_exception_fp_ieee_inexact 0
		.amdhsa_exception_int_div_zero 0
	.end_amdhsa_kernel
	.section	.text._ZN9rocsparseL41csrgemm_numeric_fill_block_per_row_kernelILj512ELj32ELj1024ELj137ELj32Eli21rocsparse_complex_numIdEEEvT5_PKS3_S5_NS_24const_host_device_scalarIT6_EEPKT4_S5_PKS7_SB_S5_SD_S8_SB_S5_SD_SB_S5_PS7_21rocsparse_index_base_SF_SF_SF_bbb,"axG",@progbits,_ZN9rocsparseL41csrgemm_numeric_fill_block_per_row_kernelILj512ELj32ELj1024ELj137ELj32Eli21rocsparse_complex_numIdEEEvT5_PKS3_S5_NS_24const_host_device_scalarIT6_EEPKT4_S5_PKS7_SB_S5_SD_S8_SB_S5_SD_SB_S5_PS7_21rocsparse_index_base_SF_SF_SF_bbb,comdat
.Lfunc_end226:
	.size	_ZN9rocsparseL41csrgemm_numeric_fill_block_per_row_kernelILj512ELj32ELj1024ELj137ELj32Eli21rocsparse_complex_numIdEEEvT5_PKS3_S5_NS_24const_host_device_scalarIT6_EEPKT4_S5_PKS7_SB_S5_SD_S8_SB_S5_SD_SB_S5_PS7_21rocsparse_index_base_SF_SF_SF_bbb, .Lfunc_end226-_ZN9rocsparseL41csrgemm_numeric_fill_block_per_row_kernelILj512ELj32ELj1024ELj137ELj32Eli21rocsparse_complex_numIdEEEvT5_PKS3_S5_NS_24const_host_device_scalarIT6_EEPKT4_S5_PKS7_SB_S5_SD_S8_SB_S5_SD_SB_S5_PS7_21rocsparse_index_base_SF_SF_SF_bbb
                                        ; -- End function
	.set _ZN9rocsparseL41csrgemm_numeric_fill_block_per_row_kernelILj512ELj32ELj1024ELj137ELj32Eli21rocsparse_complex_numIdEEEvT5_PKS3_S5_NS_24const_host_device_scalarIT6_EEPKT4_S5_PKS7_SB_S5_SD_S8_SB_S5_SD_SB_S5_PS7_21rocsparse_index_base_SF_SF_SF_bbb.num_vgpr, 33
	.set _ZN9rocsparseL41csrgemm_numeric_fill_block_per_row_kernelILj512ELj32ELj1024ELj137ELj32Eli21rocsparse_complex_numIdEEEvT5_PKS3_S5_NS_24const_host_device_scalarIT6_EEPKT4_S5_PKS7_SB_S5_SD_S8_SB_S5_SD_SB_S5_PS7_21rocsparse_index_base_SF_SF_SF_bbb.num_agpr, 0
	.set _ZN9rocsparseL41csrgemm_numeric_fill_block_per_row_kernelILj512ELj32ELj1024ELj137ELj32Eli21rocsparse_complex_numIdEEEvT5_PKS3_S5_NS_24const_host_device_scalarIT6_EEPKT4_S5_PKS7_SB_S5_SD_S8_SB_S5_SD_SB_S5_PS7_21rocsparse_index_base_SF_SF_SF_bbb.numbered_sgpr, 51
	.set _ZN9rocsparseL41csrgemm_numeric_fill_block_per_row_kernelILj512ELj32ELj1024ELj137ELj32Eli21rocsparse_complex_numIdEEEvT5_PKS3_S5_NS_24const_host_device_scalarIT6_EEPKT4_S5_PKS7_SB_S5_SD_S8_SB_S5_SD_SB_S5_PS7_21rocsparse_index_base_SF_SF_SF_bbb.num_named_barrier, 0
	.set _ZN9rocsparseL41csrgemm_numeric_fill_block_per_row_kernelILj512ELj32ELj1024ELj137ELj32Eli21rocsparse_complex_numIdEEEvT5_PKS3_S5_NS_24const_host_device_scalarIT6_EEPKT4_S5_PKS7_SB_S5_SD_S8_SB_S5_SD_SB_S5_PS7_21rocsparse_index_base_SF_SF_SF_bbb.private_seg_size, 40
	.set _ZN9rocsparseL41csrgemm_numeric_fill_block_per_row_kernelILj512ELj32ELj1024ELj137ELj32Eli21rocsparse_complex_numIdEEEvT5_PKS3_S5_NS_24const_host_device_scalarIT6_EEPKT4_S5_PKS7_SB_S5_SD_S8_SB_S5_SD_SB_S5_PS7_21rocsparse_index_base_SF_SF_SF_bbb.uses_vcc, 1
	.set _ZN9rocsparseL41csrgemm_numeric_fill_block_per_row_kernelILj512ELj32ELj1024ELj137ELj32Eli21rocsparse_complex_numIdEEEvT5_PKS3_S5_NS_24const_host_device_scalarIT6_EEPKT4_S5_PKS7_SB_S5_SD_S8_SB_S5_SD_SB_S5_PS7_21rocsparse_index_base_SF_SF_SF_bbb.uses_flat_scratch, 0
	.set _ZN9rocsparseL41csrgemm_numeric_fill_block_per_row_kernelILj512ELj32ELj1024ELj137ELj32Eli21rocsparse_complex_numIdEEEvT5_PKS3_S5_NS_24const_host_device_scalarIT6_EEPKT4_S5_PKS7_SB_S5_SD_S8_SB_S5_SD_SB_S5_PS7_21rocsparse_index_base_SF_SF_SF_bbb.has_dyn_sized_stack, 0
	.set _ZN9rocsparseL41csrgemm_numeric_fill_block_per_row_kernelILj512ELj32ELj1024ELj137ELj32Eli21rocsparse_complex_numIdEEEvT5_PKS3_S5_NS_24const_host_device_scalarIT6_EEPKT4_S5_PKS7_SB_S5_SD_S8_SB_S5_SD_SB_S5_PS7_21rocsparse_index_base_SF_SF_SF_bbb.has_recursion, 0
	.set _ZN9rocsparseL41csrgemm_numeric_fill_block_per_row_kernelILj512ELj32ELj1024ELj137ELj32Eli21rocsparse_complex_numIdEEEvT5_PKS3_S5_NS_24const_host_device_scalarIT6_EEPKT4_S5_PKS7_SB_S5_SD_S8_SB_S5_SD_SB_S5_PS7_21rocsparse_index_base_SF_SF_SF_bbb.has_indirect_call, 0
	.section	.AMDGPU.csdata,"",@progbits
; Kernel info:
; codeLenInByte = 3288
; TotalNumSgprs: 57
; NumVgprs: 33
; NumAgprs: 0
; TotalNumVgprs: 33
; ScratchSize: 40
; MemoryBound: 0
; FloatMode: 240
; IeeeMode: 1
; LDSByteSize: 0 bytes/workgroup (compile time only)
; SGPRBlocks: 7
; VGPRBlocks: 4
; NumSGPRsForWavesPerEU: 57
; NumVGPRsForWavesPerEU: 33
; AccumOffset: 36
; Occupancy: 8
; WaveLimiterHint : 1
; COMPUTE_PGM_RSRC2:SCRATCH_EN: 1
; COMPUTE_PGM_RSRC2:USER_SGPR: 2
; COMPUTE_PGM_RSRC2:TRAP_HANDLER: 0
; COMPUTE_PGM_RSRC2:TGID_X_EN: 1
; COMPUTE_PGM_RSRC2:TGID_Y_EN: 0
; COMPUTE_PGM_RSRC2:TGID_Z_EN: 0
; COMPUTE_PGM_RSRC2:TIDIG_COMP_CNT: 0
; COMPUTE_PGM_RSRC3_GFX90A:ACCUM_OFFSET: 8
; COMPUTE_PGM_RSRC3_GFX90A:TG_SPLIT: 0
	.section	.text._ZN9rocsparseL41csrgemm_numeric_fill_block_per_row_kernelILj512ELj32ELj1024ELj137ELj64Eli21rocsparse_complex_numIdEEEvT5_PKS3_S5_NS_24const_host_device_scalarIT6_EEPKT4_S5_PKS7_SB_S5_SD_S8_SB_S5_SD_SB_S5_PS7_21rocsparse_index_base_SF_SF_SF_bbb,"axG",@progbits,_ZN9rocsparseL41csrgemm_numeric_fill_block_per_row_kernelILj512ELj32ELj1024ELj137ELj64Eli21rocsparse_complex_numIdEEEvT5_PKS3_S5_NS_24const_host_device_scalarIT6_EEPKT4_S5_PKS7_SB_S5_SD_S8_SB_S5_SD_SB_S5_PS7_21rocsparse_index_base_SF_SF_SF_bbb,comdat
	.globl	_ZN9rocsparseL41csrgemm_numeric_fill_block_per_row_kernelILj512ELj32ELj1024ELj137ELj64Eli21rocsparse_complex_numIdEEEvT5_PKS3_S5_NS_24const_host_device_scalarIT6_EEPKT4_S5_PKS7_SB_S5_SD_S8_SB_S5_SD_SB_S5_PS7_21rocsparse_index_base_SF_SF_SF_bbb ; -- Begin function _ZN9rocsparseL41csrgemm_numeric_fill_block_per_row_kernelILj512ELj32ELj1024ELj137ELj64Eli21rocsparse_complex_numIdEEEvT5_PKS3_S5_NS_24const_host_device_scalarIT6_EEPKT4_S5_PKS7_SB_S5_SD_S8_SB_S5_SD_SB_S5_PS7_21rocsparse_index_base_SF_SF_SF_bbb
	.p2align	8
	.type	_ZN9rocsparseL41csrgemm_numeric_fill_block_per_row_kernelILj512ELj32ELj1024ELj137ELj64Eli21rocsparse_complex_numIdEEEvT5_PKS3_S5_NS_24const_host_device_scalarIT6_EEPKT4_S5_PKS7_SB_S5_SD_S8_SB_S5_SD_SB_S5_PS7_21rocsparse_index_base_SF_SF_SF_bbb,@function
_ZN9rocsparseL41csrgemm_numeric_fill_block_per_row_kernelILj512ELj32ELj1024ELj137ELj64Eli21rocsparse_complex_numIdEEEvT5_PKS3_S5_NS_24const_host_device_scalarIT6_EEPKT4_S5_PKS7_SB_S5_SD_S8_SB_S5_SD_SB_S5_PS7_21rocsparse_index_base_SF_SF_SF_bbb: ; @_ZN9rocsparseL41csrgemm_numeric_fill_block_per_row_kernelILj512ELj32ELj1024ELj137ELj64Eli21rocsparse_complex_numIdEEEvT5_PKS3_S5_NS_24const_host_device_scalarIT6_EEPKT4_S5_PKS7_SB_S5_SD_S8_SB_S5_SD_SB_S5_PS7_21rocsparse_index_base_SF_SF_SF_bbb
; %bb.0:
	s_load_dword s3, s[0:1], 0xa8
	s_load_dwordx4 s[28:31], s[0:1], 0x98
	s_load_dwordx4 s[8:11], s[0:1], 0x18
	;; [unrolled: 1-line block ×3, first 2 shown]
	v_mov_b64_e32 v[6:7], 0
	s_waitcnt lgkmcnt(0)
	s_bitcmp1_b32 s3, 0
	s_cselect_b64 s[44:45], -1, 0
	s_bitcmp1_b32 s3, 16
	s_cselect_b64 s[46:47], -1, 0
	s_xor_b64 s[4:5], s[46:47], -1
	v_mov_b64_e32 v[2:3], s[8:9]
	v_cndmask_b32_e64 v1, 0, 1, s[4:5]
	scratch_store_dwordx2 off, v[2:3], off offset:16
	v_mov_b64_e32 v[2:3], s[40:41]
	s_bitcmp0_b32 s3, 0
	v_cmp_ne_u32_e64 s[4:5], 1, v1
	v_mov_b64_e32 v[10:11], 0
	v_mov_b64_e32 v[12:13], 0
	scratch_store_dwordx2 off, v[2:3], off offset:24
	s_cbranch_scc1 .LBB227_3
; %bb.1:
	s_mov_b64 s[6:7], src_private_base
	s_and_b64 s[12:13], s[46:47], exec
	s_cselect_b32 s6, s7, s9
	s_cselect_b32 s7, 16, s8
	v_mov_b32_e32 v2, s7
	v_mov_b32_e32 v3, s6
	flat_load_dwordx2 v[10:11], v[2:3]
	s_and_b64 vcc, exec, s[4:5]
	v_mov_b64_e32 v[12:13], s[10:11]
	s_cbranch_vccnz .LBB227_3
; %bb.2:
	v_mov_b64_e32 v[2:3], s[8:9]
	flat_load_dwordx2 v[12:13], v[2:3] offset:8
.LBB227_3:
	s_load_dwordx2 s[34:35], s[0:1], 0x90
	s_load_dwordx8 s[12:19], s[0:1], 0x68
	s_load_dwordx4 s[8:11], s[0:1], 0x48
	s_load_dwordx4 s[36:39], s[0:1], 0x8
	s_load_dwordx8 s[20:27], s[0:1], 0x28
	s_bitcmp1_b32 s3, 8
	s_cselect_b64 s[6:7], -1, 0
	s_bfe_u32 s3, s3, 0x10008
	s_cmp_eq_u32 s3, 0
	v_mov_b64_e32 v[8:9], 0
	s_cbranch_scc1 .LBB227_6
; %bb.4:
	s_mov_b64 s[48:49], src_private_base
	s_and_b64 s[46:47], s[46:47], exec
	s_cselect_b32 s3, s49, s41
	s_cselect_b32 s33, 24, s40
	v_mov_b32_e32 v2, s33
	v_mov_b32_e32 v3, s3
	flat_load_dwordx2 v[8:9], v[2:3]
	s_and_b64 vcc, exec, s[4:5]
	v_mov_b64_e32 v[6:7], s[42:43]
	s_cbranch_vccnz .LBB227_6
; %bb.5:
	v_mov_b64_e32 v[2:3], s[40:41]
	flat_load_dwordx2 v[6:7], v[2:3] offset:8
.LBB227_6:
	s_load_dword s33, s[0:1], 0x0
	s_mov_b32 s4, 0
	v_lshl_add_u32 v1, v0, 4, 0
	v_add_u32_e32 v1, 0x1000, v1
	v_or_b32_e32 v26, 0xfffffe00, v0
	v_lshl_add_u32 v27, v0, 2, 0
	s_mov_b32 s5, s4
	s_mov_b32 s40, s4
	;; [unrolled: 1-line block ×3, first 2 shown]
	s_mov_b64 s[0:1], 0
	s_waitcnt lgkmcnt(0)
	v_mov_b32_e32 v17, s33
	v_mov_b64_e32 v[2:3], s[4:5]
	v_mov_b64_e32 v[4:5], s[40:41]
	v_mov_b32_e32 v14, v27
	v_mov_b32_e32 v15, v26
	;; [unrolled: 1-line block ×3, first 2 shown]
.LBB227_7:                              ; =>This Inner Loop Header: Depth=1
	v_add_co_u32_e32 v15, vcc, 0x200, v15
	s_xor_b64 s[4:5], vcc, -1
	s_and_b64 s[4:5], exec, s[4:5]
	ds_write_b32 v14, v17
	ds_write2_b64 v16, v[2:3], v[4:5] offset1:1
	v_add_u32_e32 v16, 0x2000, v16
	s_or_b64 s[0:1], s[4:5], s[0:1]
	v_add_u32_e32 v14, 0x800, v14
	s_andn2_b64 exec, exec, s[0:1]
	s_cbranch_execnz .LBB227_7
; %bb.8:
	s_or_b64 exec, exec, s[0:1]
	s_waitcnt lgkmcnt(0)
	s_barrier
	s_load_dword s0, s[36:37], 0x0
	s_mov_b32 s1, 0
	s_waitcnt lgkmcnt(0)
	s_add_i32 s0, s0, s2
	s_lshl_b64 s[0:1], s[0:1], 2
	s_add_u32 s0, s38, s0
	s_addc_u32 s1, s39, s1
	s_load_dword s36, s[0:1], 0x0
	s_and_b64 vcc, exec, s[44:45]
	s_cbranch_vccz .LBB227_26
; %bb.9:
	s_waitcnt lgkmcnt(0)
	s_ashr_i32 s37, s36, 31
	s_lshl_b64 s[0:1], s[36:37], 3
	s_add_u32 s0, s20, s0
	s_addc_u32 s1, s21, s1
	s_load_dwordx4 s[40:43], s[0:1], 0x0
	v_lshrrev_b32_e32 v2, 5, v0
	v_subrev_co_u32_e32 v2, vcc, s28, v2
	s_waitcnt lgkmcnt(0)
	s_sub_u32 s0, s42, s28
	v_subb_co_u32_e64 v3, s[2:3], 0, 0, vcc
	s_subb_u32 s1, s43, 0
	v_lshl_add_u64 v[14:15], s[40:41], 0, v[2:3]
	v_cmp_gt_i64_e32 vcc, s[0:1], v[14:15]
	s_and_saveexec_b64 s[2:3], vcc
	s_cbranch_execz .LBB227_25
; %bb.10:
	v_and_b32_e32 v2, 31, v0
	v_subrev_co_u32_e32 v16, vcc, s29, v2
	s_mov_b32 s37, s29
	s_nop 0
	v_subb_co_u32_e64 v17, s[4:5], 0, 0, vcc
	s_mov_b64 s[4:5], 0
	s_movk_i32 s50, 0x89
	s_branch .LBB227_12
.LBB227_11:                             ;   in Loop: Header=BB227_12 Depth=1
	s_or_b64 exec, exec, s[20:21]
	v_lshl_add_u64 v[14:15], v[14:15], 0, 16
	v_cmp_le_i64_e32 vcc, s[0:1], v[14:15]
	s_or_b64 s[4:5], vcc, s[4:5]
	s_andn2_b64 exec, exec, s[4:5]
	s_cbranch_execz .LBB227_25
.LBB227_12:                             ; =>This Loop Header: Depth=1
                                        ;     Child Loop BB227_16 Depth 2
                                        ;       Child Loop BB227_19 Depth 3
	v_lshl_add_u64 v[2:3], v[14:15], 2, s[22:23]
	global_load_dword v2, v[2:3], off
	s_waitcnt vmcnt(0)
	v_subrev_u32_e32 v2, s28, v2
	v_ashrrev_i32_e32 v3, 31, v2
	v_lshl_add_u64 v[2:3], v[2:3], 3, s[26:27]
	global_load_dwordx4 v[2:5], v[2:3], off
	s_waitcnt vmcnt(0)
	v_subrev_co_u32_e32 v18, vcc, s37, v4
	s_nop 1
	v_subbrev_co_u32_e32 v19, vcc, 0, v5, vcc
	v_lshl_add_u64 v[20:21], v[2:3], 0, v[16:17]
	v_cmp_lt_i64_e32 vcc, v[20:21], v[18:19]
	s_and_saveexec_b64 s[20:21], vcc
	s_cbranch_execz .LBB227_11
; %bb.13:                               ;   in Loop: Header=BB227_12 Depth=1
	v_lshl_add_u64 v[2:3], v[14:15], 4, s[24:25]
	global_load_dwordx4 v[2:5], v[2:3], off
	s_mov_b64 s[38:39], 0
	s_waitcnt vmcnt(0)
	v_mul_f64 v[22:23], v[4:5], -v[12:13]
	v_mul_f64 v[24:25], v[10:11], v[4:5]
	v_fmac_f64_e32 v[22:23], v[10:11], v[2:3]
	v_fmac_f64_e32 v[24:25], v[12:13], v[2:3]
	s_branch .LBB227_16
.LBB227_14:                             ;   in Loop: Header=BB227_16 Depth=2
	s_or_b64 exec, exec, s[42:43]
.LBB227_15:                             ;   in Loop: Header=BB227_16 Depth=2
	s_or_b64 exec, exec, s[40:41]
	s_waitcnt vmcnt(0)
	v_mul_f64 v[30:31], v[4:5], -v[24:25]
	v_mul_f64 v[4:5], v[22:23], v[4:5]
	v_fmac_f64_e32 v[30:31], v[22:23], v[2:3]
	v_fmac_f64_e32 v[4:5], v[24:25], v[2:3]
	v_lshl_add_u32 v2, v28, 4, 0
	ds_add_f64 v2, v[30:31] offset:4096
	ds_add_f64 v2, v[4:5] offset:4104
	v_lshl_add_u64 v[20:21], v[20:21], 0, 32
	v_cmp_ge_i64_e32 vcc, v[20:21], v[18:19]
	s_or_b64 s[38:39], vcc, s[38:39]
	s_andn2_b64 exec, exec, s[38:39]
	s_cbranch_execz .LBB227_11
.LBB227_16:                             ;   Parent Loop BB227_12 Depth=1
                                        ; =>  This Loop Header: Depth=2
                                        ;       Child Loop BB227_19 Depth 3
	v_lshl_add_u64 v[2:3], v[20:21], 2, s[8:9]
	global_load_dword v28, v[2:3], off
	v_lshl_add_u64 v[2:3], v[20:21], 4, s[10:11]
	global_load_dwordx4 v[2:5], v[2:3], off
	s_waitcnt vmcnt(1)
	v_subrev_u32_e32 v29, s29, v28
	v_mul_lo_u32 v28, v29, s50
	v_and_b32_e32 v28, 0x3ff, v28
	v_lshl_add_u32 v30, v28, 2, 0
	ds_read_b32 v31, v30
	s_waitcnt lgkmcnt(0)
	v_cmp_ne_u32_e32 vcc, v31, v29
	s_and_saveexec_b64 s[40:41], vcc
	s_cbranch_execz .LBB227_15
; %bb.17:                               ;   in Loop: Header=BB227_16 Depth=2
	s_mov_b64 s[42:43], 0
	s_branch .LBB227_19
.LBB227_18:                             ;   in Loop: Header=BB227_19 Depth=3
	s_or_b64 exec, exec, s[48:49]
	s_and_b64 s[44:45], exec, s[46:47]
	s_or_b64 s[42:43], s[44:45], s[42:43]
	s_andn2_b64 exec, exec, s[42:43]
	s_cbranch_execz .LBB227_14
.LBB227_19:                             ;   Parent Loop BB227_12 Depth=1
                                        ;     Parent Loop BB227_16 Depth=2
                                        ; =>    This Inner Loop Header: Depth=3
	v_cmp_ne_u32_e32 vcc, s33, v31
	s_mov_b64 s[44:45], 0
	s_and_saveexec_b64 s[46:47], vcc
	s_xor_b64 s[46:47], exec, s[46:47]
	s_cbranch_execz .LBB227_21
; %bb.20:                               ;   in Loop: Header=BB227_19 Depth=3
	v_add_u32_e32 v28, 1, v28
	s_mov_b64 s[44:45], exec
	v_and_b32_e32 v28, 0x3ff, v28
                                        ; implicit-def: $vgpr30
	s_andn2_saveexec_b64 s[46:47], s[46:47]
	s_cbranch_execz .LBB227_23
	s_branch .LBB227_22
.LBB227_21:                             ;   in Loop: Header=BB227_19 Depth=3
	s_andn2_saveexec_b64 s[46:47], s[46:47]
	s_cbranch_execz .LBB227_23
.LBB227_22:                             ;   in Loop: Header=BB227_19 Depth=3
	v_mov_b32_e32 v31, s33
	ds_cmpst_rtn_b32 v30, v30, v31, v29
	s_andn2_b64 s[44:45], s[44:45], exec
	s_waitcnt lgkmcnt(0)
	v_cmp_ne_u32_e32 vcc, s33, v30
	s_and_b64 s[48:49], vcc, exec
	s_or_b64 s[44:45], s[44:45], s[48:49]
.LBB227_23:                             ;   in Loop: Header=BB227_19 Depth=3
	s_or_b64 exec, exec, s[46:47]
	s_mov_b64 s[46:47], -1
                                        ; implicit-def: $vgpr30
                                        ; implicit-def: $vgpr31
	s_and_saveexec_b64 s[48:49], s[44:45]
	s_cbranch_execz .LBB227_18
; %bb.24:                               ;   in Loop: Header=BB227_19 Depth=3
	v_lshl_add_u32 v30, v28, 2, 0
	ds_read_b32 v31, v30
	s_waitcnt lgkmcnt(0)
	v_cmp_eq_u32_e32 vcc, v31, v29
	s_orn2_b64 s[46:47], vcc, exec
	s_branch .LBB227_18
.LBB227_25:
	s_or_b64 exec, exec, s[2:3]
.LBB227_26:
	s_andn2_b64 vcc, exec, s[6:7]
	s_cbranch_vccnz .LBB227_41
; %bb.27:
	s_waitcnt lgkmcnt(0)
	s_ashr_i32 s37, s36, 31
	s_lshl_b64 s[0:1], s[36:37], 3
	s_add_u32 s0, s12, s0
	s_addc_u32 s1, s13, s1
	s_load_dwordx4 s[4:7], s[0:1], 0x0
	v_subrev_co_u32_e32 v2, vcc, s31, v0
	s_nop 1
	v_subb_co_u32_e64 v3, s[0:1], 0, 0, vcc
	s_waitcnt lgkmcnt(0)
	s_sub_u32 s0, s6, s31
	s_subb_u32 s1, s7, 0
	s_waitcnt vmcnt(0)
	v_lshl_add_u64 v[10:11], s[4:5], 0, v[2:3]
	v_cmp_gt_i64_e32 vcc, s[0:1], v[10:11]
	s_and_saveexec_b64 s[2:3], vcc
	s_cbranch_execz .LBB227_40
; %bb.28:
	s_mov_b64 s[4:5], 0
	s_movk_i32 s24, 0x89
	s_mov_b64 s[6:7], 0x200
	s_branch .LBB227_31
.LBB227_29:                             ;   in Loop: Header=BB227_31 Depth=1
	s_or_b64 exec, exec, s[10:11]
.LBB227_30:                             ;   in Loop: Header=BB227_31 Depth=1
	s_or_b64 exec, exec, s[8:9]
	s_waitcnt vmcnt(0)
	v_mul_f64 v[14:15], v[4:5], -v[6:7]
	v_mul_f64 v[4:5], v[8:9], v[4:5]
	v_fmac_f64_e32 v[14:15], v[8:9], v[2:3]
	v_fmac_f64_e32 v[4:5], v[6:7], v[2:3]
	v_lshl_add_u32 v2, v12, 4, 0
	ds_add_f64 v2, v[14:15] offset:4096
	ds_add_f64 v2, v[4:5] offset:4104
	v_lshl_add_u64 v[10:11], v[10:11], 0, s[6:7]
	v_cmp_le_i64_e32 vcc, s[0:1], v[10:11]
	s_or_b64 s[4:5], vcc, s[4:5]
	s_andn2_b64 exec, exec, s[4:5]
	s_cbranch_execz .LBB227_40
.LBB227_31:                             ; =>This Loop Header: Depth=1
                                        ;     Child Loop BB227_34 Depth 2
	v_lshl_add_u64 v[2:3], v[10:11], 2, s[14:15]
	global_load_dword v12, v[2:3], off
	v_lshl_add_u64 v[2:3], v[10:11], 4, s[16:17]
	global_load_dwordx4 v[2:5], v[2:3], off
	s_waitcnt vmcnt(1)
	v_subrev_u32_e32 v13, s31, v12
	v_mul_lo_u32 v12, v13, s24
	v_and_b32_e32 v12, 0x3ff, v12
	v_lshl_add_u32 v14, v12, 2, 0
	ds_read_b32 v15, v14
	s_waitcnt lgkmcnt(0)
	v_cmp_ne_u32_e32 vcc, v15, v13
	s_and_saveexec_b64 s[8:9], vcc
	s_cbranch_execz .LBB227_30
; %bb.32:                               ;   in Loop: Header=BB227_31 Depth=1
	s_mov_b64 s[10:11], 0
	s_branch .LBB227_34
.LBB227_33:                             ;   in Loop: Header=BB227_34 Depth=2
	s_or_b64 exec, exec, s[22:23]
	s_and_b64 s[12:13], exec, s[20:21]
	s_or_b64 s[10:11], s[12:13], s[10:11]
	s_andn2_b64 exec, exec, s[10:11]
	s_cbranch_execz .LBB227_29
.LBB227_34:                             ;   Parent Loop BB227_31 Depth=1
                                        ; =>  This Inner Loop Header: Depth=2
	v_cmp_ne_u32_e32 vcc, s33, v15
	s_mov_b64 s[12:13], 0
	s_and_saveexec_b64 s[20:21], vcc
	s_xor_b64 s[20:21], exec, s[20:21]
	s_cbranch_execz .LBB227_36
; %bb.35:                               ;   in Loop: Header=BB227_34 Depth=2
	v_add_u32_e32 v12, 1, v12
	s_mov_b64 s[12:13], exec
	v_and_b32_e32 v12, 0x3ff, v12
                                        ; implicit-def: $vgpr14
	s_andn2_saveexec_b64 s[20:21], s[20:21]
	s_cbranch_execz .LBB227_38
	s_branch .LBB227_37
.LBB227_36:                             ;   in Loop: Header=BB227_34 Depth=2
	s_andn2_saveexec_b64 s[20:21], s[20:21]
	s_cbranch_execz .LBB227_38
.LBB227_37:                             ;   in Loop: Header=BB227_34 Depth=2
	v_mov_b32_e32 v15, s33
	ds_cmpst_rtn_b32 v14, v14, v15, v13
	s_andn2_b64 s[12:13], s[12:13], exec
	s_waitcnt lgkmcnt(0)
	v_cmp_ne_u32_e32 vcc, s33, v14
	s_and_b64 s[22:23], vcc, exec
	s_or_b64 s[12:13], s[12:13], s[22:23]
.LBB227_38:                             ;   in Loop: Header=BB227_34 Depth=2
	s_or_b64 exec, exec, s[20:21]
	s_mov_b64 s[20:21], -1
                                        ; implicit-def: $vgpr14
                                        ; implicit-def: $vgpr15
	s_and_saveexec_b64 s[22:23], s[12:13]
	s_cbranch_execz .LBB227_33
; %bb.39:                               ;   in Loop: Header=BB227_34 Depth=2
	v_lshl_add_u32 v14, v12, 2, 0
	ds_read_b32 v15, v14
	s_waitcnt lgkmcnt(0)
	v_cmp_eq_u32_e32 vcc, v15, v13
	s_orn2_b64 s[20:21], vcc, exec
	s_branch .LBB227_33
.LBB227_40:
	s_or_b64 exec, exec, s[2:3]
.LBB227_41:
	v_mbcnt_lo_u32_b32 v2, -1, 0
	v_mbcnt_hi_u32_b32 v2, -1, v2
	v_lshrrev_b32_e32 v5, 4, v0
	v_sub_u32_e32 v2, 63, v2
	v_and_b32_e32 v5, 28, v5
	s_movk_i32 s0, 0x1ff
	s_movk_i32 s4, 0x7f
	;; [unrolled: 1-line block ×7, first 2 shown]
	v_mov_b32_e32 v4, 0
	v_lshrrev_b64 v[2:3], v2, -1
	v_add_u32_e32 v5, 0, v5
	v_cmp_eq_u32_e64 s[0:1], s0, v0
	v_cmp_lt_u32_e64 s[2:3], 63, v0
	v_cmp_lt_u32_e64 s[4:5], s4, v0
	v_cmp_lt_u32_e64 s[6:7], s6, v0
	v_cmp_lt_u32_e64 s[8:9], s8, v0
	v_cmp_lt_u32_e64 s[10:11], s10, v0
	v_cmp_lt_u32_e64 s[12:13], s12, v0
	v_cmp_lt_u32_e64 s[14:15], s14, v0
	s_mov_b64 s[16:17], 0
	s_waitcnt vmcnt(0)
	v_mov_b32_e32 v6, 0
	s_waitcnt lgkmcnt(0)
	s_barrier
	s_branch .LBB227_43
.LBB227_42:                             ;   in Loop: Header=BB227_43 Depth=1
	s_or_b64 exec, exec, s[20:21]
	s_waitcnt lgkmcnt(0)
	s_barrier
	ds_read_b32 v7, v4 offset:20508
	v_add_co_u32_e32 v26, vcc, 0x200, v26
	s_xor_b64 s[20:21], vcc, -1
	s_and_b64 s[20:21], exec, s[20:21]
	v_add_u32_e32 v1, 0x2000, v1
	s_waitcnt lgkmcnt(0)
	v_add_u32_e32 v6, v7, v6
	s_or_b64 s[16:17], s[20:21], s[16:17]
	v_add_u32_e32 v27, 0x800, v27
	s_andn2_b64 exec, exec, s[16:17]
	s_cbranch_execz .LBB227_61
.LBB227_43:                             ; =>This Inner Loop Header: Depth=1
	ds_read2_b64 v[10:13], v1 offset1:1
	ds_read_b32 v8, v27
	s_waitcnt lgkmcnt(1)
	scratch_store_dwordx4 off, v[10:13], off
	s_waitcnt lgkmcnt(0)
	v_cmp_gt_i32_e32 vcc, s33, v8
	s_bcnt1_i32_b64 s20, vcc
	s_nop 0
	v_and_b32_e32 v9, vcc_lo, v2
	v_and_b32_e32 v7, vcc_hi, v3
	v_bcnt_u32_b32 v9, v9, 0
	v_bcnt_u32_b32 v7, v7, v9
	v_mov_b32_e32 v9, s20
	s_barrier
	ds_write_b32 v5, v9 offset:20480
	s_waitcnt lgkmcnt(0)
	s_barrier
	s_and_saveexec_b64 s[20:21], s[2:3]
	s_cbranch_execz .LBB227_52
; %bb.44:                               ;   in Loop: Header=BB227_43 Depth=1
	ds_read_b32 v9, v4 offset:20480
	s_waitcnt lgkmcnt(0)
	v_add_u32_e32 v7, v9, v7
	s_or_b64 exec, exec, s[20:21]
	s_and_saveexec_b64 s[20:21], s[4:5]
	s_cbranch_execnz .LBB227_53
.LBB227_45:                             ;   in Loop: Header=BB227_43 Depth=1
	s_or_b64 exec, exec, s[20:21]
	s_and_saveexec_b64 s[20:21], s[6:7]
	s_cbranch_execz .LBB227_54
.LBB227_46:                             ;   in Loop: Header=BB227_43 Depth=1
	ds_read_b32 v9, v4 offset:20488
	s_waitcnt lgkmcnt(0)
	v_add_u32_e32 v7, v9, v7
	s_or_b64 exec, exec, s[20:21]
	s_and_saveexec_b64 s[20:21], s[8:9]
	s_cbranch_execnz .LBB227_55
.LBB227_47:                             ;   in Loop: Header=BB227_43 Depth=1
	s_or_b64 exec, exec, s[20:21]
	s_and_saveexec_b64 s[20:21], s[10:11]
	s_cbranch_execz .LBB227_56
.LBB227_48:                             ;   in Loop: Header=BB227_43 Depth=1
	ds_read_b32 v9, v4 offset:20496
	s_waitcnt lgkmcnt(0)
	v_add_u32_e32 v7, v9, v7
	s_or_b64 exec, exec, s[20:21]
	s_and_saveexec_b64 s[20:21], s[12:13]
	s_cbranch_execnz .LBB227_57
.LBB227_49:                             ;   in Loop: Header=BB227_43 Depth=1
	s_or_b64 exec, exec, s[20:21]
	s_and_saveexec_b64 s[20:21], s[14:15]
	s_cbranch_execz .LBB227_58
.LBB227_50:                             ;   in Loop: Header=BB227_43 Depth=1
	ds_read_b32 v9, v4 offset:20504
	s_waitcnt lgkmcnt(0)
	v_add_u32_e32 v7, v9, v7
	s_or_b64 exec, exec, s[20:21]
	s_and_saveexec_b64 s[20:21], vcc
	s_cbranch_execnz .LBB227_59
.LBB227_51:                             ;   in Loop: Header=BB227_43 Depth=1
	s_or_b64 exec, exec, s[20:21]
	s_and_saveexec_b64 s[20:21], s[0:1]
	s_cbranch_execz .LBB227_42
	s_branch .LBB227_60
.LBB227_52:                             ;   in Loop: Header=BB227_43 Depth=1
	s_or_b64 exec, exec, s[20:21]
	s_and_saveexec_b64 s[20:21], s[4:5]
	s_cbranch_execz .LBB227_45
.LBB227_53:                             ;   in Loop: Header=BB227_43 Depth=1
	ds_read_b32 v9, v4 offset:20484
	s_waitcnt lgkmcnt(0)
	v_add_u32_e32 v7, v9, v7
	s_or_b64 exec, exec, s[20:21]
	s_and_saveexec_b64 s[20:21], s[6:7]
	s_cbranch_execnz .LBB227_46
.LBB227_54:                             ;   in Loop: Header=BB227_43 Depth=1
	s_or_b64 exec, exec, s[20:21]
	s_and_saveexec_b64 s[20:21], s[8:9]
	s_cbranch_execz .LBB227_47
.LBB227_55:                             ;   in Loop: Header=BB227_43 Depth=1
	ds_read_b32 v9, v4 offset:20492
	s_waitcnt lgkmcnt(0)
	v_add_u32_e32 v7, v9, v7
	s_or_b64 exec, exec, s[20:21]
	s_and_saveexec_b64 s[20:21], s[10:11]
	s_cbranch_execnz .LBB227_48
.LBB227_56:                             ;   in Loop: Header=BB227_43 Depth=1
	s_or_b64 exec, exec, s[20:21]
	s_and_saveexec_b64 s[20:21], s[12:13]
	s_cbranch_execz .LBB227_49
.LBB227_57:                             ;   in Loop: Header=BB227_43 Depth=1
	ds_read_b32 v9, v4 offset:20500
	s_waitcnt lgkmcnt(0)
	v_add_u32_e32 v7, v9, v7
	s_or_b64 exec, exec, s[20:21]
	s_and_saveexec_b64 s[20:21], s[14:15]
	s_cbranch_execnz .LBB227_50
.LBB227_58:                             ;   in Loop: Header=BB227_43 Depth=1
	s_or_b64 exec, exec, s[20:21]
	s_and_saveexec_b64 s[20:21], vcc
	s_cbranch_execz .LBB227_51
.LBB227_59:                             ;   in Loop: Header=BB227_43 Depth=1
	scratch_load_dwordx4 v[10:13], off, off
	v_add3_u32 v9, v6, -1, v7
	v_add_u32_e32 v14, v6, v7
	v_lshl_add_u32 v9, v9, 2, 0
	v_lshl_add_u32 v14, v14, 4, 0
	v_add_u32_e32 v14, 0xff0, v14
	ds_write_b32 v9, v8
	s_waitcnt vmcnt(0)
	ds_write2_b64 v14, v[10:11], v[12:13] offset1:1
	s_or_b64 exec, exec, s[20:21]
	s_and_saveexec_b64 s[20:21], s[0:1]
	s_cbranch_execz .LBB227_42
.LBB227_60:                             ;   in Loop: Header=BB227_43 Depth=1
	ds_write_b32 v4, v7 offset:20508
	s_branch .LBB227_42
.LBB227_61:
	s_or_b64 exec, exec, s[16:17]
	s_ashr_i32 s37, s36, 31
	s_lshl_b64 s[0:1], s[36:37], 3
	s_add_u32 s4, s18, s0
	s_addc_u32 s5, s19, s1
	s_load_dwordx4 s[0:3], s[4:5], 0x0
	s_waitcnt lgkmcnt(0)
	s_sub_i32 s8, s2, s0
	v_cmp_gt_i32_e32 vcc, s8, v0
	s_and_saveexec_b64 s[4:5], vcc
	s_cbranch_execz .LBB227_71
; %bb.62:
	s_sub_u32 s4, s0, s30
	s_subb_u32 s5, s1, 0
	s_and_b32 s10, s8, 7
	s_sub_i32 s0, s0, s2
	s_cmp_lt_u32 s0, -7
	s_cselect_b64 s[0:1], -1, 0
	s_and_b32 s11, s8, -8
	s_cmp_lg_u32 s10, 0
	v_cndmask_b32_e64 v1, 0, 1, s[0:1]
	s_cselect_b64 s[2:3], -1, 0
	v_cmp_ne_u32_e64 s[0:1], 1, v1
	v_cndmask_b32_e64 v1, 0, 1, s[2:3]
	s_mov_b32 s9, 0
	s_mov_b64 s[6:7], 0
	v_cmp_ne_u32_e64 s[2:3], 1, v1
	s_movk_i32 s12, 0x1000
	s_branch .LBB227_64
.LBB227_63:                             ;   in Loop: Header=BB227_64 Depth=1
	s_waitcnt lgkmcnt(0)
	v_mul_lo_u32 v4, v0, 12
	v_add3_u32 v1, v1, v4, s12
	ds_read2_b64 v[4:7], v1 offset1:1
	v_add_u32_e32 v0, 0x200, v0
	v_cmp_le_i32_e32 vcc, s8, v0
	v_lshl_add_u64 v[2:3], v[2:3], 4, s[34:35]
	s_or_b64 s[6:7], vcc, s[6:7]
	s_waitcnt lgkmcnt(0)
	global_store_dwordx4 v[2:3], v[4:7], off
	s_andn2_b64 exec, exec, s[6:7]
	s_cbranch_execz .LBB227_71
.LBB227_64:                             ; =>This Loop Header: Depth=1
                                        ;     Child Loop BB227_66 Depth 2
                                        ;     Child Loop BB227_70 Depth 2
	v_lshl_add_u32 v1, v0, 2, 0
	ds_read_b32 v4, v1
	s_and_b64 vcc, exec, s[0:1]
	v_mov_b64_e32 v[2:3], s[4:5]
	s_mov_b32 s13, 0
	s_cbranch_vccnz .LBB227_68
; %bb.65:                               ;   in Loop: Header=BB227_64 Depth=1
	s_mov_b32 s14, 0
	v_mov_b64_e32 v[2:3], s[4:5]
.LBB227_66:                             ;   Parent Loop BB227_64 Depth=1
                                        ; =>  This Inner Loop Header: Depth=2
	v_mov_b32_e32 v5, s14
	ds_read2_b32 v[22:23], v5 offset1:1
	ds_read2_b32 v[24:25], v5 offset0:2 offset1:3
	ds_read2_b32 v[26:27], v5 offset0:4 offset1:5
	;; [unrolled: 1-line block ×3, first 2 shown]
	v_mov_b32_e32 v7, s9
	s_waitcnt lgkmcnt(3)
	v_cmp_gt_i32_e32 vcc, v4, v22
	v_mov_b32_e32 v9, s9
	v_mov_b32_e32 v11, s9
	v_cndmask_b32_e64 v6, 0, 1, vcc
	v_cmp_gt_i32_e32 vcc, v4, v23
	v_lshl_add_u64 v[2:3], v[2:3], 0, v[6:7]
	v_mov_b32_e32 v13, s9
	v_cndmask_b32_e64 v8, 0, 1, vcc
	s_waitcnt lgkmcnt(2)
	v_cmp_gt_i32_e32 vcc, v4, v24
	v_lshl_add_u64 v[2:3], v[2:3], 0, v[8:9]
	v_mov_b32_e32 v15, s9
	v_cndmask_b32_e64 v10, 0, 1, vcc
	v_cmp_gt_i32_e32 vcc, v4, v25
	v_lshl_add_u64 v[2:3], v[2:3], 0, v[10:11]
	v_mov_b32_e32 v17, s9
	v_cndmask_b32_e64 v12, 0, 1, vcc
	s_waitcnt lgkmcnt(1)
	v_cmp_gt_i32_e32 vcc, v4, v26
	v_lshl_add_u64 v[2:3], v[2:3], 0, v[12:13]
	;; [unrolled: 9-line block ×3, first 2 shown]
	s_add_i32 s13, s13, 8
	v_cndmask_b32_e64 v18, 0, 1, vcc
	v_cmp_gt_i32_e32 vcc, v4, v29
	s_add_i32 s14, s14, 32
	v_lshl_add_u64 v[2:3], v[2:3], 0, v[18:19]
	v_cndmask_b32_e64 v20, 0, 1, vcc
	s_cmp_eq_u32 s11, s13
	v_lshl_add_u64 v[2:3], v[2:3], 0, v[20:21]
	s_cbranch_scc0 .LBB227_66
; %bb.67:                               ;   in Loop: Header=BB227_64 Depth=1
	s_mov_b32 s13, s11
.LBB227_68:                             ;   in Loop: Header=BB227_64 Depth=1
	s_and_b64 vcc, exec, s[2:3]
	s_cbranch_vccnz .LBB227_63
; %bb.69:                               ;   in Loop: Header=BB227_64 Depth=1
	s_lshl_b32 s13, s13, 2
	s_add_i32 s13, s13, 0
	s_mov_b32 s14, s10
.LBB227_70:                             ;   Parent Loop BB227_64 Depth=1
                                        ; =>  This Inner Loop Header: Depth=2
	v_mov_b32_e32 v5, s13
	ds_read_b32 v5, v5
	v_mov_b32_e32 v7, s9
	s_add_i32 s13, s13, 4
	s_add_i32 s14, s14, -1
	s_cmp_lg_u32 s14, 0
	s_waitcnt lgkmcnt(0)
	v_cmp_gt_i32_e32 vcc, v4, v5
	s_nop 1
	v_cndmask_b32_e64 v6, 0, 1, vcc
	v_lshl_add_u64 v[2:3], v[2:3], 0, v[6:7]
	s_cbranch_scc1 .LBB227_70
	s_branch .LBB227_63
.LBB227_71:
	s_endpgm
	.section	.rodata,"a",@progbits
	.p2align	6, 0x0
	.amdhsa_kernel _ZN9rocsparseL41csrgemm_numeric_fill_block_per_row_kernelILj512ELj32ELj1024ELj137ELj64Eli21rocsparse_complex_numIdEEEvT5_PKS3_S5_NS_24const_host_device_scalarIT6_EEPKT4_S5_PKS7_SB_S5_SD_S8_SB_S5_SD_SB_S5_PS7_21rocsparse_index_base_SF_SF_SF_bbb
		.amdhsa_group_segment_fixed_size 0
		.amdhsa_private_segment_fixed_size 40
		.amdhsa_kernarg_size 172
		.amdhsa_user_sgpr_count 2
		.amdhsa_user_sgpr_dispatch_ptr 0
		.amdhsa_user_sgpr_queue_ptr 0
		.amdhsa_user_sgpr_kernarg_segment_ptr 1
		.amdhsa_user_sgpr_dispatch_id 0
		.amdhsa_user_sgpr_kernarg_preload_length 0
		.amdhsa_user_sgpr_kernarg_preload_offset 0
		.amdhsa_user_sgpr_private_segment_size 0
		.amdhsa_uses_dynamic_stack 0
		.amdhsa_enable_private_segment 1
		.amdhsa_system_sgpr_workgroup_id_x 1
		.amdhsa_system_sgpr_workgroup_id_y 0
		.amdhsa_system_sgpr_workgroup_id_z 0
		.amdhsa_system_sgpr_workgroup_info 0
		.amdhsa_system_vgpr_workitem_id 0
		.amdhsa_next_free_vgpr 32
		.amdhsa_next_free_sgpr 51
		.amdhsa_accum_offset 32
		.amdhsa_reserve_vcc 1
		.amdhsa_float_round_mode_32 0
		.amdhsa_float_round_mode_16_64 0
		.amdhsa_float_denorm_mode_32 3
		.amdhsa_float_denorm_mode_16_64 3
		.amdhsa_dx10_clamp 1
		.amdhsa_ieee_mode 1
		.amdhsa_fp16_overflow 0
		.amdhsa_tg_split 0
		.amdhsa_exception_fp_ieee_invalid_op 0
		.amdhsa_exception_fp_denorm_src 0
		.amdhsa_exception_fp_ieee_div_zero 0
		.amdhsa_exception_fp_ieee_overflow 0
		.amdhsa_exception_fp_ieee_underflow 0
		.amdhsa_exception_fp_ieee_inexact 0
		.amdhsa_exception_int_div_zero 0
	.end_amdhsa_kernel
	.section	.text._ZN9rocsparseL41csrgemm_numeric_fill_block_per_row_kernelILj512ELj32ELj1024ELj137ELj64Eli21rocsparse_complex_numIdEEEvT5_PKS3_S5_NS_24const_host_device_scalarIT6_EEPKT4_S5_PKS7_SB_S5_SD_S8_SB_S5_SD_SB_S5_PS7_21rocsparse_index_base_SF_SF_SF_bbb,"axG",@progbits,_ZN9rocsparseL41csrgemm_numeric_fill_block_per_row_kernelILj512ELj32ELj1024ELj137ELj64Eli21rocsparse_complex_numIdEEEvT5_PKS3_S5_NS_24const_host_device_scalarIT6_EEPKT4_S5_PKS7_SB_S5_SD_S8_SB_S5_SD_SB_S5_PS7_21rocsparse_index_base_SF_SF_SF_bbb,comdat
.Lfunc_end227:
	.size	_ZN9rocsparseL41csrgemm_numeric_fill_block_per_row_kernelILj512ELj32ELj1024ELj137ELj64Eli21rocsparse_complex_numIdEEEvT5_PKS3_S5_NS_24const_host_device_scalarIT6_EEPKT4_S5_PKS7_SB_S5_SD_S8_SB_S5_SD_SB_S5_PS7_21rocsparse_index_base_SF_SF_SF_bbb, .Lfunc_end227-_ZN9rocsparseL41csrgemm_numeric_fill_block_per_row_kernelILj512ELj32ELj1024ELj137ELj64Eli21rocsparse_complex_numIdEEEvT5_PKS3_S5_NS_24const_host_device_scalarIT6_EEPKT4_S5_PKS7_SB_S5_SD_S8_SB_S5_SD_SB_S5_PS7_21rocsparse_index_base_SF_SF_SF_bbb
                                        ; -- End function
	.set _ZN9rocsparseL41csrgemm_numeric_fill_block_per_row_kernelILj512ELj32ELj1024ELj137ELj64Eli21rocsparse_complex_numIdEEEvT5_PKS3_S5_NS_24const_host_device_scalarIT6_EEPKT4_S5_PKS7_SB_S5_SD_S8_SB_S5_SD_SB_S5_PS7_21rocsparse_index_base_SF_SF_SF_bbb.num_vgpr, 32
	.set _ZN9rocsparseL41csrgemm_numeric_fill_block_per_row_kernelILj512ELj32ELj1024ELj137ELj64Eli21rocsparse_complex_numIdEEEvT5_PKS3_S5_NS_24const_host_device_scalarIT6_EEPKT4_S5_PKS7_SB_S5_SD_S8_SB_S5_SD_SB_S5_PS7_21rocsparse_index_base_SF_SF_SF_bbb.num_agpr, 0
	.set _ZN9rocsparseL41csrgemm_numeric_fill_block_per_row_kernelILj512ELj32ELj1024ELj137ELj64Eli21rocsparse_complex_numIdEEEvT5_PKS3_S5_NS_24const_host_device_scalarIT6_EEPKT4_S5_PKS7_SB_S5_SD_S8_SB_S5_SD_SB_S5_PS7_21rocsparse_index_base_SF_SF_SF_bbb.numbered_sgpr, 51
	.set _ZN9rocsparseL41csrgemm_numeric_fill_block_per_row_kernelILj512ELj32ELj1024ELj137ELj64Eli21rocsparse_complex_numIdEEEvT5_PKS3_S5_NS_24const_host_device_scalarIT6_EEPKT4_S5_PKS7_SB_S5_SD_S8_SB_S5_SD_SB_S5_PS7_21rocsparse_index_base_SF_SF_SF_bbb.num_named_barrier, 0
	.set _ZN9rocsparseL41csrgemm_numeric_fill_block_per_row_kernelILj512ELj32ELj1024ELj137ELj64Eli21rocsparse_complex_numIdEEEvT5_PKS3_S5_NS_24const_host_device_scalarIT6_EEPKT4_S5_PKS7_SB_S5_SD_S8_SB_S5_SD_SB_S5_PS7_21rocsparse_index_base_SF_SF_SF_bbb.private_seg_size, 40
	.set _ZN9rocsparseL41csrgemm_numeric_fill_block_per_row_kernelILj512ELj32ELj1024ELj137ELj64Eli21rocsparse_complex_numIdEEEvT5_PKS3_S5_NS_24const_host_device_scalarIT6_EEPKT4_S5_PKS7_SB_S5_SD_S8_SB_S5_SD_SB_S5_PS7_21rocsparse_index_base_SF_SF_SF_bbb.uses_vcc, 1
	.set _ZN9rocsparseL41csrgemm_numeric_fill_block_per_row_kernelILj512ELj32ELj1024ELj137ELj64Eli21rocsparse_complex_numIdEEEvT5_PKS3_S5_NS_24const_host_device_scalarIT6_EEPKT4_S5_PKS7_SB_S5_SD_S8_SB_S5_SD_SB_S5_PS7_21rocsparse_index_base_SF_SF_SF_bbb.uses_flat_scratch, 0
	.set _ZN9rocsparseL41csrgemm_numeric_fill_block_per_row_kernelILj512ELj32ELj1024ELj137ELj64Eli21rocsparse_complex_numIdEEEvT5_PKS3_S5_NS_24const_host_device_scalarIT6_EEPKT4_S5_PKS7_SB_S5_SD_S8_SB_S5_SD_SB_S5_PS7_21rocsparse_index_base_SF_SF_SF_bbb.has_dyn_sized_stack, 0
	.set _ZN9rocsparseL41csrgemm_numeric_fill_block_per_row_kernelILj512ELj32ELj1024ELj137ELj64Eli21rocsparse_complex_numIdEEEvT5_PKS3_S5_NS_24const_host_device_scalarIT6_EEPKT4_S5_PKS7_SB_S5_SD_S8_SB_S5_SD_SB_S5_PS7_21rocsparse_index_base_SF_SF_SF_bbb.has_recursion, 0
	.set _ZN9rocsparseL41csrgemm_numeric_fill_block_per_row_kernelILj512ELj32ELj1024ELj137ELj64Eli21rocsparse_complex_numIdEEEvT5_PKS3_S5_NS_24const_host_device_scalarIT6_EEPKT4_S5_PKS7_SB_S5_SD_S8_SB_S5_SD_SB_S5_PS7_21rocsparse_index_base_SF_SF_SF_bbb.has_indirect_call, 0
	.section	.AMDGPU.csdata,"",@progbits
; Kernel info:
; codeLenInByte = 2876
; TotalNumSgprs: 57
; NumVgprs: 32
; NumAgprs: 0
; TotalNumVgprs: 32
; ScratchSize: 40
; MemoryBound: 0
; FloatMode: 240
; IeeeMode: 1
; LDSByteSize: 0 bytes/workgroup (compile time only)
; SGPRBlocks: 7
; VGPRBlocks: 3
; NumSGPRsForWavesPerEU: 57
; NumVGPRsForWavesPerEU: 32
; AccumOffset: 32
; Occupancy: 8
; WaveLimiterHint : 1
; COMPUTE_PGM_RSRC2:SCRATCH_EN: 1
; COMPUTE_PGM_RSRC2:USER_SGPR: 2
; COMPUTE_PGM_RSRC2:TRAP_HANDLER: 0
; COMPUTE_PGM_RSRC2:TGID_X_EN: 1
; COMPUTE_PGM_RSRC2:TGID_Y_EN: 0
; COMPUTE_PGM_RSRC2:TGID_Z_EN: 0
; COMPUTE_PGM_RSRC2:TIDIG_COMP_CNT: 0
; COMPUTE_PGM_RSRC3_GFX90A:ACCUM_OFFSET: 7
; COMPUTE_PGM_RSRC3_GFX90A:TG_SPLIT: 0
	.section	.text._ZN9rocsparseL41csrgemm_numeric_fill_block_per_row_kernelILj1024ELj32ELj2048ELj137ELj32Eli21rocsparse_complex_numIdEEEvT5_PKS3_S5_NS_24const_host_device_scalarIT6_EEPKT4_S5_PKS7_SB_S5_SD_S8_SB_S5_SD_SB_S5_PS7_21rocsparse_index_base_SF_SF_SF_bbb,"axG",@progbits,_ZN9rocsparseL41csrgemm_numeric_fill_block_per_row_kernelILj1024ELj32ELj2048ELj137ELj32Eli21rocsparse_complex_numIdEEEvT5_PKS3_S5_NS_24const_host_device_scalarIT6_EEPKT4_S5_PKS7_SB_S5_SD_S8_SB_S5_SD_SB_S5_PS7_21rocsparse_index_base_SF_SF_SF_bbb,comdat
	.globl	_ZN9rocsparseL41csrgemm_numeric_fill_block_per_row_kernelILj1024ELj32ELj2048ELj137ELj32Eli21rocsparse_complex_numIdEEEvT5_PKS3_S5_NS_24const_host_device_scalarIT6_EEPKT4_S5_PKS7_SB_S5_SD_S8_SB_S5_SD_SB_S5_PS7_21rocsparse_index_base_SF_SF_SF_bbb ; -- Begin function _ZN9rocsparseL41csrgemm_numeric_fill_block_per_row_kernelILj1024ELj32ELj2048ELj137ELj32Eli21rocsparse_complex_numIdEEEvT5_PKS3_S5_NS_24const_host_device_scalarIT6_EEPKT4_S5_PKS7_SB_S5_SD_S8_SB_S5_SD_SB_S5_PS7_21rocsparse_index_base_SF_SF_SF_bbb
	.p2align	8
	.type	_ZN9rocsparseL41csrgemm_numeric_fill_block_per_row_kernelILj1024ELj32ELj2048ELj137ELj32Eli21rocsparse_complex_numIdEEEvT5_PKS3_S5_NS_24const_host_device_scalarIT6_EEPKT4_S5_PKS7_SB_S5_SD_S8_SB_S5_SD_SB_S5_PS7_21rocsparse_index_base_SF_SF_SF_bbb,@function
_ZN9rocsparseL41csrgemm_numeric_fill_block_per_row_kernelILj1024ELj32ELj2048ELj137ELj32Eli21rocsparse_complex_numIdEEEvT5_PKS3_S5_NS_24const_host_device_scalarIT6_EEPKT4_S5_PKS7_SB_S5_SD_S8_SB_S5_SD_SB_S5_PS7_21rocsparse_index_base_SF_SF_SF_bbb: ; @_ZN9rocsparseL41csrgemm_numeric_fill_block_per_row_kernelILj1024ELj32ELj2048ELj137ELj32Eli21rocsparse_complex_numIdEEEvT5_PKS3_S5_NS_24const_host_device_scalarIT6_EEPKT4_S5_PKS7_SB_S5_SD_S8_SB_S5_SD_SB_S5_PS7_21rocsparse_index_base_SF_SF_SF_bbb
; %bb.0:
	s_load_dword s3, s[0:1], 0xa8
	s_load_dwordx4 s[68:71], s[0:1], 0x98
	s_load_dwordx4 s[8:11], s[0:1], 0x18
	s_load_dwordx4 s[24:27], s[0:1], 0x58
	v_mov_b64_e32 v[6:7], 0
	s_waitcnt lgkmcnt(0)
	s_bitcmp1_b32 s3, 0
	s_cselect_b64 s[28:29], -1, 0
	s_bitcmp1_b32 s3, 16
	s_cselect_b64 s[30:31], -1, 0
	s_xor_b64 s[4:5], s[30:31], -1
	v_mov_b64_e32 v[2:3], s[8:9]
	v_cndmask_b32_e64 v1, 0, 1, s[4:5]
	scratch_store_dwordx2 off, v[2:3], off offset:16
	v_mov_b64_e32 v[2:3], s[24:25]
	s_bitcmp0_b32 s3, 0
	v_cmp_ne_u32_e64 s[4:5], 1, v1
	v_mov_b64_e32 v[10:11], 0
	v_mov_b64_e32 v[12:13], 0
	scratch_store_dwordx2 off, v[2:3], off offset:24
	s_cbranch_scc1 .LBB228_3
; %bb.1:
	s_mov_b64 s[6:7], src_private_base
	s_and_b64 s[12:13], s[30:31], exec
	s_cselect_b32 s6, s7, s9
	s_cselect_b32 s7, 16, s8
	v_mov_b32_e32 v2, s7
	v_mov_b32_e32 v3, s6
	flat_load_dwordx2 v[10:11], v[2:3]
	s_and_b64 vcc, exec, s[4:5]
	v_mov_b64_e32 v[12:13], s[10:11]
	s_cbranch_vccnz .LBB228_3
; %bb.2:
	v_mov_b64_e32 v[2:3], s[8:9]
	flat_load_dwordx2 v[12:13], v[2:3] offset:8
.LBB228_3:
	s_load_dwordx2 s[72:73], s[0:1], 0x90
	s_load_dwordx8 s[60:67], s[0:1], 0x68
	s_load_dwordx4 s[16:19], s[0:1], 0x48
	s_load_dwordx4 s[20:23], s[0:1], 0x8
	s_load_dwordx8 s[8:15], s[0:1], 0x28
	s_bitcmp1_b32 s3, 8
	s_cselect_b64 s[6:7], -1, 0
	s_bfe_u32 s3, s3, 0x10008
	s_cmp_eq_u32 s3, 0
	v_mov_b64_e32 v[8:9], 0
	s_cbranch_scc1 .LBB228_6
; %bb.4:
	s_mov_b64 s[34:35], src_private_base
	s_and_b64 s[30:31], s[30:31], exec
	s_cselect_b32 s3, s35, s25
	s_cselect_b32 s30, 24, s24
	v_mov_b32_e32 v2, s30
	v_mov_b32_e32 v3, s3
	flat_load_dwordx2 v[8:9], v[2:3]
	s_and_b64 vcc, exec, s[4:5]
	v_mov_b64_e32 v[6:7], s[26:27]
	s_cbranch_vccnz .LBB228_6
; %bb.5:
	v_mov_b64_e32 v[2:3], s[24:25]
	flat_load_dwordx2 v[6:7], v[2:3] offset:8
.LBB228_6:
	s_load_dword s33, s[0:1], 0x0
	s_mov_b32 s4, 0
	v_lshl_add_u32 v1, v0, 4, 0
	v_add_u32_e32 v1, 0x2000, v1
	v_or_b32_e32 v26, 0xfffffc00, v0
	v_lshl_add_u32 v27, v0, 2, 0
	s_mov_b32 s5, s4
	s_mov_b32 s24, s4
	;; [unrolled: 1-line block ×3, first 2 shown]
	s_mov_b64 s[0:1], 0
	s_waitcnt lgkmcnt(0)
	v_mov_b32_e32 v17, s33
	v_mov_b64_e32 v[2:3], s[4:5]
	v_mov_b64_e32 v[4:5], s[24:25]
	v_mov_b32_e32 v14, v27
	v_mov_b32_e32 v15, v26
	;; [unrolled: 1-line block ×3, first 2 shown]
.LBB228_7:                              ; =>This Inner Loop Header: Depth=1
	v_add_co_u32_e32 v15, vcc, 0x400, v15
	s_xor_b64 s[4:5], vcc, -1
	s_and_b64 s[4:5], exec, s[4:5]
	ds_write_b32 v14, v17
	ds_write2_b64 v16, v[2:3], v[4:5] offset1:1
	v_add_u32_e32 v16, 0x4000, v16
	s_or_b64 s[0:1], s[4:5], s[0:1]
	v_add_u32_e32 v14, 0x1000, v14
	s_andn2_b64 exec, exec, s[0:1]
	s_cbranch_execnz .LBB228_7
; %bb.8:
	s_or_b64 exec, exec, s[0:1]
	s_waitcnt lgkmcnt(0)
	s_barrier
	s_load_dword s0, s[20:21], 0x0
	s_mov_b32 s1, 0
	v_lshrrev_b32_e32 v28, 5, v0
	s_waitcnt lgkmcnt(0)
	s_add_i32 s0, s0, s2
	s_lshl_b64 s[0:1], s[0:1], 2
	s_add_u32 s0, s22, s0
	s_addc_u32 s1, s23, s1
	s_load_dword s74, s[0:1], 0x0
	s_and_b64 vcc, exec, s[28:29]
	s_cbranch_vccz .LBB228_26
; %bb.9:
	s_waitcnt lgkmcnt(0)
	s_ashr_i32 s75, s74, 31
	s_lshl_b64 s[0:1], s[74:75], 3
	s_add_u32 s0, s8, s0
	s_addc_u32 s1, s9, s1
	s_load_dwordx4 s[20:23], s[0:1], 0x0
	v_subrev_co_u32_e32 v2, vcc, s68, v28
	s_nop 1
	v_subb_co_u32_e64 v3, s[0:1], 0, 0, vcc
	s_waitcnt lgkmcnt(0)
	s_sub_u32 s0, s22, s68
	s_subb_u32 s1, s23, 0
	v_lshl_add_u64 v[14:15], s[20:21], 0, v[2:3]
	v_cmp_gt_i64_e32 vcc, s[0:1], v[14:15]
	s_and_saveexec_b64 s[2:3], vcc
	s_cbranch_execz .LBB228_25
; %bb.10:
	v_and_b32_e32 v2, 31, v0
	v_subrev_co_u32_e32 v16, vcc, s69, v2
	s_mov_b32 s34, s69
	s_nop 0
	v_subb_co_u32_e64 v17, s[4:5], 0, 0, vcc
	s_mov_b64 s[4:5], 0
	s_movk_i32 s35, 0x89
	s_branch .LBB228_12
.LBB228_11:                             ;   in Loop: Header=BB228_12 Depth=1
	s_or_b64 exec, exec, s[8:9]
	v_lshl_add_u64 v[14:15], v[14:15], 0, 32
	v_cmp_le_i64_e32 vcc, s[0:1], v[14:15]
	s_or_b64 s[4:5], vcc, s[4:5]
	s_andn2_b64 exec, exec, s[4:5]
	s_cbranch_execz .LBB228_25
.LBB228_12:                             ; =>This Loop Header: Depth=1
                                        ;     Child Loop BB228_16 Depth 2
                                        ;       Child Loop BB228_19 Depth 3
	v_lshl_add_u64 v[2:3], v[14:15], 2, s[10:11]
	global_load_dword v2, v[2:3], off
	s_waitcnt vmcnt(0)
	v_subrev_u32_e32 v2, s68, v2
	v_ashrrev_i32_e32 v3, 31, v2
	v_lshl_add_u64 v[2:3], v[2:3], 3, s[14:15]
	global_load_dwordx4 v[2:5], v[2:3], off
	s_waitcnt vmcnt(0)
	v_subrev_co_u32_e32 v18, vcc, s34, v4
	s_nop 1
	v_subbrev_co_u32_e32 v19, vcc, 0, v5, vcc
	v_lshl_add_u64 v[20:21], v[2:3], 0, v[16:17]
	v_cmp_lt_i64_e32 vcc, v[20:21], v[18:19]
	s_and_saveexec_b64 s[8:9], vcc
	s_cbranch_execz .LBB228_11
; %bb.13:                               ;   in Loop: Header=BB228_12 Depth=1
	v_lshl_add_u64 v[2:3], v[14:15], 4, s[12:13]
	global_load_dwordx4 v[2:5], v[2:3], off
	s_mov_b64 s[20:21], 0
	s_waitcnt vmcnt(0)
	v_mul_f64 v[22:23], v[4:5], -v[12:13]
	v_mul_f64 v[24:25], v[10:11], v[4:5]
	v_fmac_f64_e32 v[22:23], v[10:11], v[2:3]
	v_fmac_f64_e32 v[24:25], v[12:13], v[2:3]
	s_branch .LBB228_16
.LBB228_14:                             ;   in Loop: Header=BB228_16 Depth=2
	s_or_b64 exec, exec, s[24:25]
.LBB228_15:                             ;   in Loop: Header=BB228_16 Depth=2
	s_or_b64 exec, exec, s[22:23]
	s_waitcnt vmcnt(0)
	v_mul_f64 v[30:31], v[4:5], -v[24:25]
	v_mul_f64 v[4:5], v[22:23], v[4:5]
	v_fmac_f64_e32 v[30:31], v[22:23], v[2:3]
	v_fmac_f64_e32 v[4:5], v[24:25], v[2:3]
	v_lshl_add_u32 v2, v29, 4, 0
	ds_add_f64 v2, v[30:31] offset:8192
	ds_add_f64 v2, v[4:5] offset:8200
	v_lshl_add_u64 v[20:21], v[20:21], 0, 32
	v_cmp_ge_i64_e32 vcc, v[20:21], v[18:19]
	s_or_b64 s[20:21], vcc, s[20:21]
	s_andn2_b64 exec, exec, s[20:21]
	s_cbranch_execz .LBB228_11
.LBB228_16:                             ;   Parent Loop BB228_12 Depth=1
                                        ; =>  This Loop Header: Depth=2
                                        ;       Child Loop BB228_19 Depth 3
	v_lshl_add_u64 v[2:3], v[20:21], 2, s[16:17]
	global_load_dword v29, v[2:3], off
	v_lshl_add_u64 v[2:3], v[20:21], 4, s[18:19]
	global_load_dwordx4 v[2:5], v[2:3], off
	s_waitcnt vmcnt(1)
	v_subrev_u32_e32 v30, s69, v29
	v_mul_lo_u32 v29, v30, s35
	v_and_b32_e32 v29, 0x7ff, v29
	v_lshl_add_u32 v31, v29, 2, 0
	ds_read_b32 v32, v31
	s_waitcnt lgkmcnt(0)
	v_cmp_ne_u32_e32 vcc, v32, v30
	s_and_saveexec_b64 s[22:23], vcc
	s_cbranch_execz .LBB228_15
; %bb.17:                               ;   in Loop: Header=BB228_16 Depth=2
	s_mov_b64 s[24:25], 0
	s_branch .LBB228_19
.LBB228_18:                             ;   in Loop: Header=BB228_19 Depth=3
	s_or_b64 exec, exec, s[30:31]
	s_and_b64 s[26:27], exec, s[28:29]
	s_or_b64 s[24:25], s[26:27], s[24:25]
	s_andn2_b64 exec, exec, s[24:25]
	s_cbranch_execz .LBB228_14
.LBB228_19:                             ;   Parent Loop BB228_12 Depth=1
                                        ;     Parent Loop BB228_16 Depth=2
                                        ; =>    This Inner Loop Header: Depth=3
	v_cmp_ne_u32_e32 vcc, s33, v32
	s_mov_b64 s[26:27], 0
	s_and_saveexec_b64 s[28:29], vcc
	s_xor_b64 s[28:29], exec, s[28:29]
	s_cbranch_execz .LBB228_21
; %bb.20:                               ;   in Loop: Header=BB228_19 Depth=3
	v_add_u32_e32 v29, 1, v29
	s_mov_b64 s[26:27], exec
	v_and_b32_e32 v29, 0x7ff, v29
                                        ; implicit-def: $vgpr31
	s_andn2_saveexec_b64 s[28:29], s[28:29]
	s_cbranch_execz .LBB228_23
	s_branch .LBB228_22
.LBB228_21:                             ;   in Loop: Header=BB228_19 Depth=3
	s_andn2_saveexec_b64 s[28:29], s[28:29]
	s_cbranch_execz .LBB228_23
.LBB228_22:                             ;   in Loop: Header=BB228_19 Depth=3
	v_mov_b32_e32 v32, s33
	ds_cmpst_rtn_b32 v31, v31, v32, v30
	s_andn2_b64 s[26:27], s[26:27], exec
	s_waitcnt lgkmcnt(0)
	v_cmp_ne_u32_e32 vcc, s33, v31
	s_and_b64 s[30:31], vcc, exec
	s_or_b64 s[26:27], s[26:27], s[30:31]
.LBB228_23:                             ;   in Loop: Header=BB228_19 Depth=3
	s_or_b64 exec, exec, s[28:29]
	s_mov_b64 s[28:29], -1
                                        ; implicit-def: $vgpr31
                                        ; implicit-def: $vgpr32
	s_and_saveexec_b64 s[30:31], s[26:27]
	s_cbranch_execz .LBB228_18
; %bb.24:                               ;   in Loop: Header=BB228_19 Depth=3
	v_lshl_add_u32 v31, v29, 2, 0
	ds_read_b32 v32, v31
	s_waitcnt lgkmcnt(0)
	v_cmp_eq_u32_e32 vcc, v32, v30
	s_orn2_b64 s[28:29], vcc, exec
	s_branch .LBB228_18
.LBB228_25:
	s_or_b64 exec, exec, s[2:3]
.LBB228_26:
	s_andn2_b64 vcc, exec, s[6:7]
	s_cbranch_vccnz .LBB228_41
; %bb.27:
	s_waitcnt lgkmcnt(0)
	s_ashr_i32 s75, s74, 31
	s_lshl_b64 s[0:1], s[74:75], 3
	s_add_u32 s0, s60, s0
	s_addc_u32 s1, s61, s1
	s_load_dwordx4 s[4:7], s[0:1], 0x0
	v_subrev_co_u32_e32 v2, vcc, s71, v0
	s_nop 1
	v_subb_co_u32_e64 v3, s[0:1], 0, 0, vcc
	s_waitcnt lgkmcnt(0)
	s_sub_u32 s0, s6, s71
	s_subb_u32 s1, s7, 0
	s_waitcnt vmcnt(0)
	v_lshl_add_u64 v[10:11], s[4:5], 0, v[2:3]
	v_cmp_gt_i64_e32 vcc, s[0:1], v[10:11]
	s_and_saveexec_b64 s[2:3], vcc
	s_cbranch_execz .LBB228_40
; %bb.28:
	s_mov_b64 s[4:5], 0
	s_movk_i32 s18, 0x89
	s_mov_b64 s[6:7], 0x400
	s_branch .LBB228_31
.LBB228_29:                             ;   in Loop: Header=BB228_31 Depth=1
	s_or_b64 exec, exec, s[10:11]
.LBB228_30:                             ;   in Loop: Header=BB228_31 Depth=1
	s_or_b64 exec, exec, s[8:9]
	s_waitcnt vmcnt(0)
	v_mul_f64 v[14:15], v[4:5], -v[6:7]
	v_mul_f64 v[4:5], v[8:9], v[4:5]
	v_fmac_f64_e32 v[14:15], v[8:9], v[2:3]
	v_fmac_f64_e32 v[4:5], v[6:7], v[2:3]
	v_lshl_add_u32 v2, v12, 4, 0
	ds_add_f64 v2, v[14:15] offset:8192
	ds_add_f64 v2, v[4:5] offset:8200
	v_lshl_add_u64 v[10:11], v[10:11], 0, s[6:7]
	v_cmp_le_i64_e32 vcc, s[0:1], v[10:11]
	s_or_b64 s[4:5], vcc, s[4:5]
	s_andn2_b64 exec, exec, s[4:5]
	s_cbranch_execz .LBB228_40
.LBB228_31:                             ; =>This Loop Header: Depth=1
                                        ;     Child Loop BB228_34 Depth 2
	v_lshl_add_u64 v[2:3], v[10:11], 2, s[62:63]
	global_load_dword v12, v[2:3], off
	v_lshl_add_u64 v[2:3], v[10:11], 4, s[64:65]
	global_load_dwordx4 v[2:5], v[2:3], off
	s_waitcnt vmcnt(1)
	v_subrev_u32_e32 v13, s71, v12
	v_mul_lo_u32 v12, v13, s18
	v_and_b32_e32 v12, 0x7ff, v12
	v_lshl_add_u32 v14, v12, 2, 0
	ds_read_b32 v15, v14
	s_waitcnt lgkmcnt(0)
	v_cmp_ne_u32_e32 vcc, v15, v13
	s_and_saveexec_b64 s[8:9], vcc
	s_cbranch_execz .LBB228_30
; %bb.32:                               ;   in Loop: Header=BB228_31 Depth=1
	s_mov_b64 s[10:11], 0
	s_branch .LBB228_34
.LBB228_33:                             ;   in Loop: Header=BB228_34 Depth=2
	s_or_b64 exec, exec, s[16:17]
	s_and_b64 s[12:13], exec, s[14:15]
	s_or_b64 s[10:11], s[12:13], s[10:11]
	s_andn2_b64 exec, exec, s[10:11]
	s_cbranch_execz .LBB228_29
.LBB228_34:                             ;   Parent Loop BB228_31 Depth=1
                                        ; =>  This Inner Loop Header: Depth=2
	v_cmp_ne_u32_e32 vcc, s33, v15
	s_mov_b64 s[12:13], 0
	s_and_saveexec_b64 s[14:15], vcc
	s_xor_b64 s[14:15], exec, s[14:15]
	s_cbranch_execz .LBB228_36
; %bb.35:                               ;   in Loop: Header=BB228_34 Depth=2
	v_add_u32_e32 v12, 1, v12
	s_mov_b64 s[12:13], exec
	v_and_b32_e32 v12, 0x7ff, v12
                                        ; implicit-def: $vgpr14
	s_andn2_saveexec_b64 s[14:15], s[14:15]
	s_cbranch_execz .LBB228_38
	s_branch .LBB228_37
.LBB228_36:                             ;   in Loop: Header=BB228_34 Depth=2
	s_andn2_saveexec_b64 s[14:15], s[14:15]
	s_cbranch_execz .LBB228_38
.LBB228_37:                             ;   in Loop: Header=BB228_34 Depth=2
	v_mov_b32_e32 v15, s33
	ds_cmpst_rtn_b32 v14, v14, v15, v13
	s_andn2_b64 s[12:13], s[12:13], exec
	s_waitcnt lgkmcnt(0)
	v_cmp_ne_u32_e32 vcc, s33, v14
	s_and_b64 s[16:17], vcc, exec
	s_or_b64 s[12:13], s[12:13], s[16:17]
.LBB228_38:                             ;   in Loop: Header=BB228_34 Depth=2
	s_or_b64 exec, exec, s[14:15]
	s_mov_b64 s[14:15], -1
                                        ; implicit-def: $vgpr14
                                        ; implicit-def: $vgpr15
	s_and_saveexec_b64 s[16:17], s[12:13]
	s_cbranch_execz .LBB228_33
; %bb.39:                               ;   in Loop: Header=BB228_34 Depth=2
	v_lshl_add_u32 v14, v12, 2, 0
	ds_read_b32 v15, v14
	s_waitcnt lgkmcnt(0)
	v_cmp_eq_u32_e32 vcc, v15, v13
	s_orn2_b64 s[14:15], vcc, exec
	s_branch .LBB228_33
.LBB228_40:
	s_or_b64 exec, exec, s[2:3]
.LBB228_41:
	v_mbcnt_lo_u32_b32 v2, -1, 0
	v_mbcnt_hi_u32_b32 v2, -1, v2
	v_sub_u32_e32 v2, 63, v2
	s_movk_i32 s0, 0x3ff
	s_movk_i32 s6, 0x5f
	;; [unrolled: 1-line block ×30, first 2 shown]
	v_mov_b32_e32 v4, 0
	v_lshrrev_b64 v[2:3], v2, -1
	v_lshl_add_u32 v5, v28, 2, 0
	v_cmp_eq_u32_e64 s[0:1], s0, v0
	v_cmp_lt_u32_e64 s[2:3], 31, v0
	v_cmp_lt_u32_e64 s[4:5], 63, v0
	;; [unrolled: 1-line block ×31, first 2 shown]
	s_mov_b64 s[68:69], 0
	s_waitcnt vmcnt(0)
	v_mov_b32_e32 v6, 0
	s_waitcnt lgkmcnt(0)
	s_barrier
	s_branch .LBB228_43
.LBB228_42:                             ;   in Loop: Header=BB228_43 Depth=1
	s_or_b64 exec, exec, s[76:77]
	s_waitcnt lgkmcnt(0)
	s_barrier
	ds_read_b32 v7, v4 offset:41084
	v_add_co_u32_e32 v26, vcc, 0x400, v26
	s_xor_b64 s[76:77], vcc, -1
	s_and_b64 s[76:77], exec, s[76:77]
	v_add_u32_e32 v1, 0x4000, v1
	s_waitcnt lgkmcnt(0)
	v_add_u32_e32 v6, v7, v6
	s_or_b64 s[68:69], s[76:77], s[68:69]
	v_add_u32_e32 v27, 0x1000, v27
	s_andn2_b64 exec, exec, s[68:69]
	s_cbranch_execz .LBB228_109
.LBB228_43:                             ; =>This Inner Loop Header: Depth=1
	ds_read2_b64 v[10:13], v1 offset1:1
	ds_read_b32 v8, v27
	s_waitcnt lgkmcnt(1)
	scratch_store_dwordx4 off, v[10:13], off
	s_waitcnt lgkmcnt(0)
	v_cmp_gt_i32_e32 vcc, s33, v8
	s_bcnt1_i32_b64 s71, vcc
	s_nop 0
	v_and_b32_e32 v9, vcc_lo, v2
	v_and_b32_e32 v7, vcc_hi, v3
	v_bcnt_u32_b32 v9, v9, 0
	v_bcnt_u32_b32 v7, v7, v9
	v_mov_b32_e32 v9, s71
	s_barrier
	ds_write_b32 v5, v9 offset:40960
	s_waitcnt lgkmcnt(0)
	s_barrier
	s_and_saveexec_b64 s[76:77], s[2:3]
	s_cbranch_execz .LBB228_76
; %bb.44:                               ;   in Loop: Header=BB228_43 Depth=1
	ds_read_b32 v9, v4 offset:40960
	s_waitcnt lgkmcnt(0)
	v_add_u32_e32 v7, v9, v7
	s_or_b64 exec, exec, s[76:77]
	s_and_saveexec_b64 s[76:77], s[4:5]
	s_cbranch_execnz .LBB228_77
.LBB228_45:                             ;   in Loop: Header=BB228_43 Depth=1
	s_or_b64 exec, exec, s[76:77]
	s_and_saveexec_b64 s[76:77], s[6:7]
	s_cbranch_execz .LBB228_78
.LBB228_46:                             ;   in Loop: Header=BB228_43 Depth=1
	ds_read_b32 v9, v4 offset:40968
	s_waitcnt lgkmcnt(0)
	v_add_u32_e32 v7, v9, v7
	s_or_b64 exec, exec, s[76:77]
	s_and_saveexec_b64 s[76:77], s[8:9]
	s_cbranch_execnz .LBB228_79
.LBB228_47:                             ;   in Loop: Header=BB228_43 Depth=1
	s_or_b64 exec, exec, s[76:77]
	s_and_saveexec_b64 s[76:77], s[10:11]
	s_cbranch_execz .LBB228_80
.LBB228_48:                             ;   in Loop: Header=BB228_43 Depth=1
	ds_read_b32 v9, v4 offset:40976
	s_waitcnt lgkmcnt(0)
	v_add_u32_e32 v7, v9, v7
	s_or_b64 exec, exec, s[76:77]
	s_and_saveexec_b64 s[76:77], s[12:13]
	s_cbranch_execnz .LBB228_81
.LBB228_49:                             ;   in Loop: Header=BB228_43 Depth=1
	s_or_b64 exec, exec, s[76:77]
	s_and_saveexec_b64 s[76:77], s[14:15]
	s_cbranch_execz .LBB228_82
.LBB228_50:                             ;   in Loop: Header=BB228_43 Depth=1
	ds_read_b32 v9, v4 offset:40984
	s_waitcnt lgkmcnt(0)
	v_add_u32_e32 v7, v9, v7
	s_or_b64 exec, exec, s[76:77]
	s_and_saveexec_b64 s[76:77], s[16:17]
	s_cbranch_execnz .LBB228_83
.LBB228_51:                             ;   in Loop: Header=BB228_43 Depth=1
	s_or_b64 exec, exec, s[76:77]
	s_and_saveexec_b64 s[76:77], s[18:19]
	s_cbranch_execz .LBB228_84
.LBB228_52:                             ;   in Loop: Header=BB228_43 Depth=1
	ds_read_b32 v9, v4 offset:40992
	s_waitcnt lgkmcnt(0)
	v_add_u32_e32 v7, v9, v7
	s_or_b64 exec, exec, s[76:77]
	s_and_saveexec_b64 s[76:77], s[20:21]
	s_cbranch_execnz .LBB228_85
.LBB228_53:                             ;   in Loop: Header=BB228_43 Depth=1
	s_or_b64 exec, exec, s[76:77]
	s_and_saveexec_b64 s[76:77], s[22:23]
	s_cbranch_execz .LBB228_86
.LBB228_54:                             ;   in Loop: Header=BB228_43 Depth=1
	ds_read_b32 v9, v4 offset:41000
	s_waitcnt lgkmcnt(0)
	v_add_u32_e32 v7, v9, v7
	s_or_b64 exec, exec, s[76:77]
	s_and_saveexec_b64 s[76:77], s[24:25]
	s_cbranch_execnz .LBB228_87
.LBB228_55:                             ;   in Loop: Header=BB228_43 Depth=1
	s_or_b64 exec, exec, s[76:77]
	s_and_saveexec_b64 s[76:77], s[26:27]
	s_cbranch_execz .LBB228_88
.LBB228_56:                             ;   in Loop: Header=BB228_43 Depth=1
	ds_read_b32 v9, v4 offset:41008
	s_waitcnt lgkmcnt(0)
	v_add_u32_e32 v7, v9, v7
	s_or_b64 exec, exec, s[76:77]
	s_and_saveexec_b64 s[76:77], s[28:29]
	s_cbranch_execnz .LBB228_89
.LBB228_57:                             ;   in Loop: Header=BB228_43 Depth=1
	s_or_b64 exec, exec, s[76:77]
	s_and_saveexec_b64 s[76:77], s[30:31]
	s_cbranch_execz .LBB228_90
.LBB228_58:                             ;   in Loop: Header=BB228_43 Depth=1
	ds_read_b32 v9, v4 offset:41016
	s_waitcnt lgkmcnt(0)
	v_add_u32_e32 v7, v9, v7
	s_or_b64 exec, exec, s[76:77]
	s_and_saveexec_b64 s[76:77], s[34:35]
	s_cbranch_execnz .LBB228_91
.LBB228_59:                             ;   in Loop: Header=BB228_43 Depth=1
	s_or_b64 exec, exec, s[76:77]
	s_and_saveexec_b64 s[76:77], s[36:37]
	s_cbranch_execz .LBB228_92
.LBB228_60:                             ;   in Loop: Header=BB228_43 Depth=1
	ds_read_b32 v9, v4 offset:41024
	s_waitcnt lgkmcnt(0)
	v_add_u32_e32 v7, v9, v7
	s_or_b64 exec, exec, s[76:77]
	s_and_saveexec_b64 s[76:77], s[38:39]
	s_cbranch_execnz .LBB228_93
.LBB228_61:                             ;   in Loop: Header=BB228_43 Depth=1
	s_or_b64 exec, exec, s[76:77]
	s_and_saveexec_b64 s[76:77], s[40:41]
	s_cbranch_execz .LBB228_94
.LBB228_62:                             ;   in Loop: Header=BB228_43 Depth=1
	ds_read_b32 v9, v4 offset:41032
	s_waitcnt lgkmcnt(0)
	v_add_u32_e32 v7, v9, v7
	s_or_b64 exec, exec, s[76:77]
	s_and_saveexec_b64 s[76:77], s[42:43]
	s_cbranch_execnz .LBB228_95
.LBB228_63:                             ;   in Loop: Header=BB228_43 Depth=1
	s_or_b64 exec, exec, s[76:77]
	s_and_saveexec_b64 s[76:77], s[44:45]
	s_cbranch_execz .LBB228_96
.LBB228_64:                             ;   in Loop: Header=BB228_43 Depth=1
	ds_read_b32 v9, v4 offset:41040
	s_waitcnt lgkmcnt(0)
	v_add_u32_e32 v7, v9, v7
	s_or_b64 exec, exec, s[76:77]
	s_and_saveexec_b64 s[76:77], s[46:47]
	s_cbranch_execnz .LBB228_97
.LBB228_65:                             ;   in Loop: Header=BB228_43 Depth=1
	s_or_b64 exec, exec, s[76:77]
	s_and_saveexec_b64 s[76:77], s[48:49]
	s_cbranch_execz .LBB228_98
.LBB228_66:                             ;   in Loop: Header=BB228_43 Depth=1
	ds_read_b32 v9, v4 offset:41048
	s_waitcnt lgkmcnt(0)
	v_add_u32_e32 v7, v9, v7
	s_or_b64 exec, exec, s[76:77]
	s_and_saveexec_b64 s[76:77], s[50:51]
	s_cbranch_execnz .LBB228_99
.LBB228_67:                             ;   in Loop: Header=BB228_43 Depth=1
	s_or_b64 exec, exec, s[76:77]
	s_and_saveexec_b64 s[76:77], s[52:53]
	s_cbranch_execz .LBB228_100
.LBB228_68:                             ;   in Loop: Header=BB228_43 Depth=1
	ds_read_b32 v9, v4 offset:41056
	s_waitcnt lgkmcnt(0)
	v_add_u32_e32 v7, v9, v7
	s_or_b64 exec, exec, s[76:77]
	s_and_saveexec_b64 s[76:77], s[54:55]
	s_cbranch_execnz .LBB228_101
.LBB228_69:                             ;   in Loop: Header=BB228_43 Depth=1
	s_or_b64 exec, exec, s[76:77]
	s_and_saveexec_b64 s[76:77], s[56:57]
	s_cbranch_execz .LBB228_102
.LBB228_70:                             ;   in Loop: Header=BB228_43 Depth=1
	ds_read_b32 v9, v4 offset:41064
	s_waitcnt lgkmcnt(0)
	v_add_u32_e32 v7, v9, v7
	s_or_b64 exec, exec, s[76:77]
	s_and_saveexec_b64 s[76:77], s[58:59]
	s_cbranch_execnz .LBB228_103
.LBB228_71:                             ;   in Loop: Header=BB228_43 Depth=1
	s_or_b64 exec, exec, s[76:77]
	s_and_saveexec_b64 s[76:77], s[60:61]
	s_cbranch_execz .LBB228_104
.LBB228_72:                             ;   in Loop: Header=BB228_43 Depth=1
	ds_read_b32 v9, v4 offset:41072
	s_waitcnt lgkmcnt(0)
	v_add_u32_e32 v7, v9, v7
	s_or_b64 exec, exec, s[76:77]
	s_and_saveexec_b64 s[76:77], s[62:63]
	s_cbranch_execnz .LBB228_105
.LBB228_73:                             ;   in Loop: Header=BB228_43 Depth=1
	s_or_b64 exec, exec, s[76:77]
	s_and_saveexec_b64 s[76:77], s[64:65]
	s_cbranch_execz .LBB228_106
.LBB228_74:                             ;   in Loop: Header=BB228_43 Depth=1
	ds_read_b32 v9, v4 offset:41080
	s_waitcnt lgkmcnt(0)
	v_add_u32_e32 v7, v9, v7
	s_or_b64 exec, exec, s[76:77]
	s_and_saveexec_b64 s[76:77], vcc
	s_cbranch_execnz .LBB228_107
.LBB228_75:                             ;   in Loop: Header=BB228_43 Depth=1
	s_or_b64 exec, exec, s[76:77]
	s_and_saveexec_b64 s[76:77], s[0:1]
	s_cbranch_execz .LBB228_42
	s_branch .LBB228_108
.LBB228_76:                             ;   in Loop: Header=BB228_43 Depth=1
	s_or_b64 exec, exec, s[76:77]
	s_and_saveexec_b64 s[76:77], s[4:5]
	s_cbranch_execz .LBB228_45
.LBB228_77:                             ;   in Loop: Header=BB228_43 Depth=1
	ds_read_b32 v9, v4 offset:40964
	s_waitcnt lgkmcnt(0)
	v_add_u32_e32 v7, v9, v7
	s_or_b64 exec, exec, s[76:77]
	s_and_saveexec_b64 s[76:77], s[6:7]
	s_cbranch_execnz .LBB228_46
.LBB228_78:                             ;   in Loop: Header=BB228_43 Depth=1
	s_or_b64 exec, exec, s[76:77]
	s_and_saveexec_b64 s[76:77], s[8:9]
	s_cbranch_execz .LBB228_47
.LBB228_79:                             ;   in Loop: Header=BB228_43 Depth=1
	ds_read_b32 v9, v4 offset:40972
	s_waitcnt lgkmcnt(0)
	v_add_u32_e32 v7, v9, v7
	s_or_b64 exec, exec, s[76:77]
	s_and_saveexec_b64 s[76:77], s[10:11]
	s_cbranch_execnz .LBB228_48
.LBB228_80:                             ;   in Loop: Header=BB228_43 Depth=1
	s_or_b64 exec, exec, s[76:77]
	s_and_saveexec_b64 s[76:77], s[12:13]
	s_cbranch_execz .LBB228_49
.LBB228_81:                             ;   in Loop: Header=BB228_43 Depth=1
	ds_read_b32 v9, v4 offset:40980
	s_waitcnt lgkmcnt(0)
	v_add_u32_e32 v7, v9, v7
	s_or_b64 exec, exec, s[76:77]
	s_and_saveexec_b64 s[76:77], s[14:15]
	s_cbranch_execnz .LBB228_50
.LBB228_82:                             ;   in Loop: Header=BB228_43 Depth=1
	s_or_b64 exec, exec, s[76:77]
	s_and_saveexec_b64 s[76:77], s[16:17]
	s_cbranch_execz .LBB228_51
.LBB228_83:                             ;   in Loop: Header=BB228_43 Depth=1
	ds_read_b32 v9, v4 offset:40988
	s_waitcnt lgkmcnt(0)
	v_add_u32_e32 v7, v9, v7
	s_or_b64 exec, exec, s[76:77]
	s_and_saveexec_b64 s[76:77], s[18:19]
	s_cbranch_execnz .LBB228_52
.LBB228_84:                             ;   in Loop: Header=BB228_43 Depth=1
	s_or_b64 exec, exec, s[76:77]
	s_and_saveexec_b64 s[76:77], s[20:21]
	s_cbranch_execz .LBB228_53
.LBB228_85:                             ;   in Loop: Header=BB228_43 Depth=1
	ds_read_b32 v9, v4 offset:40996
	s_waitcnt lgkmcnt(0)
	v_add_u32_e32 v7, v9, v7
	s_or_b64 exec, exec, s[76:77]
	s_and_saveexec_b64 s[76:77], s[22:23]
	s_cbranch_execnz .LBB228_54
.LBB228_86:                             ;   in Loop: Header=BB228_43 Depth=1
	s_or_b64 exec, exec, s[76:77]
	s_and_saveexec_b64 s[76:77], s[24:25]
	s_cbranch_execz .LBB228_55
.LBB228_87:                             ;   in Loop: Header=BB228_43 Depth=1
	ds_read_b32 v9, v4 offset:41004
	s_waitcnt lgkmcnt(0)
	v_add_u32_e32 v7, v9, v7
	s_or_b64 exec, exec, s[76:77]
	s_and_saveexec_b64 s[76:77], s[26:27]
	s_cbranch_execnz .LBB228_56
.LBB228_88:                             ;   in Loop: Header=BB228_43 Depth=1
	s_or_b64 exec, exec, s[76:77]
	s_and_saveexec_b64 s[76:77], s[28:29]
	s_cbranch_execz .LBB228_57
.LBB228_89:                             ;   in Loop: Header=BB228_43 Depth=1
	ds_read_b32 v9, v4 offset:41012
	s_waitcnt lgkmcnt(0)
	v_add_u32_e32 v7, v9, v7
	s_or_b64 exec, exec, s[76:77]
	s_and_saveexec_b64 s[76:77], s[30:31]
	s_cbranch_execnz .LBB228_58
.LBB228_90:                             ;   in Loop: Header=BB228_43 Depth=1
	s_or_b64 exec, exec, s[76:77]
	s_and_saveexec_b64 s[76:77], s[34:35]
	s_cbranch_execz .LBB228_59
.LBB228_91:                             ;   in Loop: Header=BB228_43 Depth=1
	ds_read_b32 v9, v4 offset:41020
	s_waitcnt lgkmcnt(0)
	v_add_u32_e32 v7, v9, v7
	s_or_b64 exec, exec, s[76:77]
	s_and_saveexec_b64 s[76:77], s[36:37]
	s_cbranch_execnz .LBB228_60
.LBB228_92:                             ;   in Loop: Header=BB228_43 Depth=1
	s_or_b64 exec, exec, s[76:77]
	s_and_saveexec_b64 s[76:77], s[38:39]
	s_cbranch_execz .LBB228_61
.LBB228_93:                             ;   in Loop: Header=BB228_43 Depth=1
	ds_read_b32 v9, v4 offset:41028
	s_waitcnt lgkmcnt(0)
	v_add_u32_e32 v7, v9, v7
	s_or_b64 exec, exec, s[76:77]
	s_and_saveexec_b64 s[76:77], s[40:41]
	s_cbranch_execnz .LBB228_62
.LBB228_94:                             ;   in Loop: Header=BB228_43 Depth=1
	s_or_b64 exec, exec, s[76:77]
	s_and_saveexec_b64 s[76:77], s[42:43]
	s_cbranch_execz .LBB228_63
.LBB228_95:                             ;   in Loop: Header=BB228_43 Depth=1
	ds_read_b32 v9, v4 offset:41036
	s_waitcnt lgkmcnt(0)
	v_add_u32_e32 v7, v9, v7
	s_or_b64 exec, exec, s[76:77]
	s_and_saveexec_b64 s[76:77], s[44:45]
	s_cbranch_execnz .LBB228_64
.LBB228_96:                             ;   in Loop: Header=BB228_43 Depth=1
	s_or_b64 exec, exec, s[76:77]
	s_and_saveexec_b64 s[76:77], s[46:47]
	s_cbranch_execz .LBB228_65
.LBB228_97:                             ;   in Loop: Header=BB228_43 Depth=1
	ds_read_b32 v9, v4 offset:41044
	s_waitcnt lgkmcnt(0)
	v_add_u32_e32 v7, v9, v7
	s_or_b64 exec, exec, s[76:77]
	s_and_saveexec_b64 s[76:77], s[48:49]
	s_cbranch_execnz .LBB228_66
.LBB228_98:                             ;   in Loop: Header=BB228_43 Depth=1
	s_or_b64 exec, exec, s[76:77]
	s_and_saveexec_b64 s[76:77], s[50:51]
	s_cbranch_execz .LBB228_67
.LBB228_99:                             ;   in Loop: Header=BB228_43 Depth=1
	ds_read_b32 v9, v4 offset:41052
	s_waitcnt lgkmcnt(0)
	v_add_u32_e32 v7, v9, v7
	s_or_b64 exec, exec, s[76:77]
	s_and_saveexec_b64 s[76:77], s[52:53]
	s_cbranch_execnz .LBB228_68
.LBB228_100:                            ;   in Loop: Header=BB228_43 Depth=1
	s_or_b64 exec, exec, s[76:77]
	s_and_saveexec_b64 s[76:77], s[54:55]
	s_cbranch_execz .LBB228_69
.LBB228_101:                            ;   in Loop: Header=BB228_43 Depth=1
	ds_read_b32 v9, v4 offset:41060
	s_waitcnt lgkmcnt(0)
	v_add_u32_e32 v7, v9, v7
	s_or_b64 exec, exec, s[76:77]
	s_and_saveexec_b64 s[76:77], s[56:57]
	s_cbranch_execnz .LBB228_70
.LBB228_102:                            ;   in Loop: Header=BB228_43 Depth=1
	s_or_b64 exec, exec, s[76:77]
	s_and_saveexec_b64 s[76:77], s[58:59]
	s_cbranch_execz .LBB228_71
.LBB228_103:                            ;   in Loop: Header=BB228_43 Depth=1
	ds_read_b32 v9, v4 offset:41068
	s_waitcnt lgkmcnt(0)
	v_add_u32_e32 v7, v9, v7
	s_or_b64 exec, exec, s[76:77]
	s_and_saveexec_b64 s[76:77], s[60:61]
	s_cbranch_execnz .LBB228_72
.LBB228_104:                            ;   in Loop: Header=BB228_43 Depth=1
	s_or_b64 exec, exec, s[76:77]
	s_and_saveexec_b64 s[76:77], s[62:63]
	s_cbranch_execz .LBB228_73
.LBB228_105:                            ;   in Loop: Header=BB228_43 Depth=1
	ds_read_b32 v9, v4 offset:41076
	s_waitcnt lgkmcnt(0)
	v_add_u32_e32 v7, v9, v7
	s_or_b64 exec, exec, s[76:77]
	s_and_saveexec_b64 s[76:77], s[64:65]
	s_cbranch_execnz .LBB228_74
.LBB228_106:                            ;   in Loop: Header=BB228_43 Depth=1
	s_or_b64 exec, exec, s[76:77]
	s_and_saveexec_b64 s[76:77], vcc
	s_cbranch_execz .LBB228_75
.LBB228_107:                            ;   in Loop: Header=BB228_43 Depth=1
	scratch_load_dwordx4 v[10:13], off, off
	v_add3_u32 v9, v6, -1, v7
	v_add_u32_e32 v14, v6, v7
	v_lshl_add_u32 v9, v9, 2, 0
	v_lshl_add_u32 v14, v14, 4, 0
	v_add_u32_e32 v14, 0x1ff0, v14
	ds_write_b32 v9, v8
	s_waitcnt vmcnt(0)
	ds_write2_b64 v14, v[10:11], v[12:13] offset1:1
	s_or_b64 exec, exec, s[76:77]
	s_and_saveexec_b64 s[76:77], s[0:1]
	s_cbranch_execz .LBB228_42
.LBB228_108:                            ;   in Loop: Header=BB228_43 Depth=1
	ds_write_b32 v4, v7 offset:41084
	s_branch .LBB228_42
.LBB228_109:
	s_or_b64 exec, exec, s[68:69]
	s_ashr_i32 s75, s74, 31
	s_lshl_b64 s[0:1], s[74:75], 3
	s_add_u32 s4, s66, s0
	s_addc_u32 s5, s67, s1
	s_load_dwordx4 s[0:3], s[4:5], 0x0
	s_waitcnt lgkmcnt(0)
	s_sub_i32 s8, s2, s0
	v_cmp_gt_i32_e32 vcc, s8, v0
	s_and_saveexec_b64 s[4:5], vcc
	s_cbranch_execz .LBB228_119
; %bb.110:
	s_sub_u32 s4, s0, s70
	s_subb_u32 s5, s1, 0
	s_and_b32 s10, s8, 7
	s_sub_i32 s0, s0, s2
	s_cmp_lt_u32 s0, -7
	s_cselect_b64 s[0:1], -1, 0
	s_and_b32 s11, s8, -8
	s_cmp_lg_u32 s10, 0
	v_cndmask_b32_e64 v1, 0, 1, s[0:1]
	s_cselect_b64 s[2:3], -1, 0
	v_cmp_ne_u32_e64 s[0:1], 1, v1
	v_cndmask_b32_e64 v1, 0, 1, s[2:3]
	s_mov_b32 s9, 0
	s_mov_b64 s[6:7], 0
	v_cmp_ne_u32_e64 s[2:3], 1, v1
	s_movk_i32 s12, 0x2000
	s_branch .LBB228_112
.LBB228_111:                            ;   in Loop: Header=BB228_112 Depth=1
	s_waitcnt lgkmcnt(0)
	v_mul_lo_u32 v4, v0, 12
	v_add3_u32 v1, v1, v4, s12
	ds_read2_b64 v[4:7], v1 offset1:1
	v_add_u32_e32 v0, 0x400, v0
	v_cmp_le_i32_e32 vcc, s8, v0
	v_lshl_add_u64 v[2:3], v[2:3], 4, s[72:73]
	s_or_b64 s[6:7], vcc, s[6:7]
	s_waitcnt lgkmcnt(0)
	global_store_dwordx4 v[2:3], v[4:7], off
	s_andn2_b64 exec, exec, s[6:7]
	s_cbranch_execz .LBB228_119
.LBB228_112:                            ; =>This Loop Header: Depth=1
                                        ;     Child Loop BB228_114 Depth 2
                                        ;     Child Loop BB228_118 Depth 2
	v_lshl_add_u32 v1, v0, 2, 0
	ds_read_b32 v4, v1
	s_and_b64 vcc, exec, s[0:1]
	v_mov_b64_e32 v[2:3], s[4:5]
	s_mov_b32 s13, 0
	s_cbranch_vccnz .LBB228_116
; %bb.113:                              ;   in Loop: Header=BB228_112 Depth=1
	s_mov_b32 s14, 0
	v_mov_b64_e32 v[2:3], s[4:5]
.LBB228_114:                            ;   Parent Loop BB228_112 Depth=1
                                        ; =>  This Inner Loop Header: Depth=2
	v_mov_b32_e32 v5, s14
	ds_read2_b32 v[22:23], v5 offset1:1
	ds_read2_b32 v[24:25], v5 offset0:2 offset1:3
	ds_read2_b32 v[26:27], v5 offset0:4 offset1:5
	;; [unrolled: 1-line block ×3, first 2 shown]
	v_mov_b32_e32 v7, s9
	s_waitcnt lgkmcnt(3)
	v_cmp_gt_i32_e32 vcc, v4, v22
	v_mov_b32_e32 v9, s9
	v_mov_b32_e32 v11, s9
	v_cndmask_b32_e64 v6, 0, 1, vcc
	v_cmp_gt_i32_e32 vcc, v4, v23
	v_lshl_add_u64 v[2:3], v[2:3], 0, v[6:7]
	v_mov_b32_e32 v13, s9
	v_cndmask_b32_e64 v8, 0, 1, vcc
	s_waitcnt lgkmcnt(2)
	v_cmp_gt_i32_e32 vcc, v4, v24
	v_lshl_add_u64 v[2:3], v[2:3], 0, v[8:9]
	v_mov_b32_e32 v15, s9
	v_cndmask_b32_e64 v10, 0, 1, vcc
	v_cmp_gt_i32_e32 vcc, v4, v25
	v_lshl_add_u64 v[2:3], v[2:3], 0, v[10:11]
	v_mov_b32_e32 v17, s9
	v_cndmask_b32_e64 v12, 0, 1, vcc
	s_waitcnt lgkmcnt(1)
	v_cmp_gt_i32_e32 vcc, v4, v26
	v_lshl_add_u64 v[2:3], v[2:3], 0, v[12:13]
	;; [unrolled: 9-line block ×3, first 2 shown]
	s_add_i32 s13, s13, 8
	v_cndmask_b32_e64 v18, 0, 1, vcc
	v_cmp_gt_i32_e32 vcc, v4, v29
	s_add_i32 s14, s14, 32
	v_lshl_add_u64 v[2:3], v[2:3], 0, v[18:19]
	v_cndmask_b32_e64 v20, 0, 1, vcc
	s_cmp_eq_u32 s11, s13
	v_lshl_add_u64 v[2:3], v[2:3], 0, v[20:21]
	s_cbranch_scc0 .LBB228_114
; %bb.115:                              ;   in Loop: Header=BB228_112 Depth=1
	s_mov_b32 s13, s11
.LBB228_116:                            ;   in Loop: Header=BB228_112 Depth=1
	s_and_b64 vcc, exec, s[2:3]
	s_cbranch_vccnz .LBB228_111
; %bb.117:                              ;   in Loop: Header=BB228_112 Depth=1
	s_lshl_b32 s13, s13, 2
	s_add_i32 s13, s13, 0
	s_mov_b32 s14, s10
.LBB228_118:                            ;   Parent Loop BB228_112 Depth=1
                                        ; =>  This Inner Loop Header: Depth=2
	v_mov_b32_e32 v5, s13
	ds_read_b32 v5, v5
	v_mov_b32_e32 v7, s9
	s_add_i32 s13, s13, 4
	s_add_i32 s14, s14, -1
	s_cmp_lg_u32 s14, 0
	s_waitcnt lgkmcnt(0)
	v_cmp_gt_i32_e32 vcc, v4, v5
	s_nop 1
	v_cndmask_b32_e64 v6, 0, 1, vcc
	v_lshl_add_u64 v[2:3], v[2:3], 0, v[6:7]
	s_cbranch_scc1 .LBB228_118
	s_branch .LBB228_111
.LBB228_119:
	s_endpgm
	.section	.rodata,"a",@progbits
	.p2align	6, 0x0
	.amdhsa_kernel _ZN9rocsparseL41csrgemm_numeric_fill_block_per_row_kernelILj1024ELj32ELj2048ELj137ELj32Eli21rocsparse_complex_numIdEEEvT5_PKS3_S5_NS_24const_host_device_scalarIT6_EEPKT4_S5_PKS7_SB_S5_SD_S8_SB_S5_SD_SB_S5_PS7_21rocsparse_index_base_SF_SF_SF_bbb
		.amdhsa_group_segment_fixed_size 0
		.amdhsa_private_segment_fixed_size 40
		.amdhsa_kernarg_size 172
		.amdhsa_user_sgpr_count 2
		.amdhsa_user_sgpr_dispatch_ptr 0
		.amdhsa_user_sgpr_queue_ptr 0
		.amdhsa_user_sgpr_kernarg_segment_ptr 1
		.amdhsa_user_sgpr_dispatch_id 0
		.amdhsa_user_sgpr_kernarg_preload_length 0
		.amdhsa_user_sgpr_kernarg_preload_offset 0
		.amdhsa_user_sgpr_private_segment_size 0
		.amdhsa_uses_dynamic_stack 0
		.amdhsa_enable_private_segment 1
		.amdhsa_system_sgpr_workgroup_id_x 1
		.amdhsa_system_sgpr_workgroup_id_y 0
		.amdhsa_system_sgpr_workgroup_id_z 0
		.amdhsa_system_sgpr_workgroup_info 0
		.amdhsa_system_vgpr_workitem_id 0
		.amdhsa_next_free_vgpr 33
		.amdhsa_next_free_sgpr 78
		.amdhsa_accum_offset 36
		.amdhsa_reserve_vcc 1
		.amdhsa_float_round_mode_32 0
		.amdhsa_float_round_mode_16_64 0
		.amdhsa_float_denorm_mode_32 3
		.amdhsa_float_denorm_mode_16_64 3
		.amdhsa_dx10_clamp 1
		.amdhsa_ieee_mode 1
		.amdhsa_fp16_overflow 0
		.amdhsa_tg_split 0
		.amdhsa_exception_fp_ieee_invalid_op 0
		.amdhsa_exception_fp_denorm_src 0
		.amdhsa_exception_fp_ieee_div_zero 0
		.amdhsa_exception_fp_ieee_overflow 0
		.amdhsa_exception_fp_ieee_underflow 0
		.amdhsa_exception_fp_ieee_inexact 0
		.amdhsa_exception_int_div_zero 0
	.end_amdhsa_kernel
	.section	.text._ZN9rocsparseL41csrgemm_numeric_fill_block_per_row_kernelILj1024ELj32ELj2048ELj137ELj32Eli21rocsparse_complex_numIdEEEvT5_PKS3_S5_NS_24const_host_device_scalarIT6_EEPKT4_S5_PKS7_SB_S5_SD_S8_SB_S5_SD_SB_S5_PS7_21rocsparse_index_base_SF_SF_SF_bbb,"axG",@progbits,_ZN9rocsparseL41csrgemm_numeric_fill_block_per_row_kernelILj1024ELj32ELj2048ELj137ELj32Eli21rocsparse_complex_numIdEEEvT5_PKS3_S5_NS_24const_host_device_scalarIT6_EEPKT4_S5_PKS7_SB_S5_SD_S8_SB_S5_SD_SB_S5_PS7_21rocsparse_index_base_SF_SF_SF_bbb,comdat
.Lfunc_end228:
	.size	_ZN9rocsparseL41csrgemm_numeric_fill_block_per_row_kernelILj1024ELj32ELj2048ELj137ELj32Eli21rocsparse_complex_numIdEEEvT5_PKS3_S5_NS_24const_host_device_scalarIT6_EEPKT4_S5_PKS7_SB_S5_SD_S8_SB_S5_SD_SB_S5_PS7_21rocsparse_index_base_SF_SF_SF_bbb, .Lfunc_end228-_ZN9rocsparseL41csrgemm_numeric_fill_block_per_row_kernelILj1024ELj32ELj2048ELj137ELj32Eli21rocsparse_complex_numIdEEEvT5_PKS3_S5_NS_24const_host_device_scalarIT6_EEPKT4_S5_PKS7_SB_S5_SD_S8_SB_S5_SD_SB_S5_PS7_21rocsparse_index_base_SF_SF_SF_bbb
                                        ; -- End function
	.set _ZN9rocsparseL41csrgemm_numeric_fill_block_per_row_kernelILj1024ELj32ELj2048ELj137ELj32Eli21rocsparse_complex_numIdEEEvT5_PKS3_S5_NS_24const_host_device_scalarIT6_EEPKT4_S5_PKS7_SB_S5_SD_S8_SB_S5_SD_SB_S5_PS7_21rocsparse_index_base_SF_SF_SF_bbb.num_vgpr, 33
	.set _ZN9rocsparseL41csrgemm_numeric_fill_block_per_row_kernelILj1024ELj32ELj2048ELj137ELj32Eli21rocsparse_complex_numIdEEEvT5_PKS3_S5_NS_24const_host_device_scalarIT6_EEPKT4_S5_PKS7_SB_S5_SD_S8_SB_S5_SD_SB_S5_PS7_21rocsparse_index_base_SF_SF_SF_bbb.num_agpr, 0
	.set _ZN9rocsparseL41csrgemm_numeric_fill_block_per_row_kernelILj1024ELj32ELj2048ELj137ELj32Eli21rocsparse_complex_numIdEEEvT5_PKS3_S5_NS_24const_host_device_scalarIT6_EEPKT4_S5_PKS7_SB_S5_SD_S8_SB_S5_SD_SB_S5_PS7_21rocsparse_index_base_SF_SF_SF_bbb.numbered_sgpr, 78
	.set _ZN9rocsparseL41csrgemm_numeric_fill_block_per_row_kernelILj1024ELj32ELj2048ELj137ELj32Eli21rocsparse_complex_numIdEEEvT5_PKS3_S5_NS_24const_host_device_scalarIT6_EEPKT4_S5_PKS7_SB_S5_SD_S8_SB_S5_SD_SB_S5_PS7_21rocsparse_index_base_SF_SF_SF_bbb.num_named_barrier, 0
	.set _ZN9rocsparseL41csrgemm_numeric_fill_block_per_row_kernelILj1024ELj32ELj2048ELj137ELj32Eli21rocsparse_complex_numIdEEEvT5_PKS3_S5_NS_24const_host_device_scalarIT6_EEPKT4_S5_PKS7_SB_S5_SD_S8_SB_S5_SD_SB_S5_PS7_21rocsparse_index_base_SF_SF_SF_bbb.private_seg_size, 40
	.set _ZN9rocsparseL41csrgemm_numeric_fill_block_per_row_kernelILj1024ELj32ELj2048ELj137ELj32Eli21rocsparse_complex_numIdEEEvT5_PKS3_S5_NS_24const_host_device_scalarIT6_EEPKT4_S5_PKS7_SB_S5_SD_S8_SB_S5_SD_SB_S5_PS7_21rocsparse_index_base_SF_SF_SF_bbb.uses_vcc, 1
	.set _ZN9rocsparseL41csrgemm_numeric_fill_block_per_row_kernelILj1024ELj32ELj2048ELj137ELj32Eli21rocsparse_complex_numIdEEEvT5_PKS3_S5_NS_24const_host_device_scalarIT6_EEPKT4_S5_PKS7_SB_S5_SD_S8_SB_S5_SD_SB_S5_PS7_21rocsparse_index_base_SF_SF_SF_bbb.uses_flat_scratch, 0
	.set _ZN9rocsparseL41csrgemm_numeric_fill_block_per_row_kernelILj1024ELj32ELj2048ELj137ELj32Eli21rocsparse_complex_numIdEEEvT5_PKS3_S5_NS_24const_host_device_scalarIT6_EEPKT4_S5_PKS7_SB_S5_SD_S8_SB_S5_SD_SB_S5_PS7_21rocsparse_index_base_SF_SF_SF_bbb.has_dyn_sized_stack, 0
	.set _ZN9rocsparseL41csrgemm_numeric_fill_block_per_row_kernelILj1024ELj32ELj2048ELj137ELj32Eli21rocsparse_complex_numIdEEEvT5_PKS3_S5_NS_24const_host_device_scalarIT6_EEPKT4_S5_PKS7_SB_S5_SD_S8_SB_S5_SD_SB_S5_PS7_21rocsparse_index_base_SF_SF_SF_bbb.has_recursion, 0
	.set _ZN9rocsparseL41csrgemm_numeric_fill_block_per_row_kernelILj1024ELj32ELj2048ELj137ELj32Eli21rocsparse_complex_numIdEEEvT5_PKS3_S5_NS_24const_host_device_scalarIT6_EEPKT4_S5_PKS7_SB_S5_SD_S8_SB_S5_SD_SB_S5_PS7_21rocsparse_index_base_SF_SF_SF_bbb.has_indirect_call, 0
	.section	.AMDGPU.csdata,"",@progbits
; Kernel info:
; codeLenInByte = 4120
; TotalNumSgprs: 84
; NumVgprs: 33
; NumAgprs: 0
; TotalNumVgprs: 33
; ScratchSize: 40
; MemoryBound: 0
; FloatMode: 240
; IeeeMode: 1
; LDSByteSize: 0 bytes/workgroup (compile time only)
; SGPRBlocks: 10
; VGPRBlocks: 4
; NumSGPRsForWavesPerEU: 84
; NumVGPRsForWavesPerEU: 33
; AccumOffset: 36
; Occupancy: 8
; WaveLimiterHint : 1
; COMPUTE_PGM_RSRC2:SCRATCH_EN: 1
; COMPUTE_PGM_RSRC2:USER_SGPR: 2
; COMPUTE_PGM_RSRC2:TRAP_HANDLER: 0
; COMPUTE_PGM_RSRC2:TGID_X_EN: 1
; COMPUTE_PGM_RSRC2:TGID_Y_EN: 0
; COMPUTE_PGM_RSRC2:TGID_Z_EN: 0
; COMPUTE_PGM_RSRC2:TIDIG_COMP_CNT: 0
; COMPUTE_PGM_RSRC3_GFX90A:ACCUM_OFFSET: 8
; COMPUTE_PGM_RSRC3_GFX90A:TG_SPLIT: 0
	.section	.text._ZN9rocsparseL41csrgemm_numeric_fill_block_per_row_kernelILj1024ELj32ELj2048ELj137ELj64Eli21rocsparse_complex_numIdEEEvT5_PKS3_S5_NS_24const_host_device_scalarIT6_EEPKT4_S5_PKS7_SB_S5_SD_S8_SB_S5_SD_SB_S5_PS7_21rocsparse_index_base_SF_SF_SF_bbb,"axG",@progbits,_ZN9rocsparseL41csrgemm_numeric_fill_block_per_row_kernelILj1024ELj32ELj2048ELj137ELj64Eli21rocsparse_complex_numIdEEEvT5_PKS3_S5_NS_24const_host_device_scalarIT6_EEPKT4_S5_PKS7_SB_S5_SD_S8_SB_S5_SD_SB_S5_PS7_21rocsparse_index_base_SF_SF_SF_bbb,comdat
	.globl	_ZN9rocsparseL41csrgemm_numeric_fill_block_per_row_kernelILj1024ELj32ELj2048ELj137ELj64Eli21rocsparse_complex_numIdEEEvT5_PKS3_S5_NS_24const_host_device_scalarIT6_EEPKT4_S5_PKS7_SB_S5_SD_S8_SB_S5_SD_SB_S5_PS7_21rocsparse_index_base_SF_SF_SF_bbb ; -- Begin function _ZN9rocsparseL41csrgemm_numeric_fill_block_per_row_kernelILj1024ELj32ELj2048ELj137ELj64Eli21rocsparse_complex_numIdEEEvT5_PKS3_S5_NS_24const_host_device_scalarIT6_EEPKT4_S5_PKS7_SB_S5_SD_S8_SB_S5_SD_SB_S5_PS7_21rocsparse_index_base_SF_SF_SF_bbb
	.p2align	8
	.type	_ZN9rocsparseL41csrgemm_numeric_fill_block_per_row_kernelILj1024ELj32ELj2048ELj137ELj64Eli21rocsparse_complex_numIdEEEvT5_PKS3_S5_NS_24const_host_device_scalarIT6_EEPKT4_S5_PKS7_SB_S5_SD_S8_SB_S5_SD_SB_S5_PS7_21rocsparse_index_base_SF_SF_SF_bbb,@function
_ZN9rocsparseL41csrgemm_numeric_fill_block_per_row_kernelILj1024ELj32ELj2048ELj137ELj64Eli21rocsparse_complex_numIdEEEvT5_PKS3_S5_NS_24const_host_device_scalarIT6_EEPKT4_S5_PKS7_SB_S5_SD_S8_SB_S5_SD_SB_S5_PS7_21rocsparse_index_base_SF_SF_SF_bbb: ; @_ZN9rocsparseL41csrgemm_numeric_fill_block_per_row_kernelILj1024ELj32ELj2048ELj137ELj64Eli21rocsparse_complex_numIdEEEvT5_PKS3_S5_NS_24const_host_device_scalarIT6_EEPKT4_S5_PKS7_SB_S5_SD_S8_SB_S5_SD_SB_S5_PS7_21rocsparse_index_base_SF_SF_SF_bbb
; %bb.0:
	s_load_dword s3, s[0:1], 0xa8
	s_load_dwordx4 s[44:47], s[0:1], 0x98
	s_load_dwordx4 s[8:11], s[0:1], 0x18
	;; [unrolled: 1-line block ×3, first 2 shown]
	v_mov_b64_e32 v[6:7], 0
	s_waitcnt lgkmcnt(0)
	s_bitcmp1_b32 s3, 0
	s_cselect_b64 s[28:29], -1, 0
	s_bitcmp1_b32 s3, 16
	s_cselect_b64 s[30:31], -1, 0
	s_xor_b64 s[4:5], s[30:31], -1
	v_mov_b64_e32 v[2:3], s[8:9]
	v_cndmask_b32_e64 v1, 0, 1, s[4:5]
	scratch_store_dwordx2 off, v[2:3], off offset:16
	v_mov_b64_e32 v[2:3], s[24:25]
	s_bitcmp0_b32 s3, 0
	v_cmp_ne_u32_e64 s[4:5], 1, v1
	v_mov_b64_e32 v[10:11], 0
	v_mov_b64_e32 v[12:13], 0
	scratch_store_dwordx2 off, v[2:3], off offset:24
	s_cbranch_scc1 .LBB229_3
; %bb.1:
	s_mov_b64 s[6:7], src_private_base
	s_and_b64 s[12:13], s[30:31], exec
	s_cselect_b32 s6, s7, s9
	s_cselect_b32 s7, 16, s8
	v_mov_b32_e32 v2, s7
	v_mov_b32_e32 v3, s6
	flat_load_dwordx2 v[10:11], v[2:3]
	s_and_b64 vcc, exec, s[4:5]
	v_mov_b64_e32 v[12:13], s[10:11]
	s_cbranch_vccnz .LBB229_3
; %bb.2:
	v_mov_b64_e32 v[2:3], s[8:9]
	flat_load_dwordx2 v[12:13], v[2:3] offset:8
.LBB229_3:
	s_load_dwordx2 s[34:35], s[0:1], 0x90
	s_load_dwordx8 s[36:43], s[0:1], 0x68
	s_load_dwordx4 s[16:19], s[0:1], 0x48
	s_load_dwordx4 s[20:23], s[0:1], 0x8
	s_load_dwordx8 s[8:15], s[0:1], 0x28
	s_bitcmp1_b32 s3, 8
	s_cselect_b64 s[6:7], -1, 0
	s_bfe_u32 s3, s3, 0x10008
	s_cmp_eq_u32 s3, 0
	v_mov_b64_e32 v[8:9], 0
	s_cbranch_scc1 .LBB229_6
; %bb.4:
	s_mov_b64 s[48:49], src_private_base
	s_and_b64 s[30:31], s[30:31], exec
	s_cselect_b32 s3, s49, s25
	s_cselect_b32 s30, 24, s24
	v_mov_b32_e32 v2, s30
	v_mov_b32_e32 v3, s3
	flat_load_dwordx2 v[8:9], v[2:3]
	s_and_b64 vcc, exec, s[4:5]
	v_mov_b64_e32 v[6:7], s[26:27]
	s_cbranch_vccnz .LBB229_6
; %bb.5:
	v_mov_b64_e32 v[2:3], s[24:25]
	flat_load_dwordx2 v[6:7], v[2:3] offset:8
.LBB229_6:
	s_load_dword s33, s[0:1], 0x0
	s_mov_b32 s4, 0
	v_lshl_add_u32 v1, v0, 4, 0
	v_add_u32_e32 v1, 0x2000, v1
	v_or_b32_e32 v26, 0xfffffc00, v0
	v_lshl_add_u32 v27, v0, 2, 0
	s_mov_b32 s5, s4
	s_mov_b32 s24, s4
	;; [unrolled: 1-line block ×3, first 2 shown]
	s_mov_b64 s[0:1], 0
	s_waitcnt lgkmcnt(0)
	v_mov_b32_e32 v17, s33
	v_mov_b64_e32 v[2:3], s[4:5]
	v_mov_b64_e32 v[4:5], s[24:25]
	v_mov_b32_e32 v14, v27
	v_mov_b32_e32 v15, v26
	;; [unrolled: 1-line block ×3, first 2 shown]
.LBB229_7:                              ; =>This Inner Loop Header: Depth=1
	v_add_co_u32_e32 v15, vcc, 0x400, v15
	s_xor_b64 s[4:5], vcc, -1
	s_and_b64 s[4:5], exec, s[4:5]
	ds_write_b32 v14, v17
	ds_write2_b64 v16, v[2:3], v[4:5] offset1:1
	v_add_u32_e32 v16, 0x4000, v16
	s_or_b64 s[0:1], s[4:5], s[0:1]
	v_add_u32_e32 v14, 0x1000, v14
	s_andn2_b64 exec, exec, s[0:1]
	s_cbranch_execnz .LBB229_7
; %bb.8:
	s_or_b64 exec, exec, s[0:1]
	s_waitcnt lgkmcnt(0)
	s_barrier
	s_load_dword s0, s[20:21], 0x0
	s_mov_b32 s1, 0
	s_waitcnt lgkmcnt(0)
	s_add_i32 s0, s0, s2
	s_lshl_b64 s[0:1], s[0:1], 2
	s_add_u32 s0, s22, s0
	s_addc_u32 s1, s23, s1
	s_load_dword s48, s[0:1], 0x0
	s_and_b64 vcc, exec, s[28:29]
	s_cbranch_vccz .LBB229_26
; %bb.9:
	s_waitcnt lgkmcnt(0)
	s_ashr_i32 s49, s48, 31
	s_lshl_b64 s[0:1], s[48:49], 3
	s_add_u32 s0, s8, s0
	s_addc_u32 s1, s9, s1
	s_load_dwordx4 s[20:23], s[0:1], 0x0
	v_lshrrev_b32_e32 v2, 5, v0
	v_subrev_co_u32_e32 v2, vcc, s44, v2
	s_waitcnt lgkmcnt(0)
	s_sub_u32 s0, s22, s44
	v_subb_co_u32_e64 v3, s[2:3], 0, 0, vcc
	s_subb_u32 s1, s23, 0
	v_lshl_add_u64 v[14:15], s[20:21], 0, v[2:3]
	v_cmp_gt_i64_e32 vcc, s[0:1], v[14:15]
	s_and_saveexec_b64 s[2:3], vcc
	s_cbranch_execz .LBB229_25
; %bb.10:
	v_and_b32_e32 v2, 31, v0
	v_subrev_co_u32_e32 v16, vcc, s45, v2
	s_mov_b32 s49, s45
	s_nop 0
	v_subb_co_u32_e64 v17, s[4:5], 0, 0, vcc
	s_mov_b64 s[4:5], 0
	s_movk_i32 s50, 0x89
	s_branch .LBB229_12
.LBB229_11:                             ;   in Loop: Header=BB229_12 Depth=1
	s_or_b64 exec, exec, s[8:9]
	v_lshl_add_u64 v[14:15], v[14:15], 0, 32
	v_cmp_le_i64_e32 vcc, s[0:1], v[14:15]
	s_or_b64 s[4:5], vcc, s[4:5]
	s_andn2_b64 exec, exec, s[4:5]
	s_cbranch_execz .LBB229_25
.LBB229_12:                             ; =>This Loop Header: Depth=1
                                        ;     Child Loop BB229_16 Depth 2
                                        ;       Child Loop BB229_19 Depth 3
	v_lshl_add_u64 v[2:3], v[14:15], 2, s[10:11]
	global_load_dword v2, v[2:3], off
	s_waitcnt vmcnt(0)
	v_subrev_u32_e32 v2, s44, v2
	v_ashrrev_i32_e32 v3, 31, v2
	v_lshl_add_u64 v[2:3], v[2:3], 3, s[14:15]
	global_load_dwordx4 v[2:5], v[2:3], off
	s_waitcnt vmcnt(0)
	v_subrev_co_u32_e32 v18, vcc, s49, v4
	s_nop 1
	v_subbrev_co_u32_e32 v19, vcc, 0, v5, vcc
	v_lshl_add_u64 v[20:21], v[2:3], 0, v[16:17]
	v_cmp_lt_i64_e32 vcc, v[20:21], v[18:19]
	s_and_saveexec_b64 s[8:9], vcc
	s_cbranch_execz .LBB229_11
; %bb.13:                               ;   in Loop: Header=BB229_12 Depth=1
	v_lshl_add_u64 v[2:3], v[14:15], 4, s[12:13]
	global_load_dwordx4 v[2:5], v[2:3], off
	s_mov_b64 s[20:21], 0
	s_waitcnt vmcnt(0)
	v_mul_f64 v[22:23], v[4:5], -v[12:13]
	v_mul_f64 v[24:25], v[10:11], v[4:5]
	v_fmac_f64_e32 v[22:23], v[10:11], v[2:3]
	v_fmac_f64_e32 v[24:25], v[12:13], v[2:3]
	s_branch .LBB229_16
.LBB229_14:                             ;   in Loop: Header=BB229_16 Depth=2
	s_or_b64 exec, exec, s[24:25]
.LBB229_15:                             ;   in Loop: Header=BB229_16 Depth=2
	s_or_b64 exec, exec, s[22:23]
	s_waitcnt vmcnt(0)
	v_mul_f64 v[30:31], v[4:5], -v[24:25]
	v_mul_f64 v[4:5], v[22:23], v[4:5]
	v_fmac_f64_e32 v[30:31], v[22:23], v[2:3]
	v_fmac_f64_e32 v[4:5], v[24:25], v[2:3]
	v_lshl_add_u32 v2, v28, 4, 0
	ds_add_f64 v2, v[30:31] offset:8192
	ds_add_f64 v2, v[4:5] offset:8200
	v_lshl_add_u64 v[20:21], v[20:21], 0, 32
	v_cmp_ge_i64_e32 vcc, v[20:21], v[18:19]
	s_or_b64 s[20:21], vcc, s[20:21]
	s_andn2_b64 exec, exec, s[20:21]
	s_cbranch_execz .LBB229_11
.LBB229_16:                             ;   Parent Loop BB229_12 Depth=1
                                        ; =>  This Loop Header: Depth=2
                                        ;       Child Loop BB229_19 Depth 3
	v_lshl_add_u64 v[2:3], v[20:21], 2, s[16:17]
	global_load_dword v28, v[2:3], off
	v_lshl_add_u64 v[2:3], v[20:21], 4, s[18:19]
	global_load_dwordx4 v[2:5], v[2:3], off
	s_waitcnt vmcnt(1)
	v_subrev_u32_e32 v29, s45, v28
	v_mul_lo_u32 v28, v29, s50
	v_and_b32_e32 v28, 0x7ff, v28
	v_lshl_add_u32 v30, v28, 2, 0
	ds_read_b32 v31, v30
	s_waitcnt lgkmcnt(0)
	v_cmp_ne_u32_e32 vcc, v31, v29
	s_and_saveexec_b64 s[22:23], vcc
	s_cbranch_execz .LBB229_15
; %bb.17:                               ;   in Loop: Header=BB229_16 Depth=2
	s_mov_b64 s[24:25], 0
	s_branch .LBB229_19
.LBB229_18:                             ;   in Loop: Header=BB229_19 Depth=3
	s_or_b64 exec, exec, s[30:31]
	s_and_b64 s[26:27], exec, s[28:29]
	s_or_b64 s[24:25], s[26:27], s[24:25]
	s_andn2_b64 exec, exec, s[24:25]
	s_cbranch_execz .LBB229_14
.LBB229_19:                             ;   Parent Loop BB229_12 Depth=1
                                        ;     Parent Loop BB229_16 Depth=2
                                        ; =>    This Inner Loop Header: Depth=3
	v_cmp_ne_u32_e32 vcc, s33, v31
	s_mov_b64 s[26:27], 0
	s_and_saveexec_b64 s[28:29], vcc
	s_xor_b64 s[28:29], exec, s[28:29]
	s_cbranch_execz .LBB229_21
; %bb.20:                               ;   in Loop: Header=BB229_19 Depth=3
	v_add_u32_e32 v28, 1, v28
	s_mov_b64 s[26:27], exec
	v_and_b32_e32 v28, 0x7ff, v28
                                        ; implicit-def: $vgpr30
	s_andn2_saveexec_b64 s[28:29], s[28:29]
	s_cbranch_execz .LBB229_23
	s_branch .LBB229_22
.LBB229_21:                             ;   in Loop: Header=BB229_19 Depth=3
	s_andn2_saveexec_b64 s[28:29], s[28:29]
	s_cbranch_execz .LBB229_23
.LBB229_22:                             ;   in Loop: Header=BB229_19 Depth=3
	v_mov_b32_e32 v31, s33
	ds_cmpst_rtn_b32 v30, v30, v31, v29
	s_andn2_b64 s[26:27], s[26:27], exec
	s_waitcnt lgkmcnt(0)
	v_cmp_ne_u32_e32 vcc, s33, v30
	s_and_b64 s[30:31], vcc, exec
	s_or_b64 s[26:27], s[26:27], s[30:31]
.LBB229_23:                             ;   in Loop: Header=BB229_19 Depth=3
	s_or_b64 exec, exec, s[28:29]
	s_mov_b64 s[28:29], -1
                                        ; implicit-def: $vgpr30
                                        ; implicit-def: $vgpr31
	s_and_saveexec_b64 s[30:31], s[26:27]
	s_cbranch_execz .LBB229_18
; %bb.24:                               ;   in Loop: Header=BB229_19 Depth=3
	v_lshl_add_u32 v30, v28, 2, 0
	ds_read_b32 v31, v30
	s_waitcnt lgkmcnt(0)
	v_cmp_eq_u32_e32 vcc, v31, v29
	s_orn2_b64 s[28:29], vcc, exec
	s_branch .LBB229_18
.LBB229_25:
	s_or_b64 exec, exec, s[2:3]
.LBB229_26:
	s_andn2_b64 vcc, exec, s[6:7]
	s_cbranch_vccnz .LBB229_41
; %bb.27:
	s_waitcnt lgkmcnt(0)
	s_ashr_i32 s49, s48, 31
	s_lshl_b64 s[0:1], s[48:49], 3
	s_add_u32 s0, s36, s0
	s_addc_u32 s1, s37, s1
	s_load_dwordx4 s[4:7], s[0:1], 0x0
	v_subrev_co_u32_e32 v2, vcc, s47, v0
	s_nop 1
	v_subb_co_u32_e64 v3, s[0:1], 0, 0, vcc
	s_waitcnt lgkmcnt(0)
	s_sub_u32 s0, s6, s47
	s_subb_u32 s1, s7, 0
	s_waitcnt vmcnt(0)
	v_lshl_add_u64 v[10:11], s[4:5], 0, v[2:3]
	v_cmp_gt_i64_e32 vcc, s[0:1], v[10:11]
	s_and_saveexec_b64 s[2:3], vcc
	s_cbranch_execz .LBB229_40
; %bb.28:
	s_mov_b64 s[4:5], 0
	s_movk_i32 s18, 0x89
	s_mov_b64 s[6:7], 0x400
	s_branch .LBB229_31
.LBB229_29:                             ;   in Loop: Header=BB229_31 Depth=1
	s_or_b64 exec, exec, s[10:11]
.LBB229_30:                             ;   in Loop: Header=BB229_31 Depth=1
	s_or_b64 exec, exec, s[8:9]
	s_waitcnt vmcnt(0)
	v_mul_f64 v[14:15], v[4:5], -v[6:7]
	v_mul_f64 v[4:5], v[8:9], v[4:5]
	v_fmac_f64_e32 v[14:15], v[8:9], v[2:3]
	v_fmac_f64_e32 v[4:5], v[6:7], v[2:3]
	v_lshl_add_u32 v2, v12, 4, 0
	ds_add_f64 v2, v[14:15] offset:8192
	ds_add_f64 v2, v[4:5] offset:8200
	v_lshl_add_u64 v[10:11], v[10:11], 0, s[6:7]
	v_cmp_le_i64_e32 vcc, s[0:1], v[10:11]
	s_or_b64 s[4:5], vcc, s[4:5]
	s_andn2_b64 exec, exec, s[4:5]
	s_cbranch_execz .LBB229_40
.LBB229_31:                             ; =>This Loop Header: Depth=1
                                        ;     Child Loop BB229_34 Depth 2
	v_lshl_add_u64 v[2:3], v[10:11], 2, s[38:39]
	global_load_dword v12, v[2:3], off
	v_lshl_add_u64 v[2:3], v[10:11], 4, s[40:41]
	global_load_dwordx4 v[2:5], v[2:3], off
	s_waitcnt vmcnt(1)
	v_subrev_u32_e32 v13, s47, v12
	v_mul_lo_u32 v12, v13, s18
	v_and_b32_e32 v12, 0x7ff, v12
	v_lshl_add_u32 v14, v12, 2, 0
	ds_read_b32 v15, v14
	s_waitcnt lgkmcnt(0)
	v_cmp_ne_u32_e32 vcc, v15, v13
	s_and_saveexec_b64 s[8:9], vcc
	s_cbranch_execz .LBB229_30
; %bb.32:                               ;   in Loop: Header=BB229_31 Depth=1
	s_mov_b64 s[10:11], 0
	s_branch .LBB229_34
.LBB229_33:                             ;   in Loop: Header=BB229_34 Depth=2
	s_or_b64 exec, exec, s[16:17]
	s_and_b64 s[12:13], exec, s[14:15]
	s_or_b64 s[10:11], s[12:13], s[10:11]
	s_andn2_b64 exec, exec, s[10:11]
	s_cbranch_execz .LBB229_29
.LBB229_34:                             ;   Parent Loop BB229_31 Depth=1
                                        ; =>  This Inner Loop Header: Depth=2
	v_cmp_ne_u32_e32 vcc, s33, v15
	s_mov_b64 s[12:13], 0
	s_and_saveexec_b64 s[14:15], vcc
	s_xor_b64 s[14:15], exec, s[14:15]
	s_cbranch_execz .LBB229_36
; %bb.35:                               ;   in Loop: Header=BB229_34 Depth=2
	v_add_u32_e32 v12, 1, v12
	s_mov_b64 s[12:13], exec
	v_and_b32_e32 v12, 0x7ff, v12
                                        ; implicit-def: $vgpr14
	s_andn2_saveexec_b64 s[14:15], s[14:15]
	s_cbranch_execz .LBB229_38
	s_branch .LBB229_37
.LBB229_36:                             ;   in Loop: Header=BB229_34 Depth=2
	s_andn2_saveexec_b64 s[14:15], s[14:15]
	s_cbranch_execz .LBB229_38
.LBB229_37:                             ;   in Loop: Header=BB229_34 Depth=2
	v_mov_b32_e32 v15, s33
	ds_cmpst_rtn_b32 v14, v14, v15, v13
	s_andn2_b64 s[12:13], s[12:13], exec
	s_waitcnt lgkmcnt(0)
	v_cmp_ne_u32_e32 vcc, s33, v14
	s_and_b64 s[16:17], vcc, exec
	s_or_b64 s[12:13], s[12:13], s[16:17]
.LBB229_38:                             ;   in Loop: Header=BB229_34 Depth=2
	s_or_b64 exec, exec, s[14:15]
	s_mov_b64 s[14:15], -1
                                        ; implicit-def: $vgpr14
                                        ; implicit-def: $vgpr15
	s_and_saveexec_b64 s[16:17], s[12:13]
	s_cbranch_execz .LBB229_33
; %bb.39:                               ;   in Loop: Header=BB229_34 Depth=2
	v_lshl_add_u32 v14, v12, 2, 0
	ds_read_b32 v15, v14
	s_waitcnt lgkmcnt(0)
	v_cmp_eq_u32_e32 vcc, v15, v13
	s_orn2_b64 s[14:15], vcc, exec
	s_branch .LBB229_33
.LBB229_40:
	s_or_b64 exec, exec, s[2:3]
.LBB229_41:
	v_mbcnt_lo_u32_b32 v2, -1, 0
	v_mbcnt_hi_u32_b32 v2, -1, v2
	v_lshrrev_b32_e32 v5, 4, v0
	v_sub_u32_e32 v2, 63, v2
	v_and_b32_e32 v5, 60, v5
	s_movk_i32 s0, 0x3ff
	s_movk_i32 s4, 0x7f
	;; [unrolled: 1-line block ×15, first 2 shown]
	v_mov_b32_e32 v4, 0
	v_lshrrev_b64 v[2:3], v2, -1
	v_add_u32_e32 v5, 0, v5
	v_cmp_eq_u32_e64 s[0:1], s0, v0
	v_cmp_lt_u32_e64 s[2:3], 63, v0
	v_cmp_lt_u32_e64 s[4:5], s4, v0
	v_cmp_lt_u32_e64 s[6:7], s6, v0
	v_cmp_lt_u32_e64 s[8:9], s8, v0
	v_cmp_lt_u32_e64 s[10:11], s10, v0
	v_cmp_lt_u32_e64 s[12:13], s12, v0
	v_cmp_lt_u32_e64 s[14:15], s14, v0
	v_cmp_lt_u32_e64 s[16:17], s16, v0
	v_cmp_lt_u32_e64 s[18:19], s18, v0
	v_cmp_lt_u32_e64 s[20:21], s20, v0
	v_cmp_lt_u32_e64 s[22:23], s22, v0
	v_cmp_lt_u32_e64 s[24:25], s24, v0
	v_cmp_lt_u32_e64 s[26:27], s26, v0
	v_cmp_lt_u32_e64 s[28:29], s28, v0
	v_cmp_lt_u32_e64 s[30:31], s30, v0
	s_mov_b64 s[36:37], 0
	s_waitcnt vmcnt(0)
	v_mov_b32_e32 v6, 0
	s_waitcnt lgkmcnt(0)
	s_barrier
	s_branch .LBB229_43
.LBB229_42:                             ;   in Loop: Header=BB229_43 Depth=1
	s_or_b64 exec, exec, s[38:39]
	s_waitcnt lgkmcnt(0)
	s_barrier
	ds_read_b32 v7, v4 offset:41020
	v_add_co_u32_e32 v26, vcc, 0x400, v26
	s_xor_b64 s[38:39], vcc, -1
	s_and_b64 s[38:39], exec, s[38:39]
	v_add_u32_e32 v1, 0x4000, v1
	s_waitcnt lgkmcnt(0)
	v_add_u32_e32 v6, v7, v6
	s_or_b64 s[36:37], s[38:39], s[36:37]
	v_add_u32_e32 v27, 0x1000, v27
	s_andn2_b64 exec, exec, s[36:37]
	s_cbranch_execz .LBB229_77
.LBB229_43:                             ; =>This Inner Loop Header: Depth=1
	ds_read2_b64 v[10:13], v1 offset1:1
	ds_read_b32 v8, v27
	s_waitcnt lgkmcnt(1)
	scratch_store_dwordx4 off, v[10:13], off
	s_waitcnt lgkmcnt(0)
	v_cmp_gt_i32_e32 vcc, s33, v8
	s_bcnt1_i32_b64 s38, vcc
	s_nop 0
	v_and_b32_e32 v9, vcc_lo, v2
	v_and_b32_e32 v7, vcc_hi, v3
	v_bcnt_u32_b32 v9, v9, 0
	v_bcnt_u32_b32 v7, v7, v9
	v_mov_b32_e32 v9, s38
	s_barrier
	ds_write_b32 v5, v9 offset:40960
	s_waitcnt lgkmcnt(0)
	s_barrier
	s_and_saveexec_b64 s[38:39], s[2:3]
	s_cbranch_execz .LBB229_60
; %bb.44:                               ;   in Loop: Header=BB229_43 Depth=1
	ds_read_b32 v9, v4 offset:40960
	s_waitcnt lgkmcnt(0)
	v_add_u32_e32 v7, v9, v7
	s_or_b64 exec, exec, s[38:39]
	s_and_saveexec_b64 s[38:39], s[4:5]
	s_cbranch_execnz .LBB229_61
.LBB229_45:                             ;   in Loop: Header=BB229_43 Depth=1
	s_or_b64 exec, exec, s[38:39]
	s_and_saveexec_b64 s[38:39], s[6:7]
	s_cbranch_execz .LBB229_62
.LBB229_46:                             ;   in Loop: Header=BB229_43 Depth=1
	ds_read_b32 v9, v4 offset:40968
	s_waitcnt lgkmcnt(0)
	v_add_u32_e32 v7, v9, v7
	s_or_b64 exec, exec, s[38:39]
	s_and_saveexec_b64 s[38:39], s[8:9]
	s_cbranch_execnz .LBB229_63
.LBB229_47:                             ;   in Loop: Header=BB229_43 Depth=1
	s_or_b64 exec, exec, s[38:39]
	s_and_saveexec_b64 s[38:39], s[10:11]
	s_cbranch_execz .LBB229_64
.LBB229_48:                             ;   in Loop: Header=BB229_43 Depth=1
	ds_read_b32 v9, v4 offset:40976
	s_waitcnt lgkmcnt(0)
	v_add_u32_e32 v7, v9, v7
	s_or_b64 exec, exec, s[38:39]
	s_and_saveexec_b64 s[38:39], s[12:13]
	s_cbranch_execnz .LBB229_65
.LBB229_49:                             ;   in Loop: Header=BB229_43 Depth=1
	s_or_b64 exec, exec, s[38:39]
	s_and_saveexec_b64 s[38:39], s[14:15]
	s_cbranch_execz .LBB229_66
.LBB229_50:                             ;   in Loop: Header=BB229_43 Depth=1
	ds_read_b32 v9, v4 offset:40984
	s_waitcnt lgkmcnt(0)
	v_add_u32_e32 v7, v9, v7
	s_or_b64 exec, exec, s[38:39]
	s_and_saveexec_b64 s[38:39], s[16:17]
	s_cbranch_execnz .LBB229_67
.LBB229_51:                             ;   in Loop: Header=BB229_43 Depth=1
	s_or_b64 exec, exec, s[38:39]
	s_and_saveexec_b64 s[38:39], s[18:19]
	s_cbranch_execz .LBB229_68
.LBB229_52:                             ;   in Loop: Header=BB229_43 Depth=1
	ds_read_b32 v9, v4 offset:40992
	s_waitcnt lgkmcnt(0)
	v_add_u32_e32 v7, v9, v7
	s_or_b64 exec, exec, s[38:39]
	s_and_saveexec_b64 s[38:39], s[20:21]
	s_cbranch_execnz .LBB229_69
.LBB229_53:                             ;   in Loop: Header=BB229_43 Depth=1
	s_or_b64 exec, exec, s[38:39]
	s_and_saveexec_b64 s[38:39], s[22:23]
	s_cbranch_execz .LBB229_70
.LBB229_54:                             ;   in Loop: Header=BB229_43 Depth=1
	ds_read_b32 v9, v4 offset:41000
	s_waitcnt lgkmcnt(0)
	v_add_u32_e32 v7, v9, v7
	s_or_b64 exec, exec, s[38:39]
	s_and_saveexec_b64 s[38:39], s[24:25]
	s_cbranch_execnz .LBB229_71
.LBB229_55:                             ;   in Loop: Header=BB229_43 Depth=1
	s_or_b64 exec, exec, s[38:39]
	s_and_saveexec_b64 s[38:39], s[26:27]
	s_cbranch_execz .LBB229_72
.LBB229_56:                             ;   in Loop: Header=BB229_43 Depth=1
	ds_read_b32 v9, v4 offset:41008
	s_waitcnt lgkmcnt(0)
	v_add_u32_e32 v7, v9, v7
	s_or_b64 exec, exec, s[38:39]
	s_and_saveexec_b64 s[38:39], s[28:29]
	s_cbranch_execnz .LBB229_73
.LBB229_57:                             ;   in Loop: Header=BB229_43 Depth=1
	s_or_b64 exec, exec, s[38:39]
	s_and_saveexec_b64 s[38:39], s[30:31]
	s_cbranch_execz .LBB229_74
.LBB229_58:                             ;   in Loop: Header=BB229_43 Depth=1
	ds_read_b32 v9, v4 offset:41016
	s_waitcnt lgkmcnt(0)
	v_add_u32_e32 v7, v9, v7
	s_or_b64 exec, exec, s[38:39]
	s_and_saveexec_b64 s[38:39], vcc
	s_cbranch_execnz .LBB229_75
.LBB229_59:                             ;   in Loop: Header=BB229_43 Depth=1
	s_or_b64 exec, exec, s[38:39]
	s_and_saveexec_b64 s[38:39], s[0:1]
	s_cbranch_execz .LBB229_42
	s_branch .LBB229_76
.LBB229_60:                             ;   in Loop: Header=BB229_43 Depth=1
	s_or_b64 exec, exec, s[38:39]
	s_and_saveexec_b64 s[38:39], s[4:5]
	s_cbranch_execz .LBB229_45
.LBB229_61:                             ;   in Loop: Header=BB229_43 Depth=1
	ds_read_b32 v9, v4 offset:40964
	s_waitcnt lgkmcnt(0)
	v_add_u32_e32 v7, v9, v7
	s_or_b64 exec, exec, s[38:39]
	s_and_saveexec_b64 s[38:39], s[6:7]
	s_cbranch_execnz .LBB229_46
.LBB229_62:                             ;   in Loop: Header=BB229_43 Depth=1
	s_or_b64 exec, exec, s[38:39]
	s_and_saveexec_b64 s[38:39], s[8:9]
	s_cbranch_execz .LBB229_47
.LBB229_63:                             ;   in Loop: Header=BB229_43 Depth=1
	ds_read_b32 v9, v4 offset:40972
	s_waitcnt lgkmcnt(0)
	v_add_u32_e32 v7, v9, v7
	s_or_b64 exec, exec, s[38:39]
	s_and_saveexec_b64 s[38:39], s[10:11]
	s_cbranch_execnz .LBB229_48
.LBB229_64:                             ;   in Loop: Header=BB229_43 Depth=1
	s_or_b64 exec, exec, s[38:39]
	s_and_saveexec_b64 s[38:39], s[12:13]
	s_cbranch_execz .LBB229_49
.LBB229_65:                             ;   in Loop: Header=BB229_43 Depth=1
	ds_read_b32 v9, v4 offset:40980
	s_waitcnt lgkmcnt(0)
	v_add_u32_e32 v7, v9, v7
	s_or_b64 exec, exec, s[38:39]
	s_and_saveexec_b64 s[38:39], s[14:15]
	s_cbranch_execnz .LBB229_50
.LBB229_66:                             ;   in Loop: Header=BB229_43 Depth=1
	s_or_b64 exec, exec, s[38:39]
	s_and_saveexec_b64 s[38:39], s[16:17]
	s_cbranch_execz .LBB229_51
.LBB229_67:                             ;   in Loop: Header=BB229_43 Depth=1
	ds_read_b32 v9, v4 offset:40988
	s_waitcnt lgkmcnt(0)
	v_add_u32_e32 v7, v9, v7
	s_or_b64 exec, exec, s[38:39]
	s_and_saveexec_b64 s[38:39], s[18:19]
	s_cbranch_execnz .LBB229_52
.LBB229_68:                             ;   in Loop: Header=BB229_43 Depth=1
	s_or_b64 exec, exec, s[38:39]
	s_and_saveexec_b64 s[38:39], s[20:21]
	s_cbranch_execz .LBB229_53
.LBB229_69:                             ;   in Loop: Header=BB229_43 Depth=1
	ds_read_b32 v9, v4 offset:40996
	s_waitcnt lgkmcnt(0)
	v_add_u32_e32 v7, v9, v7
	s_or_b64 exec, exec, s[38:39]
	s_and_saveexec_b64 s[38:39], s[22:23]
	s_cbranch_execnz .LBB229_54
.LBB229_70:                             ;   in Loop: Header=BB229_43 Depth=1
	s_or_b64 exec, exec, s[38:39]
	s_and_saveexec_b64 s[38:39], s[24:25]
	s_cbranch_execz .LBB229_55
.LBB229_71:                             ;   in Loop: Header=BB229_43 Depth=1
	ds_read_b32 v9, v4 offset:41004
	s_waitcnt lgkmcnt(0)
	v_add_u32_e32 v7, v9, v7
	s_or_b64 exec, exec, s[38:39]
	s_and_saveexec_b64 s[38:39], s[26:27]
	s_cbranch_execnz .LBB229_56
.LBB229_72:                             ;   in Loop: Header=BB229_43 Depth=1
	s_or_b64 exec, exec, s[38:39]
	s_and_saveexec_b64 s[38:39], s[28:29]
	s_cbranch_execz .LBB229_57
.LBB229_73:                             ;   in Loop: Header=BB229_43 Depth=1
	ds_read_b32 v9, v4 offset:41012
	s_waitcnt lgkmcnt(0)
	v_add_u32_e32 v7, v9, v7
	s_or_b64 exec, exec, s[38:39]
	s_and_saveexec_b64 s[38:39], s[30:31]
	s_cbranch_execnz .LBB229_58
.LBB229_74:                             ;   in Loop: Header=BB229_43 Depth=1
	s_or_b64 exec, exec, s[38:39]
	s_and_saveexec_b64 s[38:39], vcc
	s_cbranch_execz .LBB229_59
.LBB229_75:                             ;   in Loop: Header=BB229_43 Depth=1
	scratch_load_dwordx4 v[10:13], off, off
	v_add3_u32 v9, v6, -1, v7
	v_add_u32_e32 v14, v6, v7
	v_lshl_add_u32 v9, v9, 2, 0
	v_lshl_add_u32 v14, v14, 4, 0
	v_add_u32_e32 v14, 0x1ff0, v14
	ds_write_b32 v9, v8
	s_waitcnt vmcnt(0)
	ds_write2_b64 v14, v[10:11], v[12:13] offset1:1
	s_or_b64 exec, exec, s[38:39]
	s_and_saveexec_b64 s[38:39], s[0:1]
	s_cbranch_execz .LBB229_42
.LBB229_76:                             ;   in Loop: Header=BB229_43 Depth=1
	ds_write_b32 v4, v7 offset:41020
	s_branch .LBB229_42
.LBB229_77:
	s_or_b64 exec, exec, s[36:37]
	s_ashr_i32 s49, s48, 31
	s_lshl_b64 s[0:1], s[48:49], 3
	s_add_u32 s4, s42, s0
	s_addc_u32 s5, s43, s1
	s_load_dwordx4 s[0:3], s[4:5], 0x0
	s_waitcnt lgkmcnt(0)
	s_sub_i32 s8, s2, s0
	v_cmp_gt_i32_e32 vcc, s8, v0
	s_and_saveexec_b64 s[4:5], vcc
	s_cbranch_execz .LBB229_87
; %bb.78:
	s_sub_u32 s4, s0, s46
	s_subb_u32 s5, s1, 0
	s_and_b32 s10, s8, 7
	s_sub_i32 s0, s0, s2
	s_cmp_lt_u32 s0, -7
	s_cselect_b64 s[0:1], -1, 0
	s_and_b32 s11, s8, -8
	s_cmp_lg_u32 s10, 0
	v_cndmask_b32_e64 v1, 0, 1, s[0:1]
	s_cselect_b64 s[2:3], -1, 0
	v_cmp_ne_u32_e64 s[0:1], 1, v1
	v_cndmask_b32_e64 v1, 0, 1, s[2:3]
	s_mov_b32 s9, 0
	s_mov_b64 s[6:7], 0
	v_cmp_ne_u32_e64 s[2:3], 1, v1
	s_movk_i32 s12, 0x2000
	s_branch .LBB229_80
.LBB229_79:                             ;   in Loop: Header=BB229_80 Depth=1
	s_waitcnt lgkmcnt(0)
	v_mul_lo_u32 v4, v0, 12
	v_add3_u32 v1, v1, v4, s12
	ds_read2_b64 v[4:7], v1 offset1:1
	v_add_u32_e32 v0, 0x400, v0
	v_cmp_le_i32_e32 vcc, s8, v0
	v_lshl_add_u64 v[2:3], v[2:3], 4, s[34:35]
	s_or_b64 s[6:7], vcc, s[6:7]
	s_waitcnt lgkmcnt(0)
	global_store_dwordx4 v[2:3], v[4:7], off
	s_andn2_b64 exec, exec, s[6:7]
	s_cbranch_execz .LBB229_87
.LBB229_80:                             ; =>This Loop Header: Depth=1
                                        ;     Child Loop BB229_82 Depth 2
                                        ;     Child Loop BB229_86 Depth 2
	v_lshl_add_u32 v1, v0, 2, 0
	ds_read_b32 v4, v1
	s_and_b64 vcc, exec, s[0:1]
	v_mov_b64_e32 v[2:3], s[4:5]
	s_mov_b32 s13, 0
	s_cbranch_vccnz .LBB229_84
; %bb.81:                               ;   in Loop: Header=BB229_80 Depth=1
	s_mov_b32 s14, 0
	v_mov_b64_e32 v[2:3], s[4:5]
.LBB229_82:                             ;   Parent Loop BB229_80 Depth=1
                                        ; =>  This Inner Loop Header: Depth=2
	v_mov_b32_e32 v5, s14
	ds_read2_b32 v[22:23], v5 offset1:1
	ds_read2_b32 v[24:25], v5 offset0:2 offset1:3
	ds_read2_b32 v[26:27], v5 offset0:4 offset1:5
	ds_read2_b32 v[28:29], v5 offset0:6 offset1:7
	v_mov_b32_e32 v7, s9
	s_waitcnt lgkmcnt(3)
	v_cmp_gt_i32_e32 vcc, v4, v22
	v_mov_b32_e32 v9, s9
	v_mov_b32_e32 v11, s9
	v_cndmask_b32_e64 v6, 0, 1, vcc
	v_cmp_gt_i32_e32 vcc, v4, v23
	v_lshl_add_u64 v[2:3], v[2:3], 0, v[6:7]
	v_mov_b32_e32 v13, s9
	v_cndmask_b32_e64 v8, 0, 1, vcc
	s_waitcnt lgkmcnt(2)
	v_cmp_gt_i32_e32 vcc, v4, v24
	v_lshl_add_u64 v[2:3], v[2:3], 0, v[8:9]
	v_mov_b32_e32 v15, s9
	v_cndmask_b32_e64 v10, 0, 1, vcc
	v_cmp_gt_i32_e32 vcc, v4, v25
	v_lshl_add_u64 v[2:3], v[2:3], 0, v[10:11]
	v_mov_b32_e32 v17, s9
	v_cndmask_b32_e64 v12, 0, 1, vcc
	s_waitcnt lgkmcnt(1)
	v_cmp_gt_i32_e32 vcc, v4, v26
	v_lshl_add_u64 v[2:3], v[2:3], 0, v[12:13]
	;; [unrolled: 9-line block ×3, first 2 shown]
	s_add_i32 s13, s13, 8
	v_cndmask_b32_e64 v18, 0, 1, vcc
	v_cmp_gt_i32_e32 vcc, v4, v29
	s_add_i32 s14, s14, 32
	v_lshl_add_u64 v[2:3], v[2:3], 0, v[18:19]
	v_cndmask_b32_e64 v20, 0, 1, vcc
	s_cmp_eq_u32 s11, s13
	v_lshl_add_u64 v[2:3], v[2:3], 0, v[20:21]
	s_cbranch_scc0 .LBB229_82
; %bb.83:                               ;   in Loop: Header=BB229_80 Depth=1
	s_mov_b32 s13, s11
.LBB229_84:                             ;   in Loop: Header=BB229_80 Depth=1
	s_and_b64 vcc, exec, s[2:3]
	s_cbranch_vccnz .LBB229_79
; %bb.85:                               ;   in Loop: Header=BB229_80 Depth=1
	s_lshl_b32 s13, s13, 2
	s_add_i32 s13, s13, 0
	s_mov_b32 s14, s10
.LBB229_86:                             ;   Parent Loop BB229_80 Depth=1
                                        ; =>  This Inner Loop Header: Depth=2
	v_mov_b32_e32 v5, s13
	ds_read_b32 v5, v5
	v_mov_b32_e32 v7, s9
	s_add_i32 s13, s13, 4
	s_add_i32 s14, s14, -1
	s_cmp_lg_u32 s14, 0
	s_waitcnt lgkmcnt(0)
	v_cmp_gt_i32_e32 vcc, v4, v5
	s_nop 1
	v_cndmask_b32_e64 v6, 0, 1, vcc
	v_lshl_add_u64 v[2:3], v[2:3], 0, v[6:7]
	s_cbranch_scc1 .LBB229_86
	s_branch .LBB229_79
.LBB229_87:
	s_endpgm
	.section	.rodata,"a",@progbits
	.p2align	6, 0x0
	.amdhsa_kernel _ZN9rocsparseL41csrgemm_numeric_fill_block_per_row_kernelILj1024ELj32ELj2048ELj137ELj64Eli21rocsparse_complex_numIdEEEvT5_PKS3_S5_NS_24const_host_device_scalarIT6_EEPKT4_S5_PKS7_SB_S5_SD_S8_SB_S5_SD_SB_S5_PS7_21rocsparse_index_base_SF_SF_SF_bbb
		.amdhsa_group_segment_fixed_size 0
		.amdhsa_private_segment_fixed_size 40
		.amdhsa_kernarg_size 172
		.amdhsa_user_sgpr_count 2
		.amdhsa_user_sgpr_dispatch_ptr 0
		.amdhsa_user_sgpr_queue_ptr 0
		.amdhsa_user_sgpr_kernarg_segment_ptr 1
		.amdhsa_user_sgpr_dispatch_id 0
		.amdhsa_user_sgpr_kernarg_preload_length 0
		.amdhsa_user_sgpr_kernarg_preload_offset 0
		.amdhsa_user_sgpr_private_segment_size 0
		.amdhsa_uses_dynamic_stack 0
		.amdhsa_enable_private_segment 1
		.amdhsa_system_sgpr_workgroup_id_x 1
		.amdhsa_system_sgpr_workgroup_id_y 0
		.amdhsa_system_sgpr_workgroup_id_z 0
		.amdhsa_system_sgpr_workgroup_info 0
		.amdhsa_system_vgpr_workitem_id 0
		.amdhsa_next_free_vgpr 32
		.amdhsa_next_free_sgpr 51
		.amdhsa_accum_offset 32
		.amdhsa_reserve_vcc 1
		.amdhsa_float_round_mode_32 0
		.amdhsa_float_round_mode_16_64 0
		.amdhsa_float_denorm_mode_32 3
		.amdhsa_float_denorm_mode_16_64 3
		.amdhsa_dx10_clamp 1
		.amdhsa_ieee_mode 1
		.amdhsa_fp16_overflow 0
		.amdhsa_tg_split 0
		.amdhsa_exception_fp_ieee_invalid_op 0
		.amdhsa_exception_fp_denorm_src 0
		.amdhsa_exception_fp_ieee_div_zero 0
		.amdhsa_exception_fp_ieee_overflow 0
		.amdhsa_exception_fp_ieee_underflow 0
		.amdhsa_exception_fp_ieee_inexact 0
		.amdhsa_exception_int_div_zero 0
	.end_amdhsa_kernel
	.section	.text._ZN9rocsparseL41csrgemm_numeric_fill_block_per_row_kernelILj1024ELj32ELj2048ELj137ELj64Eli21rocsparse_complex_numIdEEEvT5_PKS3_S5_NS_24const_host_device_scalarIT6_EEPKT4_S5_PKS7_SB_S5_SD_S8_SB_S5_SD_SB_S5_PS7_21rocsparse_index_base_SF_SF_SF_bbb,"axG",@progbits,_ZN9rocsparseL41csrgemm_numeric_fill_block_per_row_kernelILj1024ELj32ELj2048ELj137ELj64Eli21rocsparse_complex_numIdEEEvT5_PKS3_S5_NS_24const_host_device_scalarIT6_EEPKT4_S5_PKS7_SB_S5_SD_S8_SB_S5_SD_SB_S5_PS7_21rocsparse_index_base_SF_SF_SF_bbb,comdat
.Lfunc_end229:
	.size	_ZN9rocsparseL41csrgemm_numeric_fill_block_per_row_kernelILj1024ELj32ELj2048ELj137ELj64Eli21rocsparse_complex_numIdEEEvT5_PKS3_S5_NS_24const_host_device_scalarIT6_EEPKT4_S5_PKS7_SB_S5_SD_S8_SB_S5_SD_SB_S5_PS7_21rocsparse_index_base_SF_SF_SF_bbb, .Lfunc_end229-_ZN9rocsparseL41csrgemm_numeric_fill_block_per_row_kernelILj1024ELj32ELj2048ELj137ELj64Eli21rocsparse_complex_numIdEEEvT5_PKS3_S5_NS_24const_host_device_scalarIT6_EEPKT4_S5_PKS7_SB_S5_SD_S8_SB_S5_SD_SB_S5_PS7_21rocsparse_index_base_SF_SF_SF_bbb
                                        ; -- End function
	.set _ZN9rocsparseL41csrgemm_numeric_fill_block_per_row_kernelILj1024ELj32ELj2048ELj137ELj64Eli21rocsparse_complex_numIdEEEvT5_PKS3_S5_NS_24const_host_device_scalarIT6_EEPKT4_S5_PKS7_SB_S5_SD_S8_SB_S5_SD_SB_S5_PS7_21rocsparse_index_base_SF_SF_SF_bbb.num_vgpr, 32
	.set _ZN9rocsparseL41csrgemm_numeric_fill_block_per_row_kernelILj1024ELj32ELj2048ELj137ELj64Eli21rocsparse_complex_numIdEEEvT5_PKS3_S5_NS_24const_host_device_scalarIT6_EEPKT4_S5_PKS7_SB_S5_SD_S8_SB_S5_SD_SB_S5_PS7_21rocsparse_index_base_SF_SF_SF_bbb.num_agpr, 0
	.set _ZN9rocsparseL41csrgemm_numeric_fill_block_per_row_kernelILj1024ELj32ELj2048ELj137ELj64Eli21rocsparse_complex_numIdEEEvT5_PKS3_S5_NS_24const_host_device_scalarIT6_EEPKT4_S5_PKS7_SB_S5_SD_S8_SB_S5_SD_SB_S5_PS7_21rocsparse_index_base_SF_SF_SF_bbb.numbered_sgpr, 51
	.set _ZN9rocsparseL41csrgemm_numeric_fill_block_per_row_kernelILj1024ELj32ELj2048ELj137ELj64Eli21rocsparse_complex_numIdEEEvT5_PKS3_S5_NS_24const_host_device_scalarIT6_EEPKT4_S5_PKS7_SB_S5_SD_S8_SB_S5_SD_SB_S5_PS7_21rocsparse_index_base_SF_SF_SF_bbb.num_named_barrier, 0
	.set _ZN9rocsparseL41csrgemm_numeric_fill_block_per_row_kernelILj1024ELj32ELj2048ELj137ELj64Eli21rocsparse_complex_numIdEEEvT5_PKS3_S5_NS_24const_host_device_scalarIT6_EEPKT4_S5_PKS7_SB_S5_SD_S8_SB_S5_SD_SB_S5_PS7_21rocsparse_index_base_SF_SF_SF_bbb.private_seg_size, 40
	.set _ZN9rocsparseL41csrgemm_numeric_fill_block_per_row_kernelILj1024ELj32ELj2048ELj137ELj64Eli21rocsparse_complex_numIdEEEvT5_PKS3_S5_NS_24const_host_device_scalarIT6_EEPKT4_S5_PKS7_SB_S5_SD_S8_SB_S5_SD_SB_S5_PS7_21rocsparse_index_base_SF_SF_SF_bbb.uses_vcc, 1
	.set _ZN9rocsparseL41csrgemm_numeric_fill_block_per_row_kernelILj1024ELj32ELj2048ELj137ELj64Eli21rocsparse_complex_numIdEEEvT5_PKS3_S5_NS_24const_host_device_scalarIT6_EEPKT4_S5_PKS7_SB_S5_SD_S8_SB_S5_SD_SB_S5_PS7_21rocsparse_index_base_SF_SF_SF_bbb.uses_flat_scratch, 0
	.set _ZN9rocsparseL41csrgemm_numeric_fill_block_per_row_kernelILj1024ELj32ELj2048ELj137ELj64Eli21rocsparse_complex_numIdEEEvT5_PKS3_S5_NS_24const_host_device_scalarIT6_EEPKT4_S5_PKS7_SB_S5_SD_S8_SB_S5_SD_SB_S5_PS7_21rocsparse_index_base_SF_SF_SF_bbb.has_dyn_sized_stack, 0
	.set _ZN9rocsparseL41csrgemm_numeric_fill_block_per_row_kernelILj1024ELj32ELj2048ELj137ELj64Eli21rocsparse_complex_numIdEEEvT5_PKS3_S5_NS_24const_host_device_scalarIT6_EEPKT4_S5_PKS7_SB_S5_SD_S8_SB_S5_SD_SB_S5_PS7_21rocsparse_index_base_SF_SF_SF_bbb.has_recursion, 0
	.set _ZN9rocsparseL41csrgemm_numeric_fill_block_per_row_kernelILj1024ELj32ELj2048ELj137ELj64Eli21rocsparse_complex_numIdEEEvT5_PKS3_S5_NS_24const_host_device_scalarIT6_EEPKT4_S5_PKS7_SB_S5_SD_S8_SB_S5_SD_SB_S5_PS7_21rocsparse_index_base_SF_SF_SF_bbb.has_indirect_call, 0
	.section	.AMDGPU.csdata,"",@progbits
; Kernel info:
; codeLenInByte = 3292
; TotalNumSgprs: 57
; NumVgprs: 32
; NumAgprs: 0
; TotalNumVgprs: 32
; ScratchSize: 40
; MemoryBound: 0
; FloatMode: 240
; IeeeMode: 1
; LDSByteSize: 0 bytes/workgroup (compile time only)
; SGPRBlocks: 7
; VGPRBlocks: 3
; NumSGPRsForWavesPerEU: 57
; NumVGPRsForWavesPerEU: 32
; AccumOffset: 32
; Occupancy: 8
; WaveLimiterHint : 1
; COMPUTE_PGM_RSRC2:SCRATCH_EN: 1
; COMPUTE_PGM_RSRC2:USER_SGPR: 2
; COMPUTE_PGM_RSRC2:TRAP_HANDLER: 0
; COMPUTE_PGM_RSRC2:TGID_X_EN: 1
; COMPUTE_PGM_RSRC2:TGID_Y_EN: 0
; COMPUTE_PGM_RSRC2:TGID_Z_EN: 0
; COMPUTE_PGM_RSRC2:TIDIG_COMP_CNT: 0
; COMPUTE_PGM_RSRC3_GFX90A:ACCUM_OFFSET: 7
; COMPUTE_PGM_RSRC3_GFX90A:TG_SPLIT: 0
	.section	.text._ZN9rocsparseL41csrgemm_numeric_fill_block_per_row_kernelILj1024ELj64ELj4096ELj137ELj32Eli21rocsparse_complex_numIdEEEvT5_PKS3_S5_NS_24const_host_device_scalarIT6_EEPKT4_S5_PKS7_SB_S5_SD_S8_SB_S5_SD_SB_S5_PS7_21rocsparse_index_base_SF_SF_SF_bbb,"axG",@progbits,_ZN9rocsparseL41csrgemm_numeric_fill_block_per_row_kernelILj1024ELj64ELj4096ELj137ELj32Eli21rocsparse_complex_numIdEEEvT5_PKS3_S5_NS_24const_host_device_scalarIT6_EEPKT4_S5_PKS7_SB_S5_SD_S8_SB_S5_SD_SB_S5_PS7_21rocsparse_index_base_SF_SF_SF_bbb,comdat
	.globl	_ZN9rocsparseL41csrgemm_numeric_fill_block_per_row_kernelILj1024ELj64ELj4096ELj137ELj32Eli21rocsparse_complex_numIdEEEvT5_PKS3_S5_NS_24const_host_device_scalarIT6_EEPKT4_S5_PKS7_SB_S5_SD_S8_SB_S5_SD_SB_S5_PS7_21rocsparse_index_base_SF_SF_SF_bbb ; -- Begin function _ZN9rocsparseL41csrgemm_numeric_fill_block_per_row_kernelILj1024ELj64ELj4096ELj137ELj32Eli21rocsparse_complex_numIdEEEvT5_PKS3_S5_NS_24const_host_device_scalarIT6_EEPKT4_S5_PKS7_SB_S5_SD_S8_SB_S5_SD_SB_S5_PS7_21rocsparse_index_base_SF_SF_SF_bbb
	.p2align	8
	.type	_ZN9rocsparseL41csrgemm_numeric_fill_block_per_row_kernelILj1024ELj64ELj4096ELj137ELj32Eli21rocsparse_complex_numIdEEEvT5_PKS3_S5_NS_24const_host_device_scalarIT6_EEPKT4_S5_PKS7_SB_S5_SD_S8_SB_S5_SD_SB_S5_PS7_21rocsparse_index_base_SF_SF_SF_bbb,@function
_ZN9rocsparseL41csrgemm_numeric_fill_block_per_row_kernelILj1024ELj64ELj4096ELj137ELj32Eli21rocsparse_complex_numIdEEEvT5_PKS3_S5_NS_24const_host_device_scalarIT6_EEPKT4_S5_PKS7_SB_S5_SD_S8_SB_S5_SD_SB_S5_PS7_21rocsparse_index_base_SF_SF_SF_bbb: ; @_ZN9rocsparseL41csrgemm_numeric_fill_block_per_row_kernelILj1024ELj64ELj4096ELj137ELj32Eli21rocsparse_complex_numIdEEEvT5_PKS3_S5_NS_24const_host_device_scalarIT6_EEPKT4_S5_PKS7_SB_S5_SD_S8_SB_S5_SD_SB_S5_PS7_21rocsparse_index_base_SF_SF_SF_bbb
; %bb.0:
	s_load_dword s3, s[0:1], 0xa8
	s_load_dwordx4 s[68:71], s[0:1], 0x98
	s_load_dwordx4 s[8:11], s[0:1], 0x18
	s_load_dwordx4 s[24:27], s[0:1], 0x58
	v_mov_b64_e32 v[6:7], 0
	s_waitcnt lgkmcnt(0)
	s_bitcmp1_b32 s3, 0
	s_cselect_b64 s[28:29], -1, 0
	s_bitcmp1_b32 s3, 16
	s_cselect_b64 s[30:31], -1, 0
	s_xor_b64 s[4:5], s[30:31], -1
	v_mov_b64_e32 v[2:3], s[8:9]
	v_cndmask_b32_e64 v1, 0, 1, s[4:5]
	scratch_store_dwordx2 off, v[2:3], off offset:16
	v_mov_b64_e32 v[2:3], s[24:25]
	s_bitcmp0_b32 s3, 0
	v_cmp_ne_u32_e64 s[4:5], 1, v1
	v_mov_b64_e32 v[10:11], 0
	v_mov_b64_e32 v[12:13], 0
	scratch_store_dwordx2 off, v[2:3], off offset:24
	s_cbranch_scc1 .LBB230_3
; %bb.1:
	s_mov_b64 s[6:7], src_private_base
	s_and_b64 s[12:13], s[30:31], exec
	s_cselect_b32 s6, s7, s9
	s_cselect_b32 s7, 16, s8
	v_mov_b32_e32 v2, s7
	v_mov_b32_e32 v3, s6
	flat_load_dwordx2 v[10:11], v[2:3]
	s_and_b64 vcc, exec, s[4:5]
	v_mov_b64_e32 v[12:13], s[10:11]
	s_cbranch_vccnz .LBB230_3
; %bb.2:
	v_mov_b64_e32 v[2:3], s[8:9]
	flat_load_dwordx2 v[12:13], v[2:3] offset:8
.LBB230_3:
	s_load_dwordx2 s[6:7], s[0:1], 0x90
	s_load_dwordx8 s[8:15], s[0:1], 0x68
                                        ; implicit-def: $vgpr32 : SGPR spill to VGPR lane
	s_bitcmp1_b32 s3, 8
	v_mov_b64_e32 v[8:9], 0
	s_waitcnt lgkmcnt(0)
	v_writelane_b32 v32, s6, 0
	s_nop 1
	v_writelane_b32 v32, s7, 1
	v_writelane_b32 v32, s8, 2
	s_cselect_b64 s[6:7], -1, 0
	s_bfe_u32 s3, s3, 0x10008
	v_writelane_b32 v32, s9, 3
	v_writelane_b32 v32, s10, 4
	;; [unrolled: 1-line block ×7, first 2 shown]
	s_load_dwordx4 s[16:19], s[0:1], 0x48
	s_load_dwordx4 s[20:23], s[0:1], 0x8
	s_load_dwordx8 s[8:15], s[0:1], 0x28
	s_cmp_eq_u32 s3, 0
	s_cbranch_scc1 .LBB230_6
; %bb.4:
	s_mov_b64 s[34:35], src_private_base
	s_and_b64 s[30:31], s[30:31], exec
	s_cselect_b32 s3, s35, s25
	s_cselect_b32 s30, 24, s24
	v_mov_b32_e32 v2, s30
	v_mov_b32_e32 v3, s3
	flat_load_dwordx2 v[8:9], v[2:3]
	s_and_b64 vcc, exec, s[4:5]
	v_mov_b64_e32 v[6:7], s[26:27]
	s_cbranch_vccnz .LBB230_6
; %bb.5:
	v_mov_b64_e32 v[2:3], s[24:25]
	flat_load_dwordx2 v[6:7], v[2:3] offset:8
.LBB230_6:
	s_load_dword s33, s[0:1], 0x0
	s_mov_b32 s4, 0
	v_lshl_add_u32 v1, v0, 4, 0
	v_add_u32_e32 v1, 0x4000, v1
	v_or_b32_e32 v26, 0xfffffc00, v0
	v_lshl_add_u32 v27, v0, 2, 0
	s_mov_b32 s5, s4
	s_mov_b32 s24, s4
	;; [unrolled: 1-line block ×3, first 2 shown]
	s_mov_b64 s[0:1], 0
	s_waitcnt lgkmcnt(0)
	v_mov_b32_e32 v17, s33
	v_mov_b64_e32 v[2:3], s[4:5]
	v_mov_b64_e32 v[4:5], s[24:25]
	s_movk_i32 s3, 0xbff
	v_mov_b32_e32 v14, v27
	v_mov_b32_e32 v15, v26
	;; [unrolled: 1-line block ×3, first 2 shown]
.LBB230_7:                              ; =>This Inner Loop Header: Depth=1
	v_add_u32_e32 v15, 0x400, v15
	v_cmp_lt_u32_e32 vcc, s3, v15
	ds_write_b32 v14, v17
	ds_write2_b64 v16, v[2:3], v[4:5] offset1:1
	v_add_u32_e32 v16, 0x4000, v16
	s_or_b64 s[0:1], vcc, s[0:1]
	v_add_u32_e32 v14, 0x1000, v14
	s_andn2_b64 exec, exec, s[0:1]
	s_cbranch_execnz .LBB230_7
; %bb.8:
	s_or_b64 exec, exec, s[0:1]
	s_waitcnt lgkmcnt(0)
	s_barrier
	s_load_dword s0, s[20:21], 0x0
	s_mov_b32 s1, 0
	s_waitcnt lgkmcnt(0)
	s_add_i32 s0, s0, s2
	s_lshl_b64 s[0:1], s[0:1], 2
	s_add_u32 s0, s22, s0
	s_addc_u32 s1, s23, s1
	s_load_dword s0, s[0:1], 0x0
	s_and_b64 vcc, exec, s[28:29]
	s_waitcnt lgkmcnt(0)
	v_writelane_b32 v32, s0, 10
	s_nop 1
	v_writelane_b32 v32, s1, 11
	s_cbranch_vccz .LBB230_26
; %bb.9:
	v_readlane_b32 s0, v32, 10
	v_readlane_b32 s1, v32, 11
	s_mov_b32 s2, s0
	s_ashr_i32 s3, s0, 31
	v_writelane_b32 v32, s0, 10
	v_lshrrev_b32_e32 v2, 6, v0
	v_subrev_co_u32_e32 v2, vcc, s68, v2
	v_writelane_b32 v32, s1, 11
	s_lshl_b64 s[0:1], s[2:3], 3
	s_add_u32 s0, s8, s0
	s_addc_u32 s1, s9, s1
	s_load_dwordx4 s[20:23], s[0:1], 0x0
	v_subb_co_u32_e64 v3, s[2:3], 0, 0, vcc
	s_waitcnt lgkmcnt(0)
	s_sub_u32 s0, s22, s68
	s_subb_u32 s1, s23, 0
	v_lshl_add_u64 v[14:15], s[20:21], 0, v[2:3]
	v_cmp_gt_i64_e32 vcc, s[0:1], v[14:15]
	s_and_saveexec_b64 s[2:3], vcc
	s_cbranch_execz .LBB230_25
; %bb.10:
	v_and_b32_e32 v2, 63, v0
	v_subrev_co_u32_e32 v16, vcc, s69, v2
	s_mov_b32 s34, s69
	s_nop 0
	v_subb_co_u32_e64 v17, s[4:5], 0, 0, vcc
	s_mov_b64 s[4:5], 0
	s_movk_i32 s35, 0x89
	s_branch .LBB230_12
.LBB230_11:                             ;   in Loop: Header=BB230_12 Depth=1
	s_or_b64 exec, exec, s[8:9]
	v_lshl_add_u64 v[14:15], v[14:15], 0, 16
	v_cmp_le_i64_e32 vcc, s[0:1], v[14:15]
	s_or_b64 s[4:5], vcc, s[4:5]
	s_andn2_b64 exec, exec, s[4:5]
	s_cbranch_execz .LBB230_25
.LBB230_12:                             ; =>This Loop Header: Depth=1
                                        ;     Child Loop BB230_16 Depth 2
                                        ;       Child Loop BB230_19 Depth 3
	v_lshl_add_u64 v[2:3], v[14:15], 2, s[10:11]
	global_load_dword v2, v[2:3], off
	s_waitcnt vmcnt(0)
	v_subrev_u32_e32 v2, s68, v2
	v_ashrrev_i32_e32 v3, 31, v2
	v_lshl_add_u64 v[2:3], v[2:3], 3, s[14:15]
	global_load_dwordx4 v[2:5], v[2:3], off
	s_waitcnt vmcnt(0)
	v_subrev_co_u32_e32 v18, vcc, s34, v4
	s_nop 1
	v_subbrev_co_u32_e32 v19, vcc, 0, v5, vcc
	v_lshl_add_u64 v[20:21], v[2:3], 0, v[16:17]
	v_cmp_lt_i64_e32 vcc, v[20:21], v[18:19]
	s_and_saveexec_b64 s[8:9], vcc
	s_cbranch_execz .LBB230_11
; %bb.13:                               ;   in Loop: Header=BB230_12 Depth=1
	v_lshl_add_u64 v[2:3], v[14:15], 4, s[12:13]
	global_load_dwordx4 v[2:5], v[2:3], off
	s_mov_b64 s[20:21], 0
	s_waitcnt vmcnt(0)
	v_mul_f64 v[22:23], v[4:5], -v[12:13]
	v_mul_f64 v[24:25], v[10:11], v[4:5]
	v_fmac_f64_e32 v[22:23], v[10:11], v[2:3]
	v_fmac_f64_e32 v[24:25], v[12:13], v[2:3]
	s_branch .LBB230_16
.LBB230_14:                             ;   in Loop: Header=BB230_16 Depth=2
	s_or_b64 exec, exec, s[24:25]
.LBB230_15:                             ;   in Loop: Header=BB230_16 Depth=2
	s_or_b64 exec, exec, s[22:23]
	s_waitcnt vmcnt(0)
	v_mul_f64 v[30:31], v[4:5], -v[24:25]
	v_mul_f64 v[4:5], v[22:23], v[4:5]
	v_fmac_f64_e32 v[30:31], v[22:23], v[2:3]
	v_fmac_f64_e32 v[4:5], v[24:25], v[2:3]
	v_lshl_add_u32 v2, v28, 4, 0
	ds_add_f64 v2, v[30:31] offset:16384
	ds_add_f64 v2, v[4:5] offset:16392
	v_lshl_add_u64 v[20:21], v[20:21], 0, 64
	v_cmp_ge_i64_e32 vcc, v[20:21], v[18:19]
	s_or_b64 s[20:21], vcc, s[20:21]
	s_andn2_b64 exec, exec, s[20:21]
	s_cbranch_execz .LBB230_11
.LBB230_16:                             ;   Parent Loop BB230_12 Depth=1
                                        ; =>  This Loop Header: Depth=2
                                        ;       Child Loop BB230_19 Depth 3
	v_lshl_add_u64 v[2:3], v[20:21], 2, s[16:17]
	global_load_dword v28, v[2:3], off
	v_lshl_add_u64 v[2:3], v[20:21], 4, s[18:19]
	global_load_dwordx4 v[2:5], v[2:3], off
	s_waitcnt vmcnt(1)
	v_subrev_u32_e32 v29, s69, v28
	v_mul_lo_u32 v28, v29, s35
	v_and_b32_e32 v28, 0xfff, v28
	v_lshl_add_u32 v30, v28, 2, 0
	ds_read_b32 v31, v30
	s_waitcnt lgkmcnt(0)
	v_cmp_ne_u32_e32 vcc, v31, v29
	s_and_saveexec_b64 s[22:23], vcc
	s_cbranch_execz .LBB230_15
; %bb.17:                               ;   in Loop: Header=BB230_16 Depth=2
	s_mov_b64 s[24:25], 0
	s_branch .LBB230_19
.LBB230_18:                             ;   in Loop: Header=BB230_19 Depth=3
	s_or_b64 exec, exec, s[30:31]
	s_and_b64 s[26:27], exec, s[28:29]
	s_or_b64 s[24:25], s[26:27], s[24:25]
	s_andn2_b64 exec, exec, s[24:25]
	s_cbranch_execz .LBB230_14
.LBB230_19:                             ;   Parent Loop BB230_12 Depth=1
                                        ;     Parent Loop BB230_16 Depth=2
                                        ; =>    This Inner Loop Header: Depth=3
	v_cmp_ne_u32_e32 vcc, s33, v31
	s_mov_b64 s[26:27], 0
	s_and_saveexec_b64 s[28:29], vcc
	s_xor_b64 s[28:29], exec, s[28:29]
	s_cbranch_execz .LBB230_21
; %bb.20:                               ;   in Loop: Header=BB230_19 Depth=3
	v_add_u32_e32 v28, 1, v28
	s_mov_b64 s[26:27], exec
	v_and_b32_e32 v28, 0xfff, v28
                                        ; implicit-def: $vgpr30
	s_andn2_saveexec_b64 s[28:29], s[28:29]
	s_cbranch_execz .LBB230_23
	s_branch .LBB230_22
.LBB230_21:                             ;   in Loop: Header=BB230_19 Depth=3
	s_andn2_saveexec_b64 s[28:29], s[28:29]
	s_cbranch_execz .LBB230_23
.LBB230_22:                             ;   in Loop: Header=BB230_19 Depth=3
	v_mov_b32_e32 v31, s33
	ds_cmpst_rtn_b32 v30, v30, v31, v29
	s_andn2_b64 s[26:27], s[26:27], exec
	s_waitcnt lgkmcnt(0)
	v_cmp_ne_u32_e32 vcc, s33, v30
	s_and_b64 s[30:31], vcc, exec
	s_or_b64 s[26:27], s[26:27], s[30:31]
.LBB230_23:                             ;   in Loop: Header=BB230_19 Depth=3
	s_or_b64 exec, exec, s[28:29]
	s_mov_b64 s[28:29], -1
                                        ; implicit-def: $vgpr30
                                        ; implicit-def: $vgpr31
	s_and_saveexec_b64 s[30:31], s[26:27]
	s_cbranch_execz .LBB230_18
; %bb.24:                               ;   in Loop: Header=BB230_19 Depth=3
	v_lshl_add_u32 v30, v28, 2, 0
	ds_read_b32 v31, v30
	s_waitcnt lgkmcnt(0)
	v_cmp_eq_u32_e32 vcc, v31, v29
	s_orn2_b64 s[28:29], vcc, exec
	s_branch .LBB230_18
.LBB230_25:
	s_or_b64 exec, exec, s[2:3]
.LBB230_26:
	s_andn2_b64 vcc, exec, s[6:7]
	s_cbranch_vccnz .LBB230_41
; %bb.27:
	v_readlane_b32 s0, v32, 10
	v_readlane_b32 s1, v32, 11
	s_mov_b32 s2, s0
	s_ashr_i32 s3, s0, 31
	v_writelane_b32 v32, s0, 10
	v_subrev_co_u32_e32 v2, vcc, s71, v0
	s_nop 0
	v_writelane_b32 v32, s1, 11
	s_lshl_b64 s[0:1], s[2:3], 3
	v_readlane_b32 s4, v32, 2
	v_readlane_b32 s5, v32, 3
	s_add_u32 s0, s4, s0
	v_readlane_b32 s6, v32, 4
	v_readlane_b32 s7, v32, 5
	s_addc_u32 s1, s5, s1
	s_load_dwordx4 s[4:7], s[0:1], 0x0
	v_subb_co_u32_e64 v3, s[0:1], 0, 0, vcc
	v_readlane_b32 s8, v32, 6
	v_readlane_b32 s9, v32, 7
	s_waitcnt lgkmcnt(0)
	s_sub_u32 s0, s6, s71
	s_subb_u32 s1, s7, 0
	s_waitcnt vmcnt(0)
	v_lshl_add_u64 v[10:11], s[4:5], 0, v[2:3]
	v_cmp_gt_i64_e32 vcc, s[0:1], v[10:11]
	v_readlane_b32 s10, v32, 8
	v_readlane_b32 s11, v32, 9
	s_and_saveexec_b64 s[2:3], vcc
	s_cbranch_execz .LBB230_40
; %bb.28:
	s_mov_b64 s[4:5], 0
	s_movk_i32 s18, 0x89
	s_mov_b64 s[6:7], 0x400
	s_branch .LBB230_31
.LBB230_29:                             ;   in Loop: Header=BB230_31 Depth=1
	s_or_b64 exec, exec, s[10:11]
.LBB230_30:                             ;   in Loop: Header=BB230_31 Depth=1
	s_or_b64 exec, exec, s[8:9]
	s_waitcnt vmcnt(0)
	v_mul_f64 v[14:15], v[4:5], -v[6:7]
	v_mul_f64 v[4:5], v[8:9], v[4:5]
	v_fmac_f64_e32 v[14:15], v[8:9], v[2:3]
	v_fmac_f64_e32 v[4:5], v[6:7], v[2:3]
	v_lshl_add_u32 v2, v12, 4, 0
	ds_add_f64 v2, v[14:15] offset:16384
	ds_add_f64 v2, v[4:5] offset:16392
	v_lshl_add_u64 v[10:11], v[10:11], 0, s[6:7]
	v_cmp_le_i64_e32 vcc, s[0:1], v[10:11]
	s_or_b64 s[4:5], vcc, s[4:5]
	s_andn2_b64 exec, exec, s[4:5]
	s_cbranch_execz .LBB230_40
.LBB230_31:                             ; =>This Loop Header: Depth=1
                                        ;     Child Loop BB230_34 Depth 2
	v_readlane_b32 s8, v32, 2
	v_readlane_b32 s10, v32, 4
	;; [unrolled: 1-line block ×5, first 2 shown]
	v_lshl_add_u64 v[2:3], v[10:11], 2, s[10:11]
	global_load_dword v12, v[2:3], off
	v_lshl_add_u64 v[2:3], v[10:11], 4, s[12:13]
	global_load_dwordx4 v[2:5], v[2:3], off
	v_readlane_b32 s9, v32, 3
	v_readlane_b32 s14, v32, 8
	;; [unrolled: 1-line block ×3, first 2 shown]
	s_waitcnt vmcnt(1)
	v_subrev_u32_e32 v13, s71, v12
	v_mul_lo_u32 v12, v13, s18
	v_and_b32_e32 v12, 0xfff, v12
	v_lshl_add_u32 v14, v12, 2, 0
	ds_read_b32 v15, v14
	s_waitcnt lgkmcnt(0)
	v_cmp_ne_u32_e32 vcc, v15, v13
	s_and_saveexec_b64 s[8:9], vcc
	s_cbranch_execz .LBB230_30
; %bb.32:                               ;   in Loop: Header=BB230_31 Depth=1
	s_mov_b64 s[10:11], 0
	s_branch .LBB230_34
.LBB230_33:                             ;   in Loop: Header=BB230_34 Depth=2
	s_or_b64 exec, exec, s[16:17]
	s_and_b64 s[12:13], exec, s[14:15]
	s_or_b64 s[10:11], s[12:13], s[10:11]
	s_andn2_b64 exec, exec, s[10:11]
	s_cbranch_execz .LBB230_29
.LBB230_34:                             ;   Parent Loop BB230_31 Depth=1
                                        ; =>  This Inner Loop Header: Depth=2
	v_cmp_ne_u32_e32 vcc, s33, v15
	s_mov_b64 s[12:13], 0
	s_and_saveexec_b64 s[14:15], vcc
	s_xor_b64 s[14:15], exec, s[14:15]
	s_cbranch_execz .LBB230_36
; %bb.35:                               ;   in Loop: Header=BB230_34 Depth=2
	v_add_u32_e32 v12, 1, v12
	s_mov_b64 s[12:13], exec
	v_and_b32_e32 v12, 0xfff, v12
                                        ; implicit-def: $vgpr14
	s_andn2_saveexec_b64 s[14:15], s[14:15]
	s_cbranch_execz .LBB230_38
	s_branch .LBB230_37
.LBB230_36:                             ;   in Loop: Header=BB230_34 Depth=2
	s_andn2_saveexec_b64 s[14:15], s[14:15]
	s_cbranch_execz .LBB230_38
.LBB230_37:                             ;   in Loop: Header=BB230_34 Depth=2
	v_mov_b32_e32 v15, s33
	ds_cmpst_rtn_b32 v14, v14, v15, v13
	s_andn2_b64 s[12:13], s[12:13], exec
	s_waitcnt lgkmcnt(0)
	v_cmp_ne_u32_e32 vcc, s33, v14
	s_and_b64 s[16:17], vcc, exec
	s_or_b64 s[12:13], s[12:13], s[16:17]
.LBB230_38:                             ;   in Loop: Header=BB230_34 Depth=2
	s_or_b64 exec, exec, s[14:15]
	s_mov_b64 s[14:15], -1
                                        ; implicit-def: $vgpr14
                                        ; implicit-def: $vgpr15
	s_and_saveexec_b64 s[16:17], s[12:13]
	s_cbranch_execz .LBB230_33
; %bb.39:                               ;   in Loop: Header=BB230_34 Depth=2
	v_lshl_add_u32 v14, v12, 2, 0
	ds_read_b32 v15, v14
	s_waitcnt lgkmcnt(0)
	v_cmp_eq_u32_e32 vcc, v15, v13
	s_orn2_b64 s[14:15], vcc, exec
	s_branch .LBB230_33
.LBB230_40:
	s_or_b64 exec, exec, s[2:3]
.LBB230_41:
	s_add_i32 s0, 0, 0x14000
	v_lshrrev_b32_e32 v4, 3, v0
	v_writelane_b32 v32, s0, 12
	s_add_i32 s60, 0, 0x14004
	v_mbcnt_lo_u32_b32 v2, -1, 0
	v_and_b32_e32 v4, 0x7c, v4
	v_writelane_b32 v32, s60, 13
	s_add_i32 s60, 0, 0x14008
	v_mbcnt_hi_u32_b32 v2, -1, v2
	v_add_u32_e32 v4, s0, v4
	s_movk_i32 s0, 0x3ff
	v_writelane_b32 v32, s60, 14
	s_add_i32 s60, 0, 0x1400c
	v_sub_u32_e32 v2, 63, v2
	v_cmp_eq_u32_e32 vcc, s0, v0
	s_movk_i32 s0, 0x5f
	s_movk_i32 s2, 0x7f
	;; [unrolled: 1-line block ×29, first 2 shown]
	v_writelane_b32 v32, s60, 15
	s_add_i32 s60, 0, 0x14014
	v_lshrrev_b64 v[2:3], v2, -1
	v_cmp_lt_u32_e64 s[0:1], s0, v0
	v_cmp_lt_u32_e64 s[2:3], s2, v0
	;; [unrolled: 1-line block ×29, first 2 shown]
	v_mov_b32_e32 v5, 0
	s_add_i32 s79, 0, 0x14010
	v_writelane_b32 v32, s60, 16
	s_add_i32 s82, 0, 0x14018
	s_add_i32 s83, 0, 0x1401c
	;; [unrolled: 1-line block ×26, first 2 shown]
	v_cmp_lt_u32_e64 s[60:61], 31, v0
	v_cmp_lt_u32_e64 s[62:63], 63, v0
	s_mov_b64 s[68:69], 0
	s_waitcnt lgkmcnt(0)
	s_barrier
	s_branch .LBB230_43
.LBB230_42:                             ;   in Loop: Header=BB230_43 Depth=1
	s_or_b64 exec, exec, s[64:65]
	v_mov_b32_e32 v6, s78
	s_waitcnt lgkmcnt(0)
	s_barrier
	ds_read_b32 v6, v6
	v_add_u32_e32 v26, 0x400, v26
	s_movk_i32 s64, 0xbff
	v_cmp_lt_u32_e64 s[64:65], s64, v26
	v_add_u32_e32 v1, 0x4000, v1
	s_waitcnt lgkmcnt(0)
	v_add_u32_e32 v5, v6, v5
	s_or_b64 s[68:69], s[64:65], s[68:69]
	v_add_u32_e32 v27, 0x1000, v27
	s_andn2_b64 exec, exec, s[68:69]
	s_cbranch_execz .LBB230_109
.LBB230_43:                             ; =>This Inner Loop Header: Depth=1
	s_waitcnt vmcnt(0)
	ds_read2_b64 v[8:11], v1 offset1:1
	ds_read_b32 v7, v27
	s_waitcnt lgkmcnt(1)
	scratch_store_dwordx4 off, v[8:11], off
	s_waitcnt lgkmcnt(0)
	v_cmp_gt_i32_e64 s[64:65], s33, v7
	s_bcnt1_i32_b64 s76, s[64:65]
	s_nop 0
	v_and_b32_e32 v8, s64, v2
	v_and_b32_e32 v6, s65, v3
	v_bcnt_u32_b32 v8, v8, 0
	v_bcnt_u32_b32 v6, v6, v8
	v_mov_b32_e32 v8, s76
	s_barrier
	ds_write_b32 v4, v8
	s_waitcnt lgkmcnt(0)
	s_barrier
	s_and_saveexec_b64 s[76:77], s[60:61]
	s_cbranch_execz .LBB230_76
; %bb.44:                               ;   in Loop: Header=BB230_43 Depth=1
	v_readlane_b32 s80, v32, 12
	s_nop 1
	v_mov_b32_e32 v8, s80
	ds_read_b32 v8, v8
	s_waitcnt lgkmcnt(0)
	v_add_u32_e32 v6, v8, v6
	s_or_b64 exec, exec, s[76:77]
	s_and_saveexec_b64 s[76:77], s[62:63]
	s_cbranch_execnz .LBB230_77
.LBB230_45:                             ;   in Loop: Header=BB230_43 Depth=1
	s_or_b64 exec, exec, s[76:77]
	s_and_saveexec_b64 s[76:77], s[0:1]
	s_cbranch_execz .LBB230_78
.LBB230_46:                             ;   in Loop: Header=BB230_43 Depth=1
	v_readlane_b32 s80, v32, 14
	s_nop 1
	v_mov_b32_e32 v8, s80
	ds_read_b32 v8, v8
	s_waitcnt lgkmcnt(0)
	v_add_u32_e32 v6, v8, v6
	s_or_b64 exec, exec, s[76:77]
	s_and_saveexec_b64 s[76:77], s[2:3]
	s_cbranch_execnz .LBB230_79
.LBB230_47:                             ;   in Loop: Header=BB230_43 Depth=1
	s_or_b64 exec, exec, s[76:77]
	s_and_saveexec_b64 s[76:77], s[4:5]
	s_cbranch_execz .LBB230_80
.LBB230_48:                             ;   in Loop: Header=BB230_43 Depth=1
	v_mov_b32_e32 v8, s79
	ds_read_b32 v8, v8
	s_waitcnt lgkmcnt(0)
	v_add_u32_e32 v6, v8, v6
	s_or_b64 exec, exec, s[76:77]
	s_and_saveexec_b64 s[76:77], s[6:7]
	s_cbranch_execnz .LBB230_81
.LBB230_49:                             ;   in Loop: Header=BB230_43 Depth=1
	s_or_b64 exec, exec, s[76:77]
	s_and_saveexec_b64 s[76:77], s[8:9]
	s_cbranch_execz .LBB230_82
.LBB230_50:                             ;   in Loop: Header=BB230_43 Depth=1
	v_mov_b32_e32 v8, s82
	ds_read_b32 v8, v8
	s_waitcnt lgkmcnt(0)
	v_add_u32_e32 v6, v8, v6
	s_or_b64 exec, exec, s[76:77]
	s_and_saveexec_b64 s[76:77], s[10:11]
	s_cbranch_execnz .LBB230_83
.LBB230_51:                             ;   in Loop: Header=BB230_43 Depth=1
	s_or_b64 exec, exec, s[76:77]
	s_and_saveexec_b64 s[76:77], s[12:13]
	s_cbranch_execz .LBB230_84
.LBB230_52:                             ;   in Loop: Header=BB230_43 Depth=1
	v_mov_b32_e32 v8, s84
	ds_read_b32 v8, v8
	s_waitcnt lgkmcnt(0)
	v_add_u32_e32 v6, v8, v6
	s_or_b64 exec, exec, s[76:77]
	s_and_saveexec_b64 s[76:77], s[14:15]
	s_cbranch_execnz .LBB230_85
.LBB230_53:                             ;   in Loop: Header=BB230_43 Depth=1
	s_or_b64 exec, exec, s[76:77]
	s_and_saveexec_b64 s[76:77], s[16:17]
	s_cbranch_execz .LBB230_86
.LBB230_54:                             ;   in Loop: Header=BB230_43 Depth=1
	v_mov_b32_e32 v8, s86
	ds_read_b32 v8, v8
	s_waitcnt lgkmcnt(0)
	v_add_u32_e32 v6, v8, v6
	s_or_b64 exec, exec, s[76:77]
	s_and_saveexec_b64 s[76:77], s[18:19]
	s_cbranch_execnz .LBB230_87
.LBB230_55:                             ;   in Loop: Header=BB230_43 Depth=1
	s_or_b64 exec, exec, s[76:77]
	s_and_saveexec_b64 s[76:77], s[20:21]
	s_cbranch_execz .LBB230_88
.LBB230_56:                             ;   in Loop: Header=BB230_43 Depth=1
	v_mov_b32_e32 v8, s88
	ds_read_b32 v8, v8
	s_waitcnt lgkmcnt(0)
	v_add_u32_e32 v6, v8, v6
	s_or_b64 exec, exec, s[76:77]
	s_and_saveexec_b64 s[76:77], s[22:23]
	s_cbranch_execnz .LBB230_89
.LBB230_57:                             ;   in Loop: Header=BB230_43 Depth=1
	s_or_b64 exec, exec, s[76:77]
	s_and_saveexec_b64 s[76:77], s[24:25]
	s_cbranch_execz .LBB230_90
.LBB230_58:                             ;   in Loop: Header=BB230_43 Depth=1
	v_mov_b32_e32 v8, s90
	ds_read_b32 v8, v8
	s_waitcnt lgkmcnt(0)
	v_add_u32_e32 v6, v8, v6
	s_or_b64 exec, exec, s[76:77]
	s_and_saveexec_b64 s[76:77], s[26:27]
	s_cbranch_execnz .LBB230_91
.LBB230_59:                             ;   in Loop: Header=BB230_43 Depth=1
	s_or_b64 exec, exec, s[76:77]
	s_and_saveexec_b64 s[76:77], s[28:29]
	s_cbranch_execz .LBB230_92
.LBB230_60:                             ;   in Loop: Header=BB230_43 Depth=1
	v_mov_b32_e32 v8, s92
	ds_read_b32 v8, v8
	s_waitcnt lgkmcnt(0)
	v_add_u32_e32 v6, v8, v6
	s_or_b64 exec, exec, s[76:77]
	s_and_saveexec_b64 s[76:77], s[30:31]
	s_cbranch_execnz .LBB230_93
.LBB230_61:                             ;   in Loop: Header=BB230_43 Depth=1
	s_or_b64 exec, exec, s[76:77]
	s_and_saveexec_b64 s[76:77], s[34:35]
	s_cbranch_execz .LBB230_94
.LBB230_62:                             ;   in Loop: Header=BB230_43 Depth=1
	v_mov_b32_e32 v8, s94
	ds_read_b32 v8, v8
	s_waitcnt lgkmcnt(0)
	v_add_u32_e32 v6, v8, v6
	s_or_b64 exec, exec, s[76:77]
	s_and_saveexec_b64 s[76:77], s[36:37]
	s_cbranch_execnz .LBB230_95
.LBB230_63:                             ;   in Loop: Header=BB230_43 Depth=1
	s_or_b64 exec, exec, s[76:77]
	s_and_saveexec_b64 s[76:77], s[38:39]
	s_cbranch_execz .LBB230_96
.LBB230_64:                             ;   in Loop: Header=BB230_43 Depth=1
	v_mov_b32_e32 v8, s96
	ds_read_b32 v8, v8
	s_waitcnt lgkmcnt(0)
	v_add_u32_e32 v6, v8, v6
	s_or_b64 exec, exec, s[76:77]
	s_and_saveexec_b64 s[76:77], s[40:41]
	s_cbranch_execnz .LBB230_97
.LBB230_65:                             ;   in Loop: Header=BB230_43 Depth=1
	s_or_b64 exec, exec, s[76:77]
	s_and_saveexec_b64 s[76:77], s[42:43]
	s_cbranch_execz .LBB230_98
.LBB230_66:                             ;   in Loop: Header=BB230_43 Depth=1
	v_mov_b32_e32 v8, s98
	ds_read_b32 v8, v8
	s_waitcnt lgkmcnt(0)
	v_add_u32_e32 v6, v8, v6
	s_or_b64 exec, exec, s[76:77]
	s_and_saveexec_b64 s[76:77], s[44:45]
	s_cbranch_execnz .LBB230_99
.LBB230_67:                             ;   in Loop: Header=BB230_43 Depth=1
	s_or_b64 exec, exec, s[76:77]
	s_and_saveexec_b64 s[76:77], s[46:47]
	s_cbranch_execz .LBB230_100
.LBB230_68:                             ;   in Loop: Header=BB230_43 Depth=1
	v_mov_b32_e32 v8, s74
	ds_read_b32 v8, v8
	s_waitcnt lgkmcnt(0)
	v_add_u32_e32 v6, v8, v6
	s_or_b64 exec, exec, s[76:77]
	s_and_saveexec_b64 s[76:77], s[48:49]
	s_cbranch_execnz .LBB230_101
.LBB230_69:                             ;   in Loop: Header=BB230_43 Depth=1
	s_or_b64 exec, exec, s[76:77]
	s_and_saveexec_b64 s[76:77], s[50:51]
	s_cbranch_execz .LBB230_102
.LBB230_70:                             ;   in Loop: Header=BB230_43 Depth=1
	v_mov_b32_e32 v8, s73
	ds_read_b32 v8, v8
	s_waitcnt lgkmcnt(0)
	v_add_u32_e32 v6, v8, v6
	s_or_b64 exec, exec, s[76:77]
	s_and_saveexec_b64 s[76:77], s[52:53]
	s_cbranch_execnz .LBB230_103
.LBB230_71:                             ;   in Loop: Header=BB230_43 Depth=1
	s_or_b64 exec, exec, s[76:77]
	s_and_saveexec_b64 s[76:77], s[54:55]
	s_cbranch_execz .LBB230_104
.LBB230_72:                             ;   in Loop: Header=BB230_43 Depth=1
	v_mov_b32_e32 v8, s67
	ds_read_b32 v8, v8
	s_waitcnt lgkmcnt(0)
	v_add_u32_e32 v6, v8, v6
	s_or_b64 exec, exec, s[76:77]
	s_and_saveexec_b64 s[76:77], s[56:57]
	s_cbranch_execnz .LBB230_105
.LBB230_73:                             ;   in Loop: Header=BB230_43 Depth=1
	s_or_b64 exec, exec, s[76:77]
	s_and_saveexec_b64 s[76:77], s[58:59]
	s_cbranch_execz .LBB230_106
.LBB230_74:                             ;   in Loop: Header=BB230_43 Depth=1
	v_mov_b32_e32 v8, s75
	ds_read_b32 v8, v8
	s_waitcnt lgkmcnt(0)
	v_add_u32_e32 v6, v8, v6
	s_or_b64 exec, exec, s[76:77]
	s_and_saveexec_b64 s[76:77], s[64:65]
	s_cbranch_execnz .LBB230_107
.LBB230_75:                             ;   in Loop: Header=BB230_43 Depth=1
	s_or_b64 exec, exec, s[76:77]
	s_and_saveexec_b64 s[64:65], vcc
	s_cbranch_execz .LBB230_42
	s_branch .LBB230_108
.LBB230_76:                             ;   in Loop: Header=BB230_43 Depth=1
	s_or_b64 exec, exec, s[76:77]
	s_and_saveexec_b64 s[76:77], s[62:63]
	s_cbranch_execz .LBB230_45
.LBB230_77:                             ;   in Loop: Header=BB230_43 Depth=1
	v_readlane_b32 s80, v32, 13
	s_nop 1
	v_mov_b32_e32 v8, s80
	ds_read_b32 v8, v8
	s_waitcnt lgkmcnt(0)
	v_add_u32_e32 v6, v8, v6
	s_or_b64 exec, exec, s[76:77]
	s_and_saveexec_b64 s[76:77], s[0:1]
	s_cbranch_execnz .LBB230_46
.LBB230_78:                             ;   in Loop: Header=BB230_43 Depth=1
	s_or_b64 exec, exec, s[76:77]
	s_and_saveexec_b64 s[76:77], s[2:3]
	s_cbranch_execz .LBB230_47
.LBB230_79:                             ;   in Loop: Header=BB230_43 Depth=1
	v_readlane_b32 s80, v32, 15
	s_nop 1
	v_mov_b32_e32 v8, s80
	ds_read_b32 v8, v8
	s_waitcnt lgkmcnt(0)
	v_add_u32_e32 v6, v8, v6
	s_or_b64 exec, exec, s[76:77]
	s_and_saveexec_b64 s[76:77], s[4:5]
	s_cbranch_execnz .LBB230_48
.LBB230_80:                             ;   in Loop: Header=BB230_43 Depth=1
	s_or_b64 exec, exec, s[76:77]
	s_and_saveexec_b64 s[76:77], s[6:7]
	s_cbranch_execz .LBB230_49
.LBB230_81:                             ;   in Loop: Header=BB230_43 Depth=1
	v_readlane_b32 s80, v32, 16
	s_nop 1
	v_mov_b32_e32 v8, s80
	ds_read_b32 v8, v8
	s_waitcnt lgkmcnt(0)
	v_add_u32_e32 v6, v8, v6
	s_or_b64 exec, exec, s[76:77]
	s_and_saveexec_b64 s[76:77], s[8:9]
	s_cbranch_execnz .LBB230_50
.LBB230_82:                             ;   in Loop: Header=BB230_43 Depth=1
	s_or_b64 exec, exec, s[76:77]
	s_and_saveexec_b64 s[76:77], s[10:11]
	s_cbranch_execz .LBB230_51
.LBB230_83:                             ;   in Loop: Header=BB230_43 Depth=1
	v_mov_b32_e32 v8, s83
	ds_read_b32 v8, v8
	s_waitcnt lgkmcnt(0)
	v_add_u32_e32 v6, v8, v6
	s_or_b64 exec, exec, s[76:77]
	s_and_saveexec_b64 s[76:77], s[12:13]
	s_cbranch_execnz .LBB230_52
.LBB230_84:                             ;   in Loop: Header=BB230_43 Depth=1
	s_or_b64 exec, exec, s[76:77]
	s_and_saveexec_b64 s[76:77], s[14:15]
	s_cbranch_execz .LBB230_53
.LBB230_85:                             ;   in Loop: Header=BB230_43 Depth=1
	v_mov_b32_e32 v8, s85
	ds_read_b32 v8, v8
	s_waitcnt lgkmcnt(0)
	v_add_u32_e32 v6, v8, v6
	s_or_b64 exec, exec, s[76:77]
	s_and_saveexec_b64 s[76:77], s[16:17]
	s_cbranch_execnz .LBB230_54
.LBB230_86:                             ;   in Loop: Header=BB230_43 Depth=1
	s_or_b64 exec, exec, s[76:77]
	s_and_saveexec_b64 s[76:77], s[18:19]
	s_cbranch_execz .LBB230_55
.LBB230_87:                             ;   in Loop: Header=BB230_43 Depth=1
	v_mov_b32_e32 v8, s87
	ds_read_b32 v8, v8
	s_waitcnt lgkmcnt(0)
	v_add_u32_e32 v6, v8, v6
	s_or_b64 exec, exec, s[76:77]
	s_and_saveexec_b64 s[76:77], s[20:21]
	s_cbranch_execnz .LBB230_56
.LBB230_88:                             ;   in Loop: Header=BB230_43 Depth=1
	s_or_b64 exec, exec, s[76:77]
	s_and_saveexec_b64 s[76:77], s[22:23]
	s_cbranch_execz .LBB230_57
.LBB230_89:                             ;   in Loop: Header=BB230_43 Depth=1
	v_mov_b32_e32 v8, s89
	ds_read_b32 v8, v8
	s_waitcnt lgkmcnt(0)
	v_add_u32_e32 v6, v8, v6
	s_or_b64 exec, exec, s[76:77]
	s_and_saveexec_b64 s[76:77], s[24:25]
	s_cbranch_execnz .LBB230_58
.LBB230_90:                             ;   in Loop: Header=BB230_43 Depth=1
	s_or_b64 exec, exec, s[76:77]
	s_and_saveexec_b64 s[76:77], s[26:27]
	s_cbranch_execz .LBB230_59
.LBB230_91:                             ;   in Loop: Header=BB230_43 Depth=1
	v_mov_b32_e32 v8, s91
	ds_read_b32 v8, v8
	s_waitcnt lgkmcnt(0)
	v_add_u32_e32 v6, v8, v6
	s_or_b64 exec, exec, s[76:77]
	s_and_saveexec_b64 s[76:77], s[28:29]
	s_cbranch_execnz .LBB230_60
.LBB230_92:                             ;   in Loop: Header=BB230_43 Depth=1
	s_or_b64 exec, exec, s[76:77]
	s_and_saveexec_b64 s[76:77], s[30:31]
	s_cbranch_execz .LBB230_61
.LBB230_93:                             ;   in Loop: Header=BB230_43 Depth=1
	v_mov_b32_e32 v8, s93
	ds_read_b32 v8, v8
	s_waitcnt lgkmcnt(0)
	v_add_u32_e32 v6, v8, v6
	s_or_b64 exec, exec, s[76:77]
	s_and_saveexec_b64 s[76:77], s[34:35]
	s_cbranch_execnz .LBB230_62
.LBB230_94:                             ;   in Loop: Header=BB230_43 Depth=1
	s_or_b64 exec, exec, s[76:77]
	s_and_saveexec_b64 s[76:77], s[36:37]
	s_cbranch_execz .LBB230_63
.LBB230_95:                             ;   in Loop: Header=BB230_43 Depth=1
	v_mov_b32_e32 v8, s95
	ds_read_b32 v8, v8
	s_waitcnt lgkmcnt(0)
	v_add_u32_e32 v6, v8, v6
	s_or_b64 exec, exec, s[76:77]
	s_and_saveexec_b64 s[76:77], s[38:39]
	s_cbranch_execnz .LBB230_64
.LBB230_96:                             ;   in Loop: Header=BB230_43 Depth=1
	s_or_b64 exec, exec, s[76:77]
	s_and_saveexec_b64 s[76:77], s[40:41]
	s_cbranch_execz .LBB230_65
.LBB230_97:                             ;   in Loop: Header=BB230_43 Depth=1
	v_mov_b32_e32 v8, s97
	ds_read_b32 v8, v8
	s_waitcnt lgkmcnt(0)
	v_add_u32_e32 v6, v8, v6
	s_or_b64 exec, exec, s[76:77]
	s_and_saveexec_b64 s[76:77], s[42:43]
	s_cbranch_execnz .LBB230_66
.LBB230_98:                             ;   in Loop: Header=BB230_43 Depth=1
	s_or_b64 exec, exec, s[76:77]
	s_and_saveexec_b64 s[76:77], s[44:45]
	s_cbranch_execz .LBB230_67
.LBB230_99:                             ;   in Loop: Header=BB230_43 Depth=1
	v_mov_b32_e32 v8, s99
	ds_read_b32 v8, v8
	s_waitcnt lgkmcnt(0)
	v_add_u32_e32 v6, v8, v6
	s_or_b64 exec, exec, s[76:77]
	s_and_saveexec_b64 s[76:77], s[46:47]
	s_cbranch_execnz .LBB230_68
.LBB230_100:                            ;   in Loop: Header=BB230_43 Depth=1
	s_or_b64 exec, exec, s[76:77]
	s_and_saveexec_b64 s[76:77], s[48:49]
	s_cbranch_execz .LBB230_69
.LBB230_101:                            ;   in Loop: Header=BB230_43 Depth=1
	v_mov_b32_e32 v8, s72
	ds_read_b32 v8, v8
	s_waitcnt lgkmcnt(0)
	v_add_u32_e32 v6, v8, v6
	s_or_b64 exec, exec, s[76:77]
	s_and_saveexec_b64 s[76:77], s[50:51]
	s_cbranch_execnz .LBB230_70
.LBB230_102:                            ;   in Loop: Header=BB230_43 Depth=1
	s_or_b64 exec, exec, s[76:77]
	s_and_saveexec_b64 s[76:77], s[52:53]
	s_cbranch_execz .LBB230_71
.LBB230_103:                            ;   in Loop: Header=BB230_43 Depth=1
	v_mov_b32_e32 v8, s66
	ds_read_b32 v8, v8
	s_waitcnt lgkmcnt(0)
	v_add_u32_e32 v6, v8, v6
	s_or_b64 exec, exec, s[76:77]
	s_and_saveexec_b64 s[76:77], s[54:55]
	s_cbranch_execnz .LBB230_72
.LBB230_104:                            ;   in Loop: Header=BB230_43 Depth=1
	s_or_b64 exec, exec, s[76:77]
	s_and_saveexec_b64 s[76:77], s[56:57]
	s_cbranch_execz .LBB230_73
.LBB230_105:                            ;   in Loop: Header=BB230_43 Depth=1
	v_mov_b32_e32 v8, s71
	ds_read_b32 v8, v8
	s_waitcnt lgkmcnt(0)
	v_add_u32_e32 v6, v8, v6
	s_or_b64 exec, exec, s[76:77]
	s_and_saveexec_b64 s[76:77], s[58:59]
	s_cbranch_execnz .LBB230_74
.LBB230_106:                            ;   in Loop: Header=BB230_43 Depth=1
	s_or_b64 exec, exec, s[76:77]
	s_and_saveexec_b64 s[76:77], s[64:65]
	s_cbranch_execz .LBB230_75
.LBB230_107:                            ;   in Loop: Header=BB230_43 Depth=1
	scratch_load_dwordx4 v[8:11], off, off
	v_add3_u32 v12, v5, -1, v6
	v_add_u32_e32 v13, v5, v6
	v_lshl_add_u32 v12, v12, 2, 0
	v_lshl_add_u32 v13, v13, 4, 0
	v_add_u32_e32 v13, 0x3ff0, v13
	ds_write_b32 v12, v7
	s_waitcnt vmcnt(0)
	ds_write2_b64 v13, v[8:9], v[10:11] offset1:1
	s_or_b64 exec, exec, s[76:77]
	s_and_saveexec_b64 s[64:65], vcc
	s_cbranch_execz .LBB230_42
.LBB230_108:                            ;   in Loop: Header=BB230_43 Depth=1
	v_mov_b32_e32 v7, s78
	ds_write_b32 v7, v6
	s_branch .LBB230_42
.LBB230_109:
	s_or_b64 exec, exec, s[68:69]
	v_readlane_b32 s0, v32, 10
	v_readlane_b32 s1, v32, 11
	;; [unrolled: 1-line block ×3, first 2 shown]
	s_ashr_i32 s1, s0, 31
	v_readlane_b32 s6, v32, 4
	v_readlane_b32 s7, v32, 5
	;; [unrolled: 1-line block ×4, first 2 shown]
	s_lshl_b64 s[0:1], s[0:1], 3
	s_mov_b64 s[6:7], s[10:11]
	v_readlane_b32 s5, v32, 3
	s_add_u32 s4, s6, s0
	s_addc_u32 s5, s7, s1
	s_load_dwordx4 s[0:3], s[4:5], 0x0
	v_readlane_b32 s8, v32, 6
	v_readlane_b32 s9, v32, 7
	s_waitcnt lgkmcnt(0)
	s_sub_i32 s8, s2, s0
	v_cmp_gt_i32_e32 vcc, s8, v0
	s_and_saveexec_b64 s[4:5], vcc
	s_cbranch_execz .LBB230_119
; %bb.110:
	s_sub_u32 s4, s0, s70
	s_subb_u32 s5, s1, 0
	s_and_b32 s10, s8, 7
	s_sub_i32 s0, s0, s2
	s_cmp_lt_u32 s0, -7
	s_cselect_b64 s[0:1], -1, 0
	s_and_b32 s11, s8, -8
	s_cmp_lg_u32 s10, 0
	v_cndmask_b32_e64 v1, 0, 1, s[0:1]
	s_cselect_b64 s[2:3], -1, 0
	v_cmp_ne_u32_e64 s[0:1], 1, v1
	v_cndmask_b32_e64 v1, 0, 1, s[2:3]
	s_mov_b32 s9, 0
	s_mov_b64 s[6:7], 0
	v_cmp_ne_u32_e64 s[2:3], 1, v1
	s_movk_i32 s12, 0x4000
	s_branch .LBB230_112
.LBB230_111:                            ;   in Loop: Header=BB230_112 Depth=1
	s_waitcnt lgkmcnt(0)
	v_mul_lo_u32 v4, v0, 12
	v_add3_u32 v1, v1, v4, s12
	ds_read2_b64 v[4:7], v1 offset1:1
	v_readlane_b32 s14, v32, 0
	v_add_u32_e32 v0, 0x400, v0
	v_readlane_b32 s15, v32, 1
	v_cmp_le_i32_e32 vcc, s8, v0
	s_or_b64 s[6:7], vcc, s[6:7]
	v_lshl_add_u64 v[2:3], v[2:3], 4, s[14:15]
	s_waitcnt lgkmcnt(0)
	global_store_dwordx4 v[2:3], v[4:7], off
	s_andn2_b64 exec, exec, s[6:7]
	s_cbranch_execz .LBB230_119
.LBB230_112:                            ; =>This Loop Header: Depth=1
                                        ;     Child Loop BB230_114 Depth 2
                                        ;     Child Loop BB230_118 Depth 2
	v_lshl_add_u32 v1, v0, 2, 0
	ds_read_b32 v4, v1
	s_and_b64 vcc, exec, s[0:1]
	v_mov_b64_e32 v[2:3], s[4:5]
	s_mov_b32 s13, 0
	s_cbranch_vccnz .LBB230_116
; %bb.113:                              ;   in Loop: Header=BB230_112 Depth=1
	s_mov_b32 s14, 0
	v_mov_b64_e32 v[2:3], s[4:5]
.LBB230_114:                            ;   Parent Loop BB230_112 Depth=1
                                        ; =>  This Inner Loop Header: Depth=2
	v_mov_b32_e32 v5, s14
	ds_read2_b32 v[22:23], v5 offset1:1
	ds_read2_b32 v[24:25], v5 offset0:2 offset1:3
	ds_read2_b32 v[26:27], v5 offset0:4 offset1:5
	;; [unrolled: 1-line block ×3, first 2 shown]
	v_mov_b32_e32 v7, s9
	s_waitcnt lgkmcnt(3)
	v_cmp_gt_i32_e32 vcc, v4, v22
	v_mov_b32_e32 v9, s9
	v_mov_b32_e32 v11, s9
	v_cndmask_b32_e64 v6, 0, 1, vcc
	v_cmp_gt_i32_e32 vcc, v4, v23
	v_lshl_add_u64 v[2:3], v[2:3], 0, v[6:7]
	v_mov_b32_e32 v13, s9
	v_cndmask_b32_e64 v8, 0, 1, vcc
	s_waitcnt lgkmcnt(2)
	v_cmp_gt_i32_e32 vcc, v4, v24
	v_lshl_add_u64 v[2:3], v[2:3], 0, v[8:9]
	v_mov_b32_e32 v15, s9
	v_cndmask_b32_e64 v10, 0, 1, vcc
	v_cmp_gt_i32_e32 vcc, v4, v25
	v_lshl_add_u64 v[2:3], v[2:3], 0, v[10:11]
	v_mov_b32_e32 v17, s9
	v_cndmask_b32_e64 v12, 0, 1, vcc
	s_waitcnt lgkmcnt(1)
	v_cmp_gt_i32_e32 vcc, v4, v26
	v_lshl_add_u64 v[2:3], v[2:3], 0, v[12:13]
	;; [unrolled: 9-line block ×3, first 2 shown]
	s_add_i32 s13, s13, 8
	v_cndmask_b32_e64 v18, 0, 1, vcc
	v_cmp_gt_i32_e32 vcc, v4, v29
	s_add_i32 s14, s14, 32
	v_lshl_add_u64 v[2:3], v[2:3], 0, v[18:19]
	v_cndmask_b32_e64 v20, 0, 1, vcc
	s_cmp_eq_u32 s11, s13
	v_lshl_add_u64 v[2:3], v[2:3], 0, v[20:21]
	s_cbranch_scc0 .LBB230_114
; %bb.115:                              ;   in Loop: Header=BB230_112 Depth=1
	s_mov_b32 s13, s11
.LBB230_116:                            ;   in Loop: Header=BB230_112 Depth=1
	s_and_b64 vcc, exec, s[2:3]
	s_cbranch_vccnz .LBB230_111
; %bb.117:                              ;   in Loop: Header=BB230_112 Depth=1
	s_lshl_b32 s13, s13, 2
	s_add_i32 s13, s13, 0
	s_mov_b32 s14, s10
.LBB230_118:                            ;   Parent Loop BB230_112 Depth=1
                                        ; =>  This Inner Loop Header: Depth=2
	v_mov_b32_e32 v5, s13
	ds_read_b32 v5, v5
	v_mov_b32_e32 v7, s9
	s_add_i32 s13, s13, 4
	s_add_i32 s14, s14, -1
	s_cmp_lg_u32 s14, 0
	s_waitcnt lgkmcnt(0)
	v_cmp_gt_i32_e32 vcc, v4, v5
	s_nop 1
	v_cndmask_b32_e64 v6, 0, 1, vcc
	v_lshl_add_u64 v[2:3], v[2:3], 0, v[6:7]
	s_cbranch_scc1 .LBB230_118
	s_branch .LBB230_111
.LBB230_119:
	s_endpgm
	.section	.rodata,"a",@progbits
	.p2align	6, 0x0
	.amdhsa_kernel _ZN9rocsparseL41csrgemm_numeric_fill_block_per_row_kernelILj1024ELj64ELj4096ELj137ELj32Eli21rocsparse_complex_numIdEEEvT5_PKS3_S5_NS_24const_host_device_scalarIT6_EEPKT4_S5_PKS7_SB_S5_SD_S8_SB_S5_SD_SB_S5_PS7_21rocsparse_index_base_SF_SF_SF_bbb
		.amdhsa_group_segment_fixed_size 0
		.amdhsa_private_segment_fixed_size 40
		.amdhsa_kernarg_size 172
		.amdhsa_user_sgpr_count 2
		.amdhsa_user_sgpr_dispatch_ptr 0
		.amdhsa_user_sgpr_queue_ptr 0
		.amdhsa_user_sgpr_kernarg_segment_ptr 1
		.amdhsa_user_sgpr_dispatch_id 0
		.amdhsa_user_sgpr_kernarg_preload_length 0
		.amdhsa_user_sgpr_kernarg_preload_offset 0
		.amdhsa_user_sgpr_private_segment_size 0
		.amdhsa_uses_dynamic_stack 0
		.amdhsa_enable_private_segment 1
		.amdhsa_system_sgpr_workgroup_id_x 1
		.amdhsa_system_sgpr_workgroup_id_y 0
		.amdhsa_system_sgpr_workgroup_id_z 0
		.amdhsa_system_sgpr_workgroup_info 0
		.amdhsa_system_vgpr_workitem_id 0
		.amdhsa_next_free_vgpr 33
		.amdhsa_next_free_sgpr 100
		.amdhsa_accum_offset 36
		.amdhsa_reserve_vcc 1
		.amdhsa_float_round_mode_32 0
		.amdhsa_float_round_mode_16_64 0
		.amdhsa_float_denorm_mode_32 3
		.amdhsa_float_denorm_mode_16_64 3
		.amdhsa_dx10_clamp 1
		.amdhsa_ieee_mode 1
		.amdhsa_fp16_overflow 0
		.amdhsa_tg_split 0
		.amdhsa_exception_fp_ieee_invalid_op 0
		.amdhsa_exception_fp_denorm_src 0
		.amdhsa_exception_fp_ieee_div_zero 0
		.amdhsa_exception_fp_ieee_overflow 0
		.amdhsa_exception_fp_ieee_underflow 0
		.amdhsa_exception_fp_ieee_inexact 0
		.amdhsa_exception_int_div_zero 0
	.end_amdhsa_kernel
	.section	.text._ZN9rocsparseL41csrgemm_numeric_fill_block_per_row_kernelILj1024ELj64ELj4096ELj137ELj32Eli21rocsparse_complex_numIdEEEvT5_PKS3_S5_NS_24const_host_device_scalarIT6_EEPKT4_S5_PKS7_SB_S5_SD_S8_SB_S5_SD_SB_S5_PS7_21rocsparse_index_base_SF_SF_SF_bbb,"axG",@progbits,_ZN9rocsparseL41csrgemm_numeric_fill_block_per_row_kernelILj1024ELj64ELj4096ELj137ELj32Eli21rocsparse_complex_numIdEEEvT5_PKS3_S5_NS_24const_host_device_scalarIT6_EEPKT4_S5_PKS7_SB_S5_SD_S8_SB_S5_SD_SB_S5_PS7_21rocsparse_index_base_SF_SF_SF_bbb,comdat
.Lfunc_end230:
	.size	_ZN9rocsparseL41csrgemm_numeric_fill_block_per_row_kernelILj1024ELj64ELj4096ELj137ELj32Eli21rocsparse_complex_numIdEEEvT5_PKS3_S5_NS_24const_host_device_scalarIT6_EEPKT4_S5_PKS7_SB_S5_SD_S8_SB_S5_SD_SB_S5_PS7_21rocsparse_index_base_SF_SF_SF_bbb, .Lfunc_end230-_ZN9rocsparseL41csrgemm_numeric_fill_block_per_row_kernelILj1024ELj64ELj4096ELj137ELj32Eli21rocsparse_complex_numIdEEEvT5_PKS3_S5_NS_24const_host_device_scalarIT6_EEPKT4_S5_PKS7_SB_S5_SD_S8_SB_S5_SD_SB_S5_PS7_21rocsparse_index_base_SF_SF_SF_bbb
                                        ; -- End function
	.set _ZN9rocsparseL41csrgemm_numeric_fill_block_per_row_kernelILj1024ELj64ELj4096ELj137ELj32Eli21rocsparse_complex_numIdEEEvT5_PKS3_S5_NS_24const_host_device_scalarIT6_EEPKT4_S5_PKS7_SB_S5_SD_S8_SB_S5_SD_SB_S5_PS7_21rocsparse_index_base_SF_SF_SF_bbb.num_vgpr, 33
	.set _ZN9rocsparseL41csrgemm_numeric_fill_block_per_row_kernelILj1024ELj64ELj4096ELj137ELj32Eli21rocsparse_complex_numIdEEEvT5_PKS3_S5_NS_24const_host_device_scalarIT6_EEPKT4_S5_PKS7_SB_S5_SD_S8_SB_S5_SD_SB_S5_PS7_21rocsparse_index_base_SF_SF_SF_bbb.num_agpr, 0
	.set _ZN9rocsparseL41csrgemm_numeric_fill_block_per_row_kernelILj1024ELj64ELj4096ELj137ELj32Eli21rocsparse_complex_numIdEEEvT5_PKS3_S5_NS_24const_host_device_scalarIT6_EEPKT4_S5_PKS7_SB_S5_SD_S8_SB_S5_SD_SB_S5_PS7_21rocsparse_index_base_SF_SF_SF_bbb.numbered_sgpr, 100
	.set _ZN9rocsparseL41csrgemm_numeric_fill_block_per_row_kernelILj1024ELj64ELj4096ELj137ELj32Eli21rocsparse_complex_numIdEEEvT5_PKS3_S5_NS_24const_host_device_scalarIT6_EEPKT4_S5_PKS7_SB_S5_SD_S8_SB_S5_SD_SB_S5_PS7_21rocsparse_index_base_SF_SF_SF_bbb.num_named_barrier, 0
	.set _ZN9rocsparseL41csrgemm_numeric_fill_block_per_row_kernelILj1024ELj64ELj4096ELj137ELj32Eli21rocsparse_complex_numIdEEEvT5_PKS3_S5_NS_24const_host_device_scalarIT6_EEPKT4_S5_PKS7_SB_S5_SD_S8_SB_S5_SD_SB_S5_PS7_21rocsparse_index_base_SF_SF_SF_bbb.private_seg_size, 40
	.set _ZN9rocsparseL41csrgemm_numeric_fill_block_per_row_kernelILj1024ELj64ELj4096ELj137ELj32Eli21rocsparse_complex_numIdEEEvT5_PKS3_S5_NS_24const_host_device_scalarIT6_EEPKT4_S5_PKS7_SB_S5_SD_S8_SB_S5_SD_SB_S5_PS7_21rocsparse_index_base_SF_SF_SF_bbb.uses_vcc, 1
	.set _ZN9rocsparseL41csrgemm_numeric_fill_block_per_row_kernelILj1024ELj64ELj4096ELj137ELj32Eli21rocsparse_complex_numIdEEEvT5_PKS3_S5_NS_24const_host_device_scalarIT6_EEPKT4_S5_PKS7_SB_S5_SD_S8_SB_S5_SD_SB_S5_PS7_21rocsparse_index_base_SF_SF_SF_bbb.uses_flat_scratch, 0
	.set _ZN9rocsparseL41csrgemm_numeric_fill_block_per_row_kernelILj1024ELj64ELj4096ELj137ELj32Eli21rocsparse_complex_numIdEEEvT5_PKS3_S5_NS_24const_host_device_scalarIT6_EEPKT4_S5_PKS7_SB_S5_SD_S8_SB_S5_SD_SB_S5_PS7_21rocsparse_index_base_SF_SF_SF_bbb.has_dyn_sized_stack, 0
	.set _ZN9rocsparseL41csrgemm_numeric_fill_block_per_row_kernelILj1024ELj64ELj4096ELj137ELj32Eli21rocsparse_complex_numIdEEEvT5_PKS3_S5_NS_24const_host_device_scalarIT6_EEPKT4_S5_PKS7_SB_S5_SD_S8_SB_S5_SD_SB_S5_PS7_21rocsparse_index_base_SF_SF_SF_bbb.has_recursion, 0
	.set _ZN9rocsparseL41csrgemm_numeric_fill_block_per_row_kernelILj1024ELj64ELj4096ELj137ELj32Eli21rocsparse_complex_numIdEEEvT5_PKS3_S5_NS_24const_host_device_scalarIT6_EEPKT4_S5_PKS7_SB_S5_SD_S8_SB_S5_SD_SB_S5_PS7_21rocsparse_index_base_SF_SF_SF_bbb.has_indirect_call, 0
	.section	.AMDGPU.csdata,"",@progbits
; Kernel info:
; codeLenInByte = 5016
; TotalNumSgprs: 106
; NumVgprs: 33
; NumAgprs: 0
; TotalNumVgprs: 33
; ScratchSize: 40
; MemoryBound: 0
; FloatMode: 240
; IeeeMode: 1
; LDSByteSize: 0 bytes/workgroup (compile time only)
; SGPRBlocks: 13
; VGPRBlocks: 4
; NumSGPRsForWavesPerEU: 106
; NumVGPRsForWavesPerEU: 33
; AccumOffset: 36
; Occupancy: 7
; WaveLimiterHint : 1
; COMPUTE_PGM_RSRC2:SCRATCH_EN: 1
; COMPUTE_PGM_RSRC2:USER_SGPR: 2
; COMPUTE_PGM_RSRC2:TRAP_HANDLER: 0
; COMPUTE_PGM_RSRC2:TGID_X_EN: 1
; COMPUTE_PGM_RSRC2:TGID_Y_EN: 0
; COMPUTE_PGM_RSRC2:TGID_Z_EN: 0
; COMPUTE_PGM_RSRC2:TIDIG_COMP_CNT: 0
; COMPUTE_PGM_RSRC3_GFX90A:ACCUM_OFFSET: 8
; COMPUTE_PGM_RSRC3_GFX90A:TG_SPLIT: 0
	.section	.text._ZN9rocsparseL41csrgemm_numeric_fill_block_per_row_kernelILj1024ELj64ELj4096ELj137ELj64Eli21rocsparse_complex_numIdEEEvT5_PKS3_S5_NS_24const_host_device_scalarIT6_EEPKT4_S5_PKS7_SB_S5_SD_S8_SB_S5_SD_SB_S5_PS7_21rocsparse_index_base_SF_SF_SF_bbb,"axG",@progbits,_ZN9rocsparseL41csrgemm_numeric_fill_block_per_row_kernelILj1024ELj64ELj4096ELj137ELj64Eli21rocsparse_complex_numIdEEEvT5_PKS3_S5_NS_24const_host_device_scalarIT6_EEPKT4_S5_PKS7_SB_S5_SD_S8_SB_S5_SD_SB_S5_PS7_21rocsparse_index_base_SF_SF_SF_bbb,comdat
	.globl	_ZN9rocsparseL41csrgemm_numeric_fill_block_per_row_kernelILj1024ELj64ELj4096ELj137ELj64Eli21rocsparse_complex_numIdEEEvT5_PKS3_S5_NS_24const_host_device_scalarIT6_EEPKT4_S5_PKS7_SB_S5_SD_S8_SB_S5_SD_SB_S5_PS7_21rocsparse_index_base_SF_SF_SF_bbb ; -- Begin function _ZN9rocsparseL41csrgemm_numeric_fill_block_per_row_kernelILj1024ELj64ELj4096ELj137ELj64Eli21rocsparse_complex_numIdEEEvT5_PKS3_S5_NS_24const_host_device_scalarIT6_EEPKT4_S5_PKS7_SB_S5_SD_S8_SB_S5_SD_SB_S5_PS7_21rocsparse_index_base_SF_SF_SF_bbb
	.p2align	8
	.type	_ZN9rocsparseL41csrgemm_numeric_fill_block_per_row_kernelILj1024ELj64ELj4096ELj137ELj64Eli21rocsparse_complex_numIdEEEvT5_PKS3_S5_NS_24const_host_device_scalarIT6_EEPKT4_S5_PKS7_SB_S5_SD_S8_SB_S5_SD_SB_S5_PS7_21rocsparse_index_base_SF_SF_SF_bbb,@function
_ZN9rocsparseL41csrgemm_numeric_fill_block_per_row_kernelILj1024ELj64ELj4096ELj137ELj64Eli21rocsparse_complex_numIdEEEvT5_PKS3_S5_NS_24const_host_device_scalarIT6_EEPKT4_S5_PKS7_SB_S5_SD_S8_SB_S5_SD_SB_S5_PS7_21rocsparse_index_base_SF_SF_SF_bbb: ; @_ZN9rocsparseL41csrgemm_numeric_fill_block_per_row_kernelILj1024ELj64ELj4096ELj137ELj64Eli21rocsparse_complex_numIdEEEvT5_PKS3_S5_NS_24const_host_device_scalarIT6_EEPKT4_S5_PKS7_SB_S5_SD_S8_SB_S5_SD_SB_S5_PS7_21rocsparse_index_base_SF_SF_SF_bbb
; %bb.0:
	s_load_dword s3, s[0:1], 0xa8
	s_load_dwordx4 s[44:47], s[0:1], 0x98
	s_load_dwordx4 s[8:11], s[0:1], 0x18
	;; [unrolled: 1-line block ×3, first 2 shown]
	v_mov_b64_e32 v[6:7], 0
	s_waitcnt lgkmcnt(0)
	s_bitcmp1_b32 s3, 0
	s_cselect_b64 s[28:29], -1, 0
	s_bitcmp1_b32 s3, 16
	s_cselect_b64 s[30:31], -1, 0
	s_xor_b64 s[4:5], s[30:31], -1
	v_mov_b64_e32 v[2:3], s[8:9]
	v_cndmask_b32_e64 v1, 0, 1, s[4:5]
	scratch_store_dwordx2 off, v[2:3], off offset:16
	v_mov_b64_e32 v[2:3], s[24:25]
	s_bitcmp0_b32 s3, 0
	v_cmp_ne_u32_e64 s[4:5], 1, v1
	v_mov_b64_e32 v[10:11], 0
	v_mov_b64_e32 v[12:13], 0
	scratch_store_dwordx2 off, v[2:3], off offset:24
	s_cbranch_scc1 .LBB231_3
; %bb.1:
	s_mov_b64 s[6:7], src_private_base
	s_and_b64 s[12:13], s[30:31], exec
	s_cselect_b32 s6, s7, s9
	s_cselect_b32 s7, 16, s8
	v_mov_b32_e32 v2, s7
	v_mov_b32_e32 v3, s6
	flat_load_dwordx2 v[10:11], v[2:3]
	s_and_b64 vcc, exec, s[4:5]
	v_mov_b64_e32 v[12:13], s[10:11]
	s_cbranch_vccnz .LBB231_3
; %bb.2:
	v_mov_b64_e32 v[2:3], s[8:9]
	flat_load_dwordx2 v[12:13], v[2:3] offset:8
.LBB231_3:
	s_load_dwordx2 s[34:35], s[0:1], 0x90
	s_load_dwordx8 s[36:43], s[0:1], 0x68
	s_load_dwordx4 s[16:19], s[0:1], 0x48
	s_load_dwordx4 s[20:23], s[0:1], 0x8
	s_load_dwordx8 s[8:15], s[0:1], 0x28
	s_bitcmp1_b32 s3, 8
	s_cselect_b64 s[6:7], -1, 0
	s_bfe_u32 s3, s3, 0x10008
	s_cmp_eq_u32 s3, 0
	v_mov_b64_e32 v[8:9], 0
	s_cbranch_scc1 .LBB231_6
; %bb.4:
	s_mov_b64 s[48:49], src_private_base
	s_and_b64 s[30:31], s[30:31], exec
	s_cselect_b32 s3, s49, s25
	s_cselect_b32 s30, 24, s24
	v_mov_b32_e32 v2, s30
	v_mov_b32_e32 v3, s3
	flat_load_dwordx2 v[8:9], v[2:3]
	s_and_b64 vcc, exec, s[4:5]
	v_mov_b64_e32 v[6:7], s[26:27]
	s_cbranch_vccnz .LBB231_6
; %bb.5:
	v_mov_b64_e32 v[2:3], s[24:25]
	flat_load_dwordx2 v[6:7], v[2:3] offset:8
.LBB231_6:
	s_load_dword s33, s[0:1], 0x0
	s_mov_b32 s4, 0
	v_lshl_add_u32 v1, v0, 4, 0
	v_add_u32_e32 v1, 0x4000, v1
	v_or_b32_e32 v26, 0xfffffc00, v0
	v_lshl_add_u32 v27, v0, 2, 0
	s_mov_b32 s5, s4
	s_mov_b32 s24, s4
	;; [unrolled: 1-line block ×3, first 2 shown]
	s_mov_b64 s[0:1], 0
	s_waitcnt lgkmcnt(0)
	v_mov_b32_e32 v17, s33
	v_mov_b64_e32 v[2:3], s[4:5]
	v_mov_b64_e32 v[4:5], s[24:25]
	s_movk_i32 s3, 0xbff
	v_mov_b32_e32 v14, v27
	v_mov_b32_e32 v15, v26
	;; [unrolled: 1-line block ×3, first 2 shown]
.LBB231_7:                              ; =>This Inner Loop Header: Depth=1
	v_add_u32_e32 v15, 0x400, v15
	v_cmp_lt_u32_e32 vcc, s3, v15
	ds_write_b32 v14, v17
	ds_write2_b64 v16, v[2:3], v[4:5] offset1:1
	v_add_u32_e32 v16, 0x4000, v16
	s_or_b64 s[0:1], vcc, s[0:1]
	v_add_u32_e32 v14, 0x1000, v14
	s_andn2_b64 exec, exec, s[0:1]
	s_cbranch_execnz .LBB231_7
; %bb.8:
	s_or_b64 exec, exec, s[0:1]
	s_waitcnt lgkmcnt(0)
	s_barrier
	s_load_dword s0, s[20:21], 0x0
	s_mov_b32 s1, 0
	v_lshrrev_b32_e32 v28, 6, v0
	s_waitcnt lgkmcnt(0)
	s_add_i32 s0, s0, s2
	s_lshl_b64 s[0:1], s[0:1], 2
	s_add_u32 s0, s22, s0
	s_addc_u32 s1, s23, s1
	s_load_dword s48, s[0:1], 0x0
	s_and_b64 vcc, exec, s[28:29]
	s_cbranch_vccz .LBB231_26
; %bb.9:
	s_waitcnt lgkmcnt(0)
	s_ashr_i32 s49, s48, 31
	s_lshl_b64 s[0:1], s[48:49], 3
	s_add_u32 s0, s8, s0
	s_addc_u32 s1, s9, s1
	s_load_dwordx4 s[20:23], s[0:1], 0x0
	v_subrev_co_u32_e32 v2, vcc, s44, v28
	s_nop 1
	v_subb_co_u32_e64 v3, s[0:1], 0, 0, vcc
	s_waitcnt lgkmcnt(0)
	s_sub_u32 s0, s22, s44
	s_subb_u32 s1, s23, 0
	v_lshl_add_u64 v[14:15], s[20:21], 0, v[2:3]
	v_cmp_gt_i64_e32 vcc, s[0:1], v[14:15]
	s_and_saveexec_b64 s[2:3], vcc
	s_cbranch_execz .LBB231_25
; %bb.10:
	v_and_b32_e32 v2, 63, v0
	v_subrev_co_u32_e32 v16, vcc, s45, v2
	s_mov_b32 s49, s45
	s_nop 0
	v_subb_co_u32_e64 v17, s[4:5], 0, 0, vcc
	s_mov_b64 s[4:5], 0
	s_movk_i32 s50, 0x89
	s_branch .LBB231_12
.LBB231_11:                             ;   in Loop: Header=BB231_12 Depth=1
	s_or_b64 exec, exec, s[8:9]
	v_lshl_add_u64 v[14:15], v[14:15], 0, 16
	v_cmp_le_i64_e32 vcc, s[0:1], v[14:15]
	s_or_b64 s[4:5], vcc, s[4:5]
	s_andn2_b64 exec, exec, s[4:5]
	s_cbranch_execz .LBB231_25
.LBB231_12:                             ; =>This Loop Header: Depth=1
                                        ;     Child Loop BB231_16 Depth 2
                                        ;       Child Loop BB231_19 Depth 3
	v_lshl_add_u64 v[2:3], v[14:15], 2, s[10:11]
	global_load_dword v2, v[2:3], off
	s_waitcnt vmcnt(0)
	v_subrev_u32_e32 v2, s44, v2
	v_ashrrev_i32_e32 v3, 31, v2
	v_lshl_add_u64 v[2:3], v[2:3], 3, s[14:15]
	global_load_dwordx4 v[2:5], v[2:3], off
	s_waitcnt vmcnt(0)
	v_subrev_co_u32_e32 v18, vcc, s49, v4
	s_nop 1
	v_subbrev_co_u32_e32 v19, vcc, 0, v5, vcc
	v_lshl_add_u64 v[20:21], v[2:3], 0, v[16:17]
	v_cmp_lt_i64_e32 vcc, v[20:21], v[18:19]
	s_and_saveexec_b64 s[8:9], vcc
	s_cbranch_execz .LBB231_11
; %bb.13:                               ;   in Loop: Header=BB231_12 Depth=1
	v_lshl_add_u64 v[2:3], v[14:15], 4, s[12:13]
	global_load_dwordx4 v[2:5], v[2:3], off
	s_mov_b64 s[20:21], 0
	s_waitcnt vmcnt(0)
	v_mul_f64 v[22:23], v[4:5], -v[12:13]
	v_mul_f64 v[24:25], v[10:11], v[4:5]
	v_fmac_f64_e32 v[22:23], v[10:11], v[2:3]
	v_fmac_f64_e32 v[24:25], v[12:13], v[2:3]
	s_branch .LBB231_16
.LBB231_14:                             ;   in Loop: Header=BB231_16 Depth=2
	s_or_b64 exec, exec, s[24:25]
.LBB231_15:                             ;   in Loop: Header=BB231_16 Depth=2
	s_or_b64 exec, exec, s[22:23]
	s_waitcnt vmcnt(0)
	v_mul_f64 v[30:31], v[4:5], -v[24:25]
	v_mul_f64 v[4:5], v[22:23], v[4:5]
	v_fmac_f64_e32 v[30:31], v[22:23], v[2:3]
	v_fmac_f64_e32 v[4:5], v[24:25], v[2:3]
	v_lshl_add_u32 v2, v29, 4, 0
	ds_add_f64 v2, v[30:31] offset:16384
	ds_add_f64 v2, v[4:5] offset:16392
	v_lshl_add_u64 v[20:21], v[20:21], 0, 64
	v_cmp_ge_i64_e32 vcc, v[20:21], v[18:19]
	s_or_b64 s[20:21], vcc, s[20:21]
	s_andn2_b64 exec, exec, s[20:21]
	s_cbranch_execz .LBB231_11
.LBB231_16:                             ;   Parent Loop BB231_12 Depth=1
                                        ; =>  This Loop Header: Depth=2
                                        ;       Child Loop BB231_19 Depth 3
	v_lshl_add_u64 v[2:3], v[20:21], 2, s[16:17]
	global_load_dword v29, v[2:3], off
	v_lshl_add_u64 v[2:3], v[20:21], 4, s[18:19]
	global_load_dwordx4 v[2:5], v[2:3], off
	s_waitcnt vmcnt(1)
	v_subrev_u32_e32 v30, s45, v29
	v_mul_lo_u32 v29, v30, s50
	v_and_b32_e32 v29, 0xfff, v29
	v_lshl_add_u32 v31, v29, 2, 0
	ds_read_b32 v32, v31
	s_waitcnt lgkmcnt(0)
	v_cmp_ne_u32_e32 vcc, v32, v30
	s_and_saveexec_b64 s[22:23], vcc
	s_cbranch_execz .LBB231_15
; %bb.17:                               ;   in Loop: Header=BB231_16 Depth=2
	s_mov_b64 s[24:25], 0
	s_branch .LBB231_19
.LBB231_18:                             ;   in Loop: Header=BB231_19 Depth=3
	s_or_b64 exec, exec, s[30:31]
	s_and_b64 s[26:27], exec, s[28:29]
	s_or_b64 s[24:25], s[26:27], s[24:25]
	s_andn2_b64 exec, exec, s[24:25]
	s_cbranch_execz .LBB231_14
.LBB231_19:                             ;   Parent Loop BB231_12 Depth=1
                                        ;     Parent Loop BB231_16 Depth=2
                                        ; =>    This Inner Loop Header: Depth=3
	v_cmp_ne_u32_e32 vcc, s33, v32
	s_mov_b64 s[26:27], 0
	s_and_saveexec_b64 s[28:29], vcc
	s_xor_b64 s[28:29], exec, s[28:29]
	s_cbranch_execz .LBB231_21
; %bb.20:                               ;   in Loop: Header=BB231_19 Depth=3
	v_add_u32_e32 v29, 1, v29
	s_mov_b64 s[26:27], exec
	v_and_b32_e32 v29, 0xfff, v29
                                        ; implicit-def: $vgpr31
	s_andn2_saveexec_b64 s[28:29], s[28:29]
	s_cbranch_execz .LBB231_23
	s_branch .LBB231_22
.LBB231_21:                             ;   in Loop: Header=BB231_19 Depth=3
	s_andn2_saveexec_b64 s[28:29], s[28:29]
	s_cbranch_execz .LBB231_23
.LBB231_22:                             ;   in Loop: Header=BB231_19 Depth=3
	v_mov_b32_e32 v32, s33
	ds_cmpst_rtn_b32 v31, v31, v32, v30
	s_andn2_b64 s[26:27], s[26:27], exec
	s_waitcnt lgkmcnt(0)
	v_cmp_ne_u32_e32 vcc, s33, v31
	s_and_b64 s[30:31], vcc, exec
	s_or_b64 s[26:27], s[26:27], s[30:31]
.LBB231_23:                             ;   in Loop: Header=BB231_19 Depth=3
	s_or_b64 exec, exec, s[28:29]
	s_mov_b64 s[28:29], -1
                                        ; implicit-def: $vgpr31
                                        ; implicit-def: $vgpr32
	s_and_saveexec_b64 s[30:31], s[26:27]
	s_cbranch_execz .LBB231_18
; %bb.24:                               ;   in Loop: Header=BB231_19 Depth=3
	v_lshl_add_u32 v31, v29, 2, 0
	ds_read_b32 v32, v31
	s_waitcnt lgkmcnt(0)
	v_cmp_eq_u32_e32 vcc, v32, v30
	s_orn2_b64 s[28:29], vcc, exec
	s_branch .LBB231_18
.LBB231_25:
	s_or_b64 exec, exec, s[2:3]
.LBB231_26:
	s_andn2_b64 vcc, exec, s[6:7]
	s_cbranch_vccnz .LBB231_41
; %bb.27:
	s_waitcnt lgkmcnt(0)
	s_ashr_i32 s49, s48, 31
	s_lshl_b64 s[0:1], s[48:49], 3
	s_add_u32 s0, s36, s0
	s_addc_u32 s1, s37, s1
	s_load_dwordx4 s[4:7], s[0:1], 0x0
	v_subrev_co_u32_e32 v2, vcc, s47, v0
	s_nop 1
	v_subb_co_u32_e64 v3, s[0:1], 0, 0, vcc
	s_waitcnt lgkmcnt(0)
	s_sub_u32 s0, s6, s47
	s_subb_u32 s1, s7, 0
	s_waitcnt vmcnt(0)
	v_lshl_add_u64 v[10:11], s[4:5], 0, v[2:3]
	v_cmp_gt_i64_e32 vcc, s[0:1], v[10:11]
	s_and_saveexec_b64 s[2:3], vcc
	s_cbranch_execz .LBB231_40
; %bb.28:
	s_mov_b64 s[4:5], 0
	s_movk_i32 s18, 0x89
	s_mov_b64 s[6:7], 0x400
	s_branch .LBB231_31
.LBB231_29:                             ;   in Loop: Header=BB231_31 Depth=1
	s_or_b64 exec, exec, s[10:11]
.LBB231_30:                             ;   in Loop: Header=BB231_31 Depth=1
	s_or_b64 exec, exec, s[8:9]
	s_waitcnt vmcnt(0)
	v_mul_f64 v[14:15], v[4:5], -v[6:7]
	v_mul_f64 v[4:5], v[8:9], v[4:5]
	v_fmac_f64_e32 v[14:15], v[8:9], v[2:3]
	v_fmac_f64_e32 v[4:5], v[6:7], v[2:3]
	v_lshl_add_u32 v2, v12, 4, 0
	ds_add_f64 v2, v[14:15] offset:16384
	ds_add_f64 v2, v[4:5] offset:16392
	v_lshl_add_u64 v[10:11], v[10:11], 0, s[6:7]
	v_cmp_le_i64_e32 vcc, s[0:1], v[10:11]
	s_or_b64 s[4:5], vcc, s[4:5]
	s_andn2_b64 exec, exec, s[4:5]
	s_cbranch_execz .LBB231_40
.LBB231_31:                             ; =>This Loop Header: Depth=1
                                        ;     Child Loop BB231_34 Depth 2
	v_lshl_add_u64 v[2:3], v[10:11], 2, s[38:39]
	global_load_dword v12, v[2:3], off
	v_lshl_add_u64 v[2:3], v[10:11], 4, s[40:41]
	global_load_dwordx4 v[2:5], v[2:3], off
	s_waitcnt vmcnt(1)
	v_subrev_u32_e32 v13, s47, v12
	v_mul_lo_u32 v12, v13, s18
	v_and_b32_e32 v12, 0xfff, v12
	v_lshl_add_u32 v14, v12, 2, 0
	ds_read_b32 v15, v14
	s_waitcnt lgkmcnt(0)
	v_cmp_ne_u32_e32 vcc, v15, v13
	s_and_saveexec_b64 s[8:9], vcc
	s_cbranch_execz .LBB231_30
; %bb.32:                               ;   in Loop: Header=BB231_31 Depth=1
	s_mov_b64 s[10:11], 0
	s_branch .LBB231_34
.LBB231_33:                             ;   in Loop: Header=BB231_34 Depth=2
	s_or_b64 exec, exec, s[16:17]
	s_and_b64 s[12:13], exec, s[14:15]
	s_or_b64 s[10:11], s[12:13], s[10:11]
	s_andn2_b64 exec, exec, s[10:11]
	s_cbranch_execz .LBB231_29
.LBB231_34:                             ;   Parent Loop BB231_31 Depth=1
                                        ; =>  This Inner Loop Header: Depth=2
	v_cmp_ne_u32_e32 vcc, s33, v15
	s_mov_b64 s[12:13], 0
	s_and_saveexec_b64 s[14:15], vcc
	s_xor_b64 s[14:15], exec, s[14:15]
	s_cbranch_execz .LBB231_36
; %bb.35:                               ;   in Loop: Header=BB231_34 Depth=2
	v_add_u32_e32 v12, 1, v12
	s_mov_b64 s[12:13], exec
	v_and_b32_e32 v12, 0xfff, v12
                                        ; implicit-def: $vgpr14
	s_andn2_saveexec_b64 s[14:15], s[14:15]
	s_cbranch_execz .LBB231_38
	s_branch .LBB231_37
.LBB231_36:                             ;   in Loop: Header=BB231_34 Depth=2
	s_andn2_saveexec_b64 s[14:15], s[14:15]
	s_cbranch_execz .LBB231_38
.LBB231_37:                             ;   in Loop: Header=BB231_34 Depth=2
	v_mov_b32_e32 v15, s33
	ds_cmpst_rtn_b32 v14, v14, v15, v13
	s_andn2_b64 s[12:13], s[12:13], exec
	s_waitcnt lgkmcnt(0)
	v_cmp_ne_u32_e32 vcc, s33, v14
	s_and_b64 s[16:17], vcc, exec
	s_or_b64 s[12:13], s[12:13], s[16:17]
.LBB231_38:                             ;   in Loop: Header=BB231_34 Depth=2
	s_or_b64 exec, exec, s[14:15]
	s_mov_b64 s[14:15], -1
                                        ; implicit-def: $vgpr14
                                        ; implicit-def: $vgpr15
	s_and_saveexec_b64 s[16:17], s[12:13]
	s_cbranch_execz .LBB231_33
; %bb.39:                               ;   in Loop: Header=BB231_34 Depth=2
	v_lshl_add_u32 v14, v12, 2, 0
	ds_read_b32 v15, v14
	s_waitcnt lgkmcnt(0)
	v_cmp_eq_u32_e32 vcc, v15, v13
	s_orn2_b64 s[14:15], vcc, exec
	s_branch .LBB231_33
.LBB231_40:
	s_or_b64 exec, exec, s[2:3]
.LBB231_41:
	v_mbcnt_lo_u32_b32 v2, -1, 0
	v_mbcnt_hi_u32_b32 v2, -1, v2
	v_sub_u32_e32 v2, 63, v2
	s_add_i32 s40, 0, 0x14000
	s_movk_i32 s0, 0x3ff
	s_movk_i32 s2, 0x7f
	;; [unrolled: 1-line block ×15, first 2 shown]
	s_add_i32 s59, 0, 0x1403c
	v_lshrrev_b64 v[2:3], v2, -1
	v_lshl_add_u32 v4, v28, 2, s40
	v_cmp_eq_u32_e32 vcc, s0, v0
	v_cmp_lt_u32_e64 s[0:1], 63, v0
	v_cmp_lt_u32_e64 s[2:3], s2, v0
	;; [unrolled: 1-line block ×15, first 2 shown]
	s_mov_b64 s[36:37], 0
	v_mov_b32_e32 v5, 0
	s_add_i32 s41, 0, 0x14004
	s_add_i32 s44, 0, 0x14008
	;; [unrolled: 1-line block ×14, first 2 shown]
	s_waitcnt vmcnt(0)
	v_mov_b32_e32 v6, s59
	s_movk_i32 s60, 0xbff
	s_waitcnt lgkmcnt(0)
	s_barrier
	s_branch .LBB231_43
.LBB231_42:                             ;   in Loop: Header=BB231_43 Depth=1
	s_or_b64 exec, exec, s[30:31]
	s_waitcnt lgkmcnt(0)
	s_barrier
	ds_read_b32 v7, v6
	v_add_u32_e32 v26, 0x400, v26
	v_cmp_lt_u32_e64 s[30:31], s60, v26
	v_add_u32_e32 v1, 0x4000, v1
	s_or_b64 s[36:37], s[30:31], s[36:37]
	s_waitcnt lgkmcnt(0)
	v_add_u32_e32 v5, v7, v5
	v_add_u32_e32 v27, 0x1000, v27
	s_andn2_b64 exec, exec, s[36:37]
	s_cbranch_execz .LBB231_77
.LBB231_43:                             ; =>This Inner Loop Header: Depth=1
	ds_read2_b64 v[10:13], v1 offset1:1
	ds_read_b32 v8, v27
	s_waitcnt lgkmcnt(1)
	scratch_store_dwordx4 off, v[10:13], off
	s_waitcnt lgkmcnt(0)
	v_cmp_gt_i32_e64 s[30:31], s33, v8
	s_bcnt1_i32_b64 s38, s[30:31]
	s_nop 0
	v_and_b32_e32 v9, s30, v2
	v_and_b32_e32 v7, s31, v3
	v_bcnt_u32_b32 v9, v9, 0
	v_bcnt_u32_b32 v7, v7, v9
	v_mov_b32_e32 v9, s38
	s_barrier
	ds_write_b32 v4, v9
	s_waitcnt lgkmcnt(0)
	s_barrier
	s_and_saveexec_b64 s[38:39], s[0:1]
	s_cbranch_execz .LBB231_60
; %bb.44:                               ;   in Loop: Header=BB231_43 Depth=1
	v_mov_b32_e32 v9, s40
	ds_read_b32 v9, v9
	s_waitcnt lgkmcnt(0)
	v_add_u32_e32 v7, v9, v7
	s_or_b64 exec, exec, s[38:39]
	s_and_saveexec_b64 s[38:39], s[2:3]
	s_cbranch_execnz .LBB231_61
.LBB231_45:                             ;   in Loop: Header=BB231_43 Depth=1
	s_or_b64 exec, exec, s[38:39]
	s_and_saveexec_b64 s[38:39], s[4:5]
	s_cbranch_execz .LBB231_62
.LBB231_46:                             ;   in Loop: Header=BB231_43 Depth=1
	v_mov_b32_e32 v9, s44
	ds_read_b32 v9, v9
	s_waitcnt lgkmcnt(0)
	v_add_u32_e32 v7, v9, v7
	s_or_b64 exec, exec, s[38:39]
	s_and_saveexec_b64 s[38:39], s[6:7]
	s_cbranch_execnz .LBB231_63
.LBB231_47:                             ;   in Loop: Header=BB231_43 Depth=1
	s_or_b64 exec, exec, s[38:39]
	s_and_saveexec_b64 s[38:39], s[8:9]
	s_cbranch_execz .LBB231_64
.LBB231_48:                             ;   in Loop: Header=BB231_43 Depth=1
	v_mov_b32_e32 v9, s47
	ds_read_b32 v9, v9
	s_waitcnt lgkmcnt(0)
	v_add_u32_e32 v7, v9, v7
	s_or_b64 exec, exec, s[38:39]
	s_and_saveexec_b64 s[38:39], s[10:11]
	s_cbranch_execnz .LBB231_65
.LBB231_49:                             ;   in Loop: Header=BB231_43 Depth=1
	s_or_b64 exec, exec, s[38:39]
	s_and_saveexec_b64 s[38:39], s[12:13]
	s_cbranch_execz .LBB231_66
.LBB231_50:                             ;   in Loop: Header=BB231_43 Depth=1
	v_mov_b32_e32 v9, s50
	ds_read_b32 v9, v9
	s_waitcnt lgkmcnt(0)
	v_add_u32_e32 v7, v9, v7
	s_or_b64 exec, exec, s[38:39]
	s_and_saveexec_b64 s[38:39], s[14:15]
	s_cbranch_execnz .LBB231_67
.LBB231_51:                             ;   in Loop: Header=BB231_43 Depth=1
	s_or_b64 exec, exec, s[38:39]
	s_and_saveexec_b64 s[38:39], s[16:17]
	s_cbranch_execz .LBB231_68
.LBB231_52:                             ;   in Loop: Header=BB231_43 Depth=1
	v_mov_b32_e32 v9, s52
	ds_read_b32 v9, v9
	s_waitcnt lgkmcnt(0)
	v_add_u32_e32 v7, v9, v7
	s_or_b64 exec, exec, s[38:39]
	s_and_saveexec_b64 s[38:39], s[18:19]
	s_cbranch_execnz .LBB231_69
.LBB231_53:                             ;   in Loop: Header=BB231_43 Depth=1
	s_or_b64 exec, exec, s[38:39]
	s_and_saveexec_b64 s[38:39], s[20:21]
	s_cbranch_execz .LBB231_70
.LBB231_54:                             ;   in Loop: Header=BB231_43 Depth=1
	v_mov_b32_e32 v9, s54
	ds_read_b32 v9, v9
	s_waitcnt lgkmcnt(0)
	v_add_u32_e32 v7, v9, v7
	s_or_b64 exec, exec, s[38:39]
	s_and_saveexec_b64 s[38:39], s[22:23]
	s_cbranch_execnz .LBB231_71
.LBB231_55:                             ;   in Loop: Header=BB231_43 Depth=1
	s_or_b64 exec, exec, s[38:39]
	s_and_saveexec_b64 s[38:39], s[24:25]
	s_cbranch_execz .LBB231_72
.LBB231_56:                             ;   in Loop: Header=BB231_43 Depth=1
	v_mov_b32_e32 v9, s56
	ds_read_b32 v9, v9
	s_waitcnt lgkmcnt(0)
	v_add_u32_e32 v7, v9, v7
	s_or_b64 exec, exec, s[38:39]
	s_and_saveexec_b64 s[38:39], s[26:27]
	s_cbranch_execnz .LBB231_73
.LBB231_57:                             ;   in Loop: Header=BB231_43 Depth=1
	s_or_b64 exec, exec, s[38:39]
	s_and_saveexec_b64 s[38:39], s[28:29]
	s_cbranch_execz .LBB231_74
.LBB231_58:                             ;   in Loop: Header=BB231_43 Depth=1
	v_mov_b32_e32 v9, s58
	ds_read_b32 v9, v9
	s_waitcnt lgkmcnt(0)
	v_add_u32_e32 v7, v9, v7
	s_or_b64 exec, exec, s[38:39]
	s_and_saveexec_b64 s[38:39], s[30:31]
	s_cbranch_execnz .LBB231_75
.LBB231_59:                             ;   in Loop: Header=BB231_43 Depth=1
	s_or_b64 exec, exec, s[38:39]
	s_and_saveexec_b64 s[30:31], vcc
	s_cbranch_execz .LBB231_42
	s_branch .LBB231_76
.LBB231_60:                             ;   in Loop: Header=BB231_43 Depth=1
	s_or_b64 exec, exec, s[38:39]
	s_and_saveexec_b64 s[38:39], s[2:3]
	s_cbranch_execz .LBB231_45
.LBB231_61:                             ;   in Loop: Header=BB231_43 Depth=1
	v_mov_b32_e32 v9, s41
	ds_read_b32 v9, v9
	s_waitcnt lgkmcnt(0)
	v_add_u32_e32 v7, v9, v7
	s_or_b64 exec, exec, s[38:39]
	s_and_saveexec_b64 s[38:39], s[4:5]
	s_cbranch_execnz .LBB231_46
.LBB231_62:                             ;   in Loop: Header=BB231_43 Depth=1
	s_or_b64 exec, exec, s[38:39]
	s_and_saveexec_b64 s[38:39], s[6:7]
	s_cbranch_execz .LBB231_47
.LBB231_63:                             ;   in Loop: Header=BB231_43 Depth=1
	v_mov_b32_e32 v9, s45
	ds_read_b32 v9, v9
	s_waitcnt lgkmcnt(0)
	v_add_u32_e32 v7, v9, v7
	s_or_b64 exec, exec, s[38:39]
	s_and_saveexec_b64 s[38:39], s[8:9]
	s_cbranch_execnz .LBB231_48
.LBB231_64:                             ;   in Loop: Header=BB231_43 Depth=1
	s_or_b64 exec, exec, s[38:39]
	s_and_saveexec_b64 s[38:39], s[10:11]
	s_cbranch_execz .LBB231_49
.LBB231_65:                             ;   in Loop: Header=BB231_43 Depth=1
	v_mov_b32_e32 v9, s49
	ds_read_b32 v9, v9
	s_waitcnt lgkmcnt(0)
	v_add_u32_e32 v7, v9, v7
	s_or_b64 exec, exec, s[38:39]
	s_and_saveexec_b64 s[38:39], s[12:13]
	s_cbranch_execnz .LBB231_50
.LBB231_66:                             ;   in Loop: Header=BB231_43 Depth=1
	s_or_b64 exec, exec, s[38:39]
	s_and_saveexec_b64 s[38:39], s[14:15]
	s_cbranch_execz .LBB231_51
.LBB231_67:                             ;   in Loop: Header=BB231_43 Depth=1
	v_mov_b32_e32 v9, s51
	ds_read_b32 v9, v9
	s_waitcnt lgkmcnt(0)
	v_add_u32_e32 v7, v9, v7
	s_or_b64 exec, exec, s[38:39]
	s_and_saveexec_b64 s[38:39], s[16:17]
	s_cbranch_execnz .LBB231_52
.LBB231_68:                             ;   in Loop: Header=BB231_43 Depth=1
	s_or_b64 exec, exec, s[38:39]
	s_and_saveexec_b64 s[38:39], s[18:19]
	s_cbranch_execz .LBB231_53
.LBB231_69:                             ;   in Loop: Header=BB231_43 Depth=1
	v_mov_b32_e32 v9, s53
	ds_read_b32 v9, v9
	s_waitcnt lgkmcnt(0)
	v_add_u32_e32 v7, v9, v7
	s_or_b64 exec, exec, s[38:39]
	s_and_saveexec_b64 s[38:39], s[20:21]
	s_cbranch_execnz .LBB231_54
.LBB231_70:                             ;   in Loop: Header=BB231_43 Depth=1
	s_or_b64 exec, exec, s[38:39]
	s_and_saveexec_b64 s[38:39], s[22:23]
	s_cbranch_execz .LBB231_55
.LBB231_71:                             ;   in Loop: Header=BB231_43 Depth=1
	v_mov_b32_e32 v9, s55
	ds_read_b32 v9, v9
	s_waitcnt lgkmcnt(0)
	v_add_u32_e32 v7, v9, v7
	s_or_b64 exec, exec, s[38:39]
	s_and_saveexec_b64 s[38:39], s[24:25]
	s_cbranch_execnz .LBB231_56
.LBB231_72:                             ;   in Loop: Header=BB231_43 Depth=1
	s_or_b64 exec, exec, s[38:39]
	s_and_saveexec_b64 s[38:39], s[26:27]
	s_cbranch_execz .LBB231_57
.LBB231_73:                             ;   in Loop: Header=BB231_43 Depth=1
	v_mov_b32_e32 v9, s57
	ds_read_b32 v9, v9
	s_waitcnt lgkmcnt(0)
	v_add_u32_e32 v7, v9, v7
	s_or_b64 exec, exec, s[38:39]
	s_and_saveexec_b64 s[38:39], s[28:29]
	s_cbranch_execnz .LBB231_58
.LBB231_74:                             ;   in Loop: Header=BB231_43 Depth=1
	s_or_b64 exec, exec, s[38:39]
	s_and_saveexec_b64 s[38:39], s[30:31]
	s_cbranch_execz .LBB231_59
.LBB231_75:                             ;   in Loop: Header=BB231_43 Depth=1
	scratch_load_dwordx4 v[10:13], off, off
	v_add3_u32 v9, v5, -1, v7
	v_add_u32_e32 v14, v5, v7
	v_lshl_add_u32 v9, v9, 2, 0
	v_lshl_add_u32 v14, v14, 4, 0
	v_add_u32_e32 v14, 0x3ff0, v14
	ds_write_b32 v9, v8
	s_waitcnt vmcnt(0)
	ds_write2_b64 v14, v[10:11], v[12:13] offset1:1
	s_or_b64 exec, exec, s[38:39]
	s_and_saveexec_b64 s[30:31], vcc
	s_cbranch_execz .LBB231_42
.LBB231_76:                             ;   in Loop: Header=BB231_43 Depth=1
	v_mov_b32_e32 v8, s59
	ds_write_b32 v8, v7
	s_branch .LBB231_42
.LBB231_77:
	s_or_b64 exec, exec, s[36:37]
	s_ashr_i32 s49, s48, 31
	s_lshl_b64 s[0:1], s[48:49], 3
	s_add_u32 s4, s42, s0
	s_addc_u32 s5, s43, s1
	s_load_dwordx4 s[0:3], s[4:5], 0x0
	s_waitcnt lgkmcnt(0)
	s_sub_i32 s8, s2, s0
	v_cmp_gt_i32_e32 vcc, s8, v0
	s_and_saveexec_b64 s[4:5], vcc
	s_cbranch_execz .LBB231_87
; %bb.78:
	s_sub_u32 s4, s0, s46
	s_subb_u32 s5, s1, 0
	s_and_b32 s10, s8, 7
	s_sub_i32 s0, s0, s2
	s_cmp_lt_u32 s0, -7
	s_cselect_b64 s[0:1], -1, 0
	s_and_b32 s11, s8, -8
	s_cmp_lg_u32 s10, 0
	v_cndmask_b32_e64 v1, 0, 1, s[0:1]
	s_cselect_b64 s[2:3], -1, 0
	v_cmp_ne_u32_e64 s[0:1], 1, v1
	v_cndmask_b32_e64 v1, 0, 1, s[2:3]
	s_mov_b32 s9, 0
	s_mov_b64 s[6:7], 0
	v_cmp_ne_u32_e64 s[2:3], 1, v1
	s_movk_i32 s12, 0x4000
	s_branch .LBB231_80
.LBB231_79:                             ;   in Loop: Header=BB231_80 Depth=1
	s_waitcnt lgkmcnt(0)
	v_mul_lo_u32 v4, v0, 12
	v_add3_u32 v1, v1, v4, s12
	ds_read2_b64 v[4:7], v1 offset1:1
	v_add_u32_e32 v0, 0x400, v0
	v_cmp_le_i32_e32 vcc, s8, v0
	v_lshl_add_u64 v[2:3], v[2:3], 4, s[34:35]
	s_or_b64 s[6:7], vcc, s[6:7]
	s_waitcnt lgkmcnt(0)
	global_store_dwordx4 v[2:3], v[4:7], off
	s_andn2_b64 exec, exec, s[6:7]
	s_cbranch_execz .LBB231_87
.LBB231_80:                             ; =>This Loop Header: Depth=1
                                        ;     Child Loop BB231_82 Depth 2
                                        ;     Child Loop BB231_86 Depth 2
	v_lshl_add_u32 v1, v0, 2, 0
	ds_read_b32 v4, v1
	s_and_b64 vcc, exec, s[0:1]
	v_mov_b64_e32 v[2:3], s[4:5]
	s_mov_b32 s13, 0
	s_cbranch_vccnz .LBB231_84
; %bb.81:                               ;   in Loop: Header=BB231_80 Depth=1
	s_mov_b32 s14, 0
	v_mov_b64_e32 v[2:3], s[4:5]
.LBB231_82:                             ;   Parent Loop BB231_80 Depth=1
                                        ; =>  This Inner Loop Header: Depth=2
	v_mov_b32_e32 v5, s14
	ds_read2_b32 v[22:23], v5 offset1:1
	ds_read2_b32 v[24:25], v5 offset0:2 offset1:3
	ds_read2_b32 v[26:27], v5 offset0:4 offset1:5
	;; [unrolled: 1-line block ×3, first 2 shown]
	v_mov_b32_e32 v7, s9
	s_waitcnt lgkmcnt(3)
	v_cmp_gt_i32_e32 vcc, v4, v22
	v_mov_b32_e32 v9, s9
	v_mov_b32_e32 v11, s9
	v_cndmask_b32_e64 v6, 0, 1, vcc
	v_cmp_gt_i32_e32 vcc, v4, v23
	v_lshl_add_u64 v[2:3], v[2:3], 0, v[6:7]
	v_mov_b32_e32 v13, s9
	v_cndmask_b32_e64 v8, 0, 1, vcc
	s_waitcnt lgkmcnt(2)
	v_cmp_gt_i32_e32 vcc, v4, v24
	v_lshl_add_u64 v[2:3], v[2:3], 0, v[8:9]
	v_mov_b32_e32 v15, s9
	v_cndmask_b32_e64 v10, 0, 1, vcc
	v_cmp_gt_i32_e32 vcc, v4, v25
	v_lshl_add_u64 v[2:3], v[2:3], 0, v[10:11]
	v_mov_b32_e32 v17, s9
	v_cndmask_b32_e64 v12, 0, 1, vcc
	s_waitcnt lgkmcnt(1)
	v_cmp_gt_i32_e32 vcc, v4, v26
	v_lshl_add_u64 v[2:3], v[2:3], 0, v[12:13]
	;; [unrolled: 9-line block ×3, first 2 shown]
	s_add_i32 s13, s13, 8
	v_cndmask_b32_e64 v18, 0, 1, vcc
	v_cmp_gt_i32_e32 vcc, v4, v29
	s_add_i32 s14, s14, 32
	v_lshl_add_u64 v[2:3], v[2:3], 0, v[18:19]
	v_cndmask_b32_e64 v20, 0, 1, vcc
	s_cmp_eq_u32 s11, s13
	v_lshl_add_u64 v[2:3], v[2:3], 0, v[20:21]
	s_cbranch_scc0 .LBB231_82
; %bb.83:                               ;   in Loop: Header=BB231_80 Depth=1
	s_mov_b32 s13, s11
.LBB231_84:                             ;   in Loop: Header=BB231_80 Depth=1
	s_and_b64 vcc, exec, s[2:3]
	s_cbranch_vccnz .LBB231_79
; %bb.85:                               ;   in Loop: Header=BB231_80 Depth=1
	s_lshl_b32 s13, s13, 2
	s_add_i32 s13, s13, 0
	s_mov_b32 s14, s10
.LBB231_86:                             ;   Parent Loop BB231_80 Depth=1
                                        ; =>  This Inner Loop Header: Depth=2
	v_mov_b32_e32 v5, s13
	ds_read_b32 v5, v5
	v_mov_b32_e32 v7, s9
	s_add_i32 s13, s13, 4
	s_add_i32 s14, s14, -1
	s_cmp_lg_u32 s14, 0
	s_waitcnt lgkmcnt(0)
	v_cmp_gt_i32_e32 vcc, v4, v5
	s_nop 1
	v_cndmask_b32_e64 v6, 0, 1, vcc
	v_lshl_add_u64 v[2:3], v[2:3], 0, v[6:7]
	s_cbranch_scc1 .LBB231_86
	s_branch .LBB231_79
.LBB231_87:
	s_endpgm
	.section	.rodata,"a",@progbits
	.p2align	6, 0x0
	.amdhsa_kernel _ZN9rocsparseL41csrgemm_numeric_fill_block_per_row_kernelILj1024ELj64ELj4096ELj137ELj64Eli21rocsparse_complex_numIdEEEvT5_PKS3_S5_NS_24const_host_device_scalarIT6_EEPKT4_S5_PKS7_SB_S5_SD_S8_SB_S5_SD_SB_S5_PS7_21rocsparse_index_base_SF_SF_SF_bbb
		.amdhsa_group_segment_fixed_size 0
		.amdhsa_private_segment_fixed_size 40
		.amdhsa_kernarg_size 172
		.amdhsa_user_sgpr_count 2
		.amdhsa_user_sgpr_dispatch_ptr 0
		.amdhsa_user_sgpr_queue_ptr 0
		.amdhsa_user_sgpr_kernarg_segment_ptr 1
		.amdhsa_user_sgpr_dispatch_id 0
		.amdhsa_user_sgpr_kernarg_preload_length 0
		.amdhsa_user_sgpr_kernarg_preload_offset 0
		.amdhsa_user_sgpr_private_segment_size 0
		.amdhsa_uses_dynamic_stack 0
		.amdhsa_enable_private_segment 1
		.amdhsa_system_sgpr_workgroup_id_x 1
		.amdhsa_system_sgpr_workgroup_id_y 0
		.amdhsa_system_sgpr_workgroup_id_z 0
		.amdhsa_system_sgpr_workgroup_info 0
		.amdhsa_system_vgpr_workitem_id 0
		.amdhsa_next_free_vgpr 33
		.amdhsa_next_free_sgpr 61
		.amdhsa_accum_offset 36
		.amdhsa_reserve_vcc 1
		.amdhsa_float_round_mode_32 0
		.amdhsa_float_round_mode_16_64 0
		.amdhsa_float_denorm_mode_32 3
		.amdhsa_float_denorm_mode_16_64 3
		.amdhsa_dx10_clamp 1
		.amdhsa_ieee_mode 1
		.amdhsa_fp16_overflow 0
		.amdhsa_tg_split 0
		.amdhsa_exception_fp_ieee_invalid_op 0
		.amdhsa_exception_fp_denorm_src 0
		.amdhsa_exception_fp_ieee_div_zero 0
		.amdhsa_exception_fp_ieee_overflow 0
		.amdhsa_exception_fp_ieee_underflow 0
		.amdhsa_exception_fp_ieee_inexact 0
		.amdhsa_exception_int_div_zero 0
	.end_amdhsa_kernel
	.section	.text._ZN9rocsparseL41csrgemm_numeric_fill_block_per_row_kernelILj1024ELj64ELj4096ELj137ELj64Eli21rocsparse_complex_numIdEEEvT5_PKS3_S5_NS_24const_host_device_scalarIT6_EEPKT4_S5_PKS7_SB_S5_SD_S8_SB_S5_SD_SB_S5_PS7_21rocsparse_index_base_SF_SF_SF_bbb,"axG",@progbits,_ZN9rocsparseL41csrgemm_numeric_fill_block_per_row_kernelILj1024ELj64ELj4096ELj137ELj64Eli21rocsparse_complex_numIdEEEvT5_PKS3_S5_NS_24const_host_device_scalarIT6_EEPKT4_S5_PKS7_SB_S5_SD_S8_SB_S5_SD_SB_S5_PS7_21rocsparse_index_base_SF_SF_SF_bbb,comdat
.Lfunc_end231:
	.size	_ZN9rocsparseL41csrgemm_numeric_fill_block_per_row_kernelILj1024ELj64ELj4096ELj137ELj64Eli21rocsparse_complex_numIdEEEvT5_PKS3_S5_NS_24const_host_device_scalarIT6_EEPKT4_S5_PKS7_SB_S5_SD_S8_SB_S5_SD_SB_S5_PS7_21rocsparse_index_base_SF_SF_SF_bbb, .Lfunc_end231-_ZN9rocsparseL41csrgemm_numeric_fill_block_per_row_kernelILj1024ELj64ELj4096ELj137ELj64Eli21rocsparse_complex_numIdEEEvT5_PKS3_S5_NS_24const_host_device_scalarIT6_EEPKT4_S5_PKS7_SB_S5_SD_S8_SB_S5_SD_SB_S5_PS7_21rocsparse_index_base_SF_SF_SF_bbb
                                        ; -- End function
	.set _ZN9rocsparseL41csrgemm_numeric_fill_block_per_row_kernelILj1024ELj64ELj4096ELj137ELj64Eli21rocsparse_complex_numIdEEEvT5_PKS3_S5_NS_24const_host_device_scalarIT6_EEPKT4_S5_PKS7_SB_S5_SD_S8_SB_S5_SD_SB_S5_PS7_21rocsparse_index_base_SF_SF_SF_bbb.num_vgpr, 33
	.set _ZN9rocsparseL41csrgemm_numeric_fill_block_per_row_kernelILj1024ELj64ELj4096ELj137ELj64Eli21rocsparse_complex_numIdEEEvT5_PKS3_S5_NS_24const_host_device_scalarIT6_EEPKT4_S5_PKS7_SB_S5_SD_S8_SB_S5_SD_SB_S5_PS7_21rocsparse_index_base_SF_SF_SF_bbb.num_agpr, 0
	.set _ZN9rocsparseL41csrgemm_numeric_fill_block_per_row_kernelILj1024ELj64ELj4096ELj137ELj64Eli21rocsparse_complex_numIdEEEvT5_PKS3_S5_NS_24const_host_device_scalarIT6_EEPKT4_S5_PKS7_SB_S5_SD_S8_SB_S5_SD_SB_S5_PS7_21rocsparse_index_base_SF_SF_SF_bbb.numbered_sgpr, 61
	.set _ZN9rocsparseL41csrgemm_numeric_fill_block_per_row_kernelILj1024ELj64ELj4096ELj137ELj64Eli21rocsparse_complex_numIdEEEvT5_PKS3_S5_NS_24const_host_device_scalarIT6_EEPKT4_S5_PKS7_SB_S5_SD_S8_SB_S5_SD_SB_S5_PS7_21rocsparse_index_base_SF_SF_SF_bbb.num_named_barrier, 0
	.set _ZN9rocsparseL41csrgemm_numeric_fill_block_per_row_kernelILj1024ELj64ELj4096ELj137ELj64Eli21rocsparse_complex_numIdEEEvT5_PKS3_S5_NS_24const_host_device_scalarIT6_EEPKT4_S5_PKS7_SB_S5_SD_S8_SB_S5_SD_SB_S5_PS7_21rocsparse_index_base_SF_SF_SF_bbb.private_seg_size, 40
	.set _ZN9rocsparseL41csrgemm_numeric_fill_block_per_row_kernelILj1024ELj64ELj4096ELj137ELj64Eli21rocsparse_complex_numIdEEEvT5_PKS3_S5_NS_24const_host_device_scalarIT6_EEPKT4_S5_PKS7_SB_S5_SD_S8_SB_S5_SD_SB_S5_PS7_21rocsparse_index_base_SF_SF_SF_bbb.uses_vcc, 1
	.set _ZN9rocsparseL41csrgemm_numeric_fill_block_per_row_kernelILj1024ELj64ELj4096ELj137ELj64Eli21rocsparse_complex_numIdEEEvT5_PKS3_S5_NS_24const_host_device_scalarIT6_EEPKT4_S5_PKS7_SB_S5_SD_S8_SB_S5_SD_SB_S5_PS7_21rocsparse_index_base_SF_SF_SF_bbb.uses_flat_scratch, 0
	.set _ZN9rocsparseL41csrgemm_numeric_fill_block_per_row_kernelILj1024ELj64ELj4096ELj137ELj64Eli21rocsparse_complex_numIdEEEvT5_PKS3_S5_NS_24const_host_device_scalarIT6_EEPKT4_S5_PKS7_SB_S5_SD_S8_SB_S5_SD_SB_S5_PS7_21rocsparse_index_base_SF_SF_SF_bbb.has_dyn_sized_stack, 0
	.set _ZN9rocsparseL41csrgemm_numeric_fill_block_per_row_kernelILj1024ELj64ELj4096ELj137ELj64Eli21rocsparse_complex_numIdEEEvT5_PKS3_S5_NS_24const_host_device_scalarIT6_EEPKT4_S5_PKS7_SB_S5_SD_S8_SB_S5_SD_SB_S5_PS7_21rocsparse_index_base_SF_SF_SF_bbb.has_recursion, 0
	.set _ZN9rocsparseL41csrgemm_numeric_fill_block_per_row_kernelILj1024ELj64ELj4096ELj137ELj64Eli21rocsparse_complex_numIdEEEvT5_PKS3_S5_NS_24const_host_device_scalarIT6_EEPKT4_S5_PKS7_SB_S5_SD_S8_SB_S5_SD_SB_S5_PS7_21rocsparse_index_base_SF_SF_SF_bbb.has_indirect_call, 0
	.section	.AMDGPU.csdata,"",@progbits
; Kernel info:
; codeLenInByte = 3488
; TotalNumSgprs: 67
; NumVgprs: 33
; NumAgprs: 0
; TotalNumVgprs: 33
; ScratchSize: 40
; MemoryBound: 0
; FloatMode: 240
; IeeeMode: 1
; LDSByteSize: 0 bytes/workgroup (compile time only)
; SGPRBlocks: 8
; VGPRBlocks: 4
; NumSGPRsForWavesPerEU: 67
; NumVGPRsForWavesPerEU: 33
; AccumOffset: 36
; Occupancy: 8
; WaveLimiterHint : 1
; COMPUTE_PGM_RSRC2:SCRATCH_EN: 1
; COMPUTE_PGM_RSRC2:USER_SGPR: 2
; COMPUTE_PGM_RSRC2:TRAP_HANDLER: 0
; COMPUTE_PGM_RSRC2:TGID_X_EN: 1
; COMPUTE_PGM_RSRC2:TGID_Y_EN: 0
; COMPUTE_PGM_RSRC2:TGID_Z_EN: 0
; COMPUTE_PGM_RSRC2:TIDIG_COMP_CNT: 0
; COMPUTE_PGM_RSRC3_GFX90A:ACCUM_OFFSET: 8
; COMPUTE_PGM_RSRC3_GFX90A:TG_SPLIT: 0
	.section	.text._ZN9rocsparseL41csrgemm_numeric_fill_block_per_row_kernelILj1024ELj64ELj8192ELj137ELj32Eli21rocsparse_complex_numIdEEEvT5_PKS3_S5_NS_24const_host_device_scalarIT6_EEPKT4_S5_PKS7_SB_S5_SD_S8_SB_S5_SD_SB_S5_PS7_21rocsparse_index_base_SF_SF_SF_bbb,"axG",@progbits,_ZN9rocsparseL41csrgemm_numeric_fill_block_per_row_kernelILj1024ELj64ELj8192ELj137ELj32Eli21rocsparse_complex_numIdEEEvT5_PKS3_S5_NS_24const_host_device_scalarIT6_EEPKT4_S5_PKS7_SB_S5_SD_S8_SB_S5_SD_SB_S5_PS7_21rocsparse_index_base_SF_SF_SF_bbb,comdat
	.globl	_ZN9rocsparseL41csrgemm_numeric_fill_block_per_row_kernelILj1024ELj64ELj8192ELj137ELj32Eli21rocsparse_complex_numIdEEEvT5_PKS3_S5_NS_24const_host_device_scalarIT6_EEPKT4_S5_PKS7_SB_S5_SD_S8_SB_S5_SD_SB_S5_PS7_21rocsparse_index_base_SF_SF_SF_bbb ; -- Begin function _ZN9rocsparseL41csrgemm_numeric_fill_block_per_row_kernelILj1024ELj64ELj8192ELj137ELj32Eli21rocsparse_complex_numIdEEEvT5_PKS3_S5_NS_24const_host_device_scalarIT6_EEPKT4_S5_PKS7_SB_S5_SD_S8_SB_S5_SD_SB_S5_PS7_21rocsparse_index_base_SF_SF_SF_bbb
	.p2align	8
	.type	_ZN9rocsparseL41csrgemm_numeric_fill_block_per_row_kernelILj1024ELj64ELj8192ELj137ELj32Eli21rocsparse_complex_numIdEEEvT5_PKS3_S5_NS_24const_host_device_scalarIT6_EEPKT4_S5_PKS7_SB_S5_SD_S8_SB_S5_SD_SB_S5_PS7_21rocsparse_index_base_SF_SF_SF_bbb,@function
_ZN9rocsparseL41csrgemm_numeric_fill_block_per_row_kernelILj1024ELj64ELj8192ELj137ELj32Eli21rocsparse_complex_numIdEEEvT5_PKS3_S5_NS_24const_host_device_scalarIT6_EEPKT4_S5_PKS7_SB_S5_SD_S8_SB_S5_SD_SB_S5_PS7_21rocsparse_index_base_SF_SF_SF_bbb: ; @_ZN9rocsparseL41csrgemm_numeric_fill_block_per_row_kernelILj1024ELj64ELj8192ELj137ELj32Eli21rocsparse_complex_numIdEEEvT5_PKS3_S5_NS_24const_host_device_scalarIT6_EEPKT4_S5_PKS7_SB_S5_SD_S8_SB_S5_SD_SB_S5_PS7_21rocsparse_index_base_SF_SF_SF_bbb
; %bb.0:
	s_load_dword s3, s[0:1], 0xa8
	s_load_dwordx8 s[8:15], s[0:1], 0x8
	s_load_dwordx4 s[64:67], s[0:1], 0x98
	s_load_dwordx4 s[16:19], s[0:1], 0x58
	v_mov_b64_e32 v[6:7], 0
	v_mov_b64_e32 v[10:11], 0
	s_waitcnt lgkmcnt(0)
	s_bitcmp1_b32 s3, 0
	s_cselect_b64 s[6:7], -1, 0
	s_bitcmp1_b32 s3, 16
	s_cselect_b64 s[20:21], -1, 0
	s_xor_b64 s[4:5], s[20:21], -1
	v_mov_b64_e32 v[2:3], s[12:13]
	v_cndmask_b32_e64 v1, 0, 1, s[4:5]
	scratch_store_dwordx2 off, v[2:3], off offset:16
	v_mov_b64_e32 v[2:3], s[16:17]
	s_bitcmp0_b32 s3, 0
	v_cmp_ne_u32_e64 s[4:5], 1, v1
	v_mov_b64_e32 v[12:13], 0
	scratch_store_dwordx2 off, v[2:3], off offset:24
	s_cbranch_scc1 .LBB232_3
; %bb.1:
	s_mov_b64 s[22:23], src_private_base
	s_and_b64 s[24:25], s[20:21], exec
	s_cselect_b32 s22, s23, s13
	s_cselect_b32 s23, 16, s12
	v_mov_b32_e32 v2, s23
	v_mov_b32_e32 v3, s22
	flat_load_dwordx2 v[10:11], v[2:3]
	s_and_b64 vcc, exec, s[4:5]
	v_mov_b64_e32 v[12:13], s[14:15]
	s_cbranch_vccnz .LBB232_3
; %bb.2:
	v_mov_b64_e32 v[2:3], s[12:13]
	flat_load_dwordx2 v[12:13], v[2:3] offset:8
.LBB232_3:
	s_bitcmp1_b32 s3, 8
	s_cselect_b64 s[12:13], -1, 0
	s_bfe_u32 s3, s3, 0x10008
	s_cmp_eq_u32 s3, 0
	v_mov_b64_e32 v[8:9], 0
	s_cbranch_scc1 .LBB232_6
; %bb.4:
	s_mov_b64 s[14:15], src_private_base
	s_and_b64 s[20:21], s[20:21], exec
	s_cselect_b32 s3, s15, s17
	s_cselect_b32 s14, 24, s16
	v_mov_b32_e32 v2, s14
	v_mov_b32_e32 v3, s3
	flat_load_dwordx2 v[8:9], v[2:3]
	s_and_b64 vcc, exec, s[4:5]
	v_mov_b64_e32 v[6:7], s[18:19]
	s_cbranch_vccnz .LBB232_6
; %bb.5:
	v_mov_b64_e32 v[2:3], s[16:17]
	flat_load_dwordx2 v[6:7], v[2:3] offset:8
.LBB232_6:
	s_load_dword s33, s[0:1], 0x0
	s_mov_b32 s4, 0
	v_lshl_add_u32 v1, v0, 2, 0
	v_mad_u32_u24 v14, v0, 12, v1
	s_mov_b32 s5, s4
	s_waitcnt lgkmcnt(0)
	v_mov_b32_e32 v2, s33
	s_mov_b32 s14, s4
	s_mov_b32 s15, s4
	v_add_u32_e32 v15, 0x8000, v14
	ds_write_b32 v1, v2
	v_mov_b64_e32 v[2:3], s[4:5]
	v_mov_b64_e32 v[4:5], s[14:15]
	ds_write2_b64 v15, v[2:3], v[4:5] offset1:1
	v_mad_i32_i24 v14, v0, -12, v14
	v_mov_b32_e32 v15, s33
	s_add_i32 s3, 0, 0x8000
	ds_write_b32 v14, v15 offset:4096
	v_mad_u32_u24 v14, v0, 12, v14
	v_lshl_add_u32 v16, v0, 4, s3
	v_add_u32_e32 v15, 0xc000, v14
	v_add_u32_e32 v17, 0x8000, v16
	ds_write2_b64 v15, v[2:3], v[4:5] offset1:1
	v_mad_i32_i24 v14, v0, -12, v14
	v_mov_b32_e32 v15, s33
	ds_write2_b64 v17, v[2:3], v[4:5] offset1:1
	v_mov_b32_e32 v17, s33
	ds_write2st64_b32 v14, v15, v17 offset0:32 offset1:48
	v_add_u32_e32 v15, 0xc000, v16
	v_add_u32_e32 v17, 0x10000, v16
	ds_write2_b64 v15, v[2:3], v[4:5] offset1:1
	v_mov_b32_e32 v15, s33
	ds_write2_b64 v17, v[2:3], v[4:5] offset1:1
	v_mov_b32_e32 v17, s33
	ds_write2st64_b32 v14, v15, v17 offset0:64 offset1:80
	v_add_u32_e32 v15, 0x14000, v16
	v_add_u32_e32 v17, 0x18000, v16
	ds_write2_b64 v15, v[2:3], v[4:5] offset1:1
	v_mov_b32_e32 v15, s33
	ds_write2_b64 v17, v[2:3], v[4:5] offset1:1
	v_mov_b32_e32 v17, s33
	ds_write2st64_b32 v14, v15, v17 offset0:96 offset1:112
	v_add_u32_e32 v14, 0x1c000, v16
	ds_write2_b64 v14, v[2:3], v[4:5] offset1:1
	s_waitcnt lgkmcnt(0)
	s_barrier
	s_load_dword s3, s[8:9], 0x0
	s_waitcnt lgkmcnt(0)
	s_add_i32 s2, s3, s2
	s_mov_b32 s3, s4
	s_lshl_b64 s[2:3], s[2:3], 2
	s_add_u32 s2, s10, s2
	s_addc_u32 s3, s11, s3
	s_load_dword s38, s[2:3], 0x0
	s_andn2_b64 vcc, exec, s[6:7]
	s_cbranch_vccnz .LBB232_24
; %bb.7:
	s_load_dwordx2 s[2:3], s[0:1], 0x28
	s_waitcnt lgkmcnt(0)
	s_ashr_i32 s39, s38, 31
	s_lshl_b64 s[4:5], s[38:39], 3
	v_lshrrev_b32_e32 v2, 6, v0
	v_subrev_co_u32_e32 v2, vcc, s64, v2
	s_add_u32 s2, s2, s4
	s_addc_u32 s3, s3, s5
	s_load_dwordx4 s[4:7], s[2:3], 0x0
	v_subb_co_u32_e64 v3, s[2:3], 0, 0, vcc
	s_waitcnt lgkmcnt(0)
	s_sub_u32 s2, s6, s64
	s_subb_u32 s3, s7, 0
	v_lshl_add_u64 v[14:15], s[4:5], 0, v[2:3]
	v_cmp_gt_i64_e32 vcc, s[2:3], v[14:15]
	s_and_saveexec_b64 s[14:15], vcc
	s_cbranch_execz .LBB232_23
; %bb.8:
	s_load_dwordx2 s[16:17], s[0:1], 0x50
	s_load_dwordx8 s[4:11], s[0:1], 0x30
	v_and_b32_e32 v2, 63, v0
	v_subrev_co_u32_e32 v16, vcc, s65, v2
	s_mov_b32 s36, s65
	s_nop 0
	v_subb_co_u32_e64 v17, s[18:19], 0, 0, vcc
	s_mov_b64 s[18:19], 0
	s_movk_i32 s37, 0x89
	s_branch .LBB232_10
.LBB232_9:                              ;   in Loop: Header=BB232_10 Depth=1
	s_or_b64 exec, exec, s[20:21]
	v_lshl_add_u64 v[14:15], v[14:15], 0, 16
	v_cmp_le_i64_e32 vcc, s[2:3], v[14:15]
	s_or_b64 s[18:19], vcc, s[18:19]
	s_andn2_b64 exec, exec, s[18:19]
	s_cbranch_execz .LBB232_23
.LBB232_10:                             ; =>This Loop Header: Depth=1
                                        ;     Child Loop BB232_14 Depth 2
                                        ;       Child Loop BB232_17 Depth 3
	s_waitcnt lgkmcnt(0)
	v_lshl_add_u64 v[2:3], v[14:15], 2, s[4:5]
	global_load_dword v2, v[2:3], off
	s_waitcnt vmcnt(0)
	v_subrev_u32_e32 v2, s64, v2
	v_ashrrev_i32_e32 v3, 31, v2
	v_lshl_add_u64 v[2:3], v[2:3], 3, s[8:9]
	global_load_dwordx4 v[2:5], v[2:3], off
	s_waitcnt vmcnt(0)
	v_subrev_co_u32_e32 v18, vcc, s36, v4
	s_nop 1
	v_subbrev_co_u32_e32 v19, vcc, 0, v5, vcc
	v_lshl_add_u64 v[20:21], v[2:3], 0, v[16:17]
	v_cmp_lt_i64_e32 vcc, v[20:21], v[18:19]
	s_and_saveexec_b64 s[20:21], vcc
	s_cbranch_execz .LBB232_9
; %bb.11:                               ;   in Loop: Header=BB232_10 Depth=1
	v_lshl_add_u64 v[2:3], v[14:15], 4, s[6:7]
	global_load_dwordx4 v[2:5], v[2:3], off
	s_mov_b64 s[22:23], 0
	s_waitcnt vmcnt(0)
	v_mul_f64 v[22:23], v[4:5], -v[12:13]
	v_mul_f64 v[24:25], v[10:11], v[4:5]
	v_fmac_f64_e32 v[22:23], v[10:11], v[2:3]
	v_fmac_f64_e32 v[24:25], v[12:13], v[2:3]
	s_branch .LBB232_14
.LBB232_12:                             ;   in Loop: Header=BB232_14 Depth=2
	s_or_b64 exec, exec, s[26:27]
.LBB232_13:                             ;   in Loop: Header=BB232_14 Depth=2
	s_or_b64 exec, exec, s[24:25]
	s_waitcnt vmcnt(0)
	v_mul_f64 v[28:29], v[4:5], -v[24:25]
	v_mul_f64 v[4:5], v[22:23], v[4:5]
	v_fmac_f64_e32 v[28:29], v[22:23], v[2:3]
	v_fmac_f64_e32 v[4:5], v[24:25], v[2:3]
	v_lshl_add_u32 v2, v26, 4, 0
	ds_add_f64 v2, v[28:29] offset:32768
	ds_add_f64 v2, v[4:5] offset:32776
	v_lshl_add_u64 v[20:21], v[20:21], 0, 64
	v_cmp_ge_i64_e32 vcc, v[20:21], v[18:19]
	s_or_b64 s[22:23], vcc, s[22:23]
	s_andn2_b64 exec, exec, s[22:23]
	s_cbranch_execz .LBB232_9
.LBB232_14:                             ;   Parent Loop BB232_10 Depth=1
                                        ; =>  This Loop Header: Depth=2
                                        ;       Child Loop BB232_17 Depth 3
	v_lshl_add_u64 v[2:3], v[20:21], 2, s[10:11]
	global_load_dword v26, v[2:3], off
	v_lshl_add_u64 v[2:3], v[20:21], 4, s[16:17]
	global_load_dwordx4 v[2:5], v[2:3], off
	s_waitcnt vmcnt(1)
	v_subrev_u32_e32 v27, s65, v26
	v_mul_lo_u32 v26, v27, s37
	v_and_b32_e32 v26, 0x1fff, v26
	v_lshl_add_u32 v28, v26, 2, 0
	ds_read_b32 v29, v28
	s_waitcnt lgkmcnt(0)
	v_cmp_ne_u32_e32 vcc, v29, v27
	s_and_saveexec_b64 s[24:25], vcc
	s_cbranch_execz .LBB232_13
; %bb.15:                               ;   in Loop: Header=BB232_14 Depth=2
	s_mov_b64 s[26:27], 0
	s_branch .LBB232_17
.LBB232_16:                             ;   in Loop: Header=BB232_17 Depth=3
	s_or_b64 exec, exec, s[34:35]
	s_and_b64 s[28:29], exec, s[30:31]
	s_or_b64 s[26:27], s[28:29], s[26:27]
	s_andn2_b64 exec, exec, s[26:27]
	s_cbranch_execz .LBB232_12
.LBB232_17:                             ;   Parent Loop BB232_10 Depth=1
                                        ;     Parent Loop BB232_14 Depth=2
                                        ; =>    This Inner Loop Header: Depth=3
	v_cmp_ne_u32_e32 vcc, s33, v29
	s_mov_b64 s[28:29], 0
	s_and_saveexec_b64 s[30:31], vcc
	s_xor_b64 s[30:31], exec, s[30:31]
	s_cbranch_execz .LBB232_19
; %bb.18:                               ;   in Loop: Header=BB232_17 Depth=3
	v_add_u32_e32 v26, 1, v26
	s_mov_b64 s[28:29], exec
	v_and_b32_e32 v26, 0x1fff, v26
                                        ; implicit-def: $vgpr28
	s_andn2_saveexec_b64 s[30:31], s[30:31]
	s_cbranch_execz .LBB232_21
	s_branch .LBB232_20
.LBB232_19:                             ;   in Loop: Header=BB232_17 Depth=3
	s_andn2_saveexec_b64 s[30:31], s[30:31]
	s_cbranch_execz .LBB232_21
.LBB232_20:                             ;   in Loop: Header=BB232_17 Depth=3
	v_mov_b32_e32 v29, s33
	ds_cmpst_rtn_b32 v28, v28, v29, v27
	s_andn2_b64 s[28:29], s[28:29], exec
	s_waitcnt lgkmcnt(0)
	v_cmp_ne_u32_e32 vcc, s33, v28
	s_and_b64 s[34:35], vcc, exec
	s_or_b64 s[28:29], s[28:29], s[34:35]
.LBB232_21:                             ;   in Loop: Header=BB232_17 Depth=3
	s_or_b64 exec, exec, s[30:31]
	s_mov_b64 s[30:31], -1
                                        ; implicit-def: $vgpr28
                                        ; implicit-def: $vgpr29
	s_and_saveexec_b64 s[34:35], s[28:29]
	s_cbranch_execz .LBB232_16
; %bb.22:                               ;   in Loop: Header=BB232_17 Depth=3
	v_lshl_add_u32 v28, v26, 2, 0
	ds_read_b32 v29, v28
	s_waitcnt lgkmcnt(0)
	v_cmp_eq_u32_e32 vcc, v29, v27
	s_orn2_b64 s[30:31], vcc, exec
	s_branch .LBB232_16
.LBB232_23:
	s_or_b64 exec, exec, s[14:15]
.LBB232_24:
	s_load_dwordx2 s[24:25], s[0:1], 0x90
	s_load_dwordx2 s[2:3], s[0:1], 0x80
                                        ; implicit-def: $vgpr30 : SGPR spill to VGPR lane
	s_andn2_b64 vcc, exec, s[12:13]
	s_waitcnt lgkmcnt(0)
	v_writelane_b32 v30, s2, 0
	s_nop 1
	v_writelane_b32 v30, s3, 1
	s_cbranch_vccnz .LBB232_39
; %bb.25:
	s_load_dwordx2 s[2:3], s[0:1], 0x68
	s_ashr_i32 s39, s38, 31
	s_lshl_b64 s[4:5], s[38:39], 3
	v_subrev_co_u32_e32 v2, vcc, s67, v0
	s_waitcnt lgkmcnt(0)
	s_add_u32 s2, s2, s4
	s_addc_u32 s3, s3, s5
	s_load_dwordx4 s[4:7], s[2:3], 0x0
	v_subb_co_u32_e64 v3, s[2:3], 0, 0, vcc
	s_waitcnt lgkmcnt(0)
	s_sub_u32 s2, s6, s67
	s_subb_u32 s3, s7, 0
	s_waitcnt vmcnt(0)
	v_lshl_add_u64 v[10:11], s[4:5], 0, v[2:3]
	v_cmp_gt_i64_e32 vcc, s[2:3], v[10:11]
	s_and_saveexec_b64 s[8:9], vcc
	s_cbranch_execz .LBB232_38
; %bb.26:
	s_load_dwordx4 s[4:7], s[0:1], 0x70
	s_mov_b64 s[0:1], 0
	s_movk_i32 s22, 0x89
	s_mov_b64 s[10:11], 0x400
	s_branch .LBB232_29
.LBB232_27:                             ;   in Loop: Header=BB232_29 Depth=1
	s_or_b64 exec, exec, s[14:15]
.LBB232_28:                             ;   in Loop: Header=BB232_29 Depth=1
	s_or_b64 exec, exec, s[12:13]
	s_waitcnt vmcnt(0)
	v_mul_f64 v[14:15], v[4:5], -v[6:7]
	v_mul_f64 v[4:5], v[8:9], v[4:5]
	v_fmac_f64_e32 v[14:15], v[8:9], v[2:3]
	v_fmac_f64_e32 v[4:5], v[6:7], v[2:3]
	v_lshl_add_u32 v2, v12, 4, 0
	ds_add_f64 v2, v[14:15] offset:32768
	ds_add_f64 v2, v[4:5] offset:32776
	v_lshl_add_u64 v[10:11], v[10:11], 0, s[10:11]
	v_cmp_le_i64_e32 vcc, s[2:3], v[10:11]
	s_or_b64 s[0:1], vcc, s[0:1]
	s_andn2_b64 exec, exec, s[0:1]
	s_cbranch_execz .LBB232_38
.LBB232_29:                             ; =>This Loop Header: Depth=1
                                        ;     Child Loop BB232_32 Depth 2
	s_waitcnt lgkmcnt(0)
	v_lshl_add_u64 v[2:3], v[10:11], 2, s[4:5]
	global_load_dword v12, v[2:3], off
	v_lshl_add_u64 v[2:3], v[10:11], 4, s[6:7]
	global_load_dwordx4 v[2:5], v[2:3], off
	s_waitcnt vmcnt(1)
	v_subrev_u32_e32 v13, s67, v12
	v_mul_lo_u32 v12, v13, s22
	v_and_b32_e32 v12, 0x1fff, v12
	v_lshl_add_u32 v14, v12, 2, 0
	ds_read_b32 v15, v14
	s_waitcnt lgkmcnt(0)
	v_cmp_ne_u32_e32 vcc, v15, v13
	s_and_saveexec_b64 s[12:13], vcc
	s_cbranch_execz .LBB232_28
; %bb.30:                               ;   in Loop: Header=BB232_29 Depth=1
	s_mov_b64 s[14:15], 0
	s_branch .LBB232_32
.LBB232_31:                             ;   in Loop: Header=BB232_32 Depth=2
	s_or_b64 exec, exec, s[20:21]
	s_and_b64 s[16:17], exec, s[18:19]
	s_or_b64 s[14:15], s[16:17], s[14:15]
	s_andn2_b64 exec, exec, s[14:15]
	s_cbranch_execz .LBB232_27
.LBB232_32:                             ;   Parent Loop BB232_29 Depth=1
                                        ; =>  This Inner Loop Header: Depth=2
	v_cmp_ne_u32_e32 vcc, s33, v15
	s_mov_b64 s[16:17], 0
	s_and_saveexec_b64 s[18:19], vcc
	s_xor_b64 s[18:19], exec, s[18:19]
	s_cbranch_execz .LBB232_34
; %bb.33:                               ;   in Loop: Header=BB232_32 Depth=2
	v_add_u32_e32 v12, 1, v12
	s_mov_b64 s[16:17], exec
	v_and_b32_e32 v12, 0x1fff, v12
                                        ; implicit-def: $vgpr14
	s_andn2_saveexec_b64 s[18:19], s[18:19]
	s_cbranch_execz .LBB232_36
	s_branch .LBB232_35
.LBB232_34:                             ;   in Loop: Header=BB232_32 Depth=2
	s_andn2_saveexec_b64 s[18:19], s[18:19]
	s_cbranch_execz .LBB232_36
.LBB232_35:                             ;   in Loop: Header=BB232_32 Depth=2
	v_mov_b32_e32 v15, s33
	ds_cmpst_rtn_b32 v14, v14, v15, v13
	s_andn2_b64 s[16:17], s[16:17], exec
	s_waitcnt lgkmcnt(0)
	v_cmp_ne_u32_e32 vcc, s33, v14
	s_and_b64 s[20:21], vcc, exec
	s_or_b64 s[16:17], s[16:17], s[20:21]
.LBB232_36:                             ;   in Loop: Header=BB232_32 Depth=2
	s_or_b64 exec, exec, s[18:19]
	s_mov_b64 s[18:19], -1
                                        ; implicit-def: $vgpr14
                                        ; implicit-def: $vgpr15
	s_and_saveexec_b64 s[20:21], s[16:17]
	s_cbranch_execz .LBB232_31
; %bb.37:                               ;   in Loop: Header=BB232_32 Depth=2
	v_lshl_add_u32 v14, v12, 2, 0
	ds_read_b32 v15, v14
	s_waitcnt lgkmcnt(0)
	v_cmp_eq_u32_e32 vcc, v15, v13
	s_orn2_b64 s[18:19], vcc, exec
	s_branch .LBB232_31
.LBB232_38:
	s_or_b64 exec, exec, s[8:9]
.LBB232_39:
	v_writelane_b32 v30, s24, 2
	s_add_i32 s0, 0, 0x28000
	v_lshrrev_b32_e32 v4, 3, v0
	v_writelane_b32 v30, s25, 3
	v_writelane_b32 v30, s38, 4
	s_add_i32 s60, 0, 0x28004
	v_mbcnt_lo_u32_b32 v2, -1, 0
	v_writelane_b32 v30, s39, 5
	v_writelane_b32 v30, s0, 6
	v_and_b32_e32 v4, 0x7c, v4
	v_writelane_b32 v30, s60, 7
	s_add_i32 s60, 0, 0x28008
	v_mbcnt_hi_u32_b32 v2, -1, v2
	v_add_u32_e32 v4, s0, v4
	s_movk_i32 s0, 0x3ff
	v_writelane_b32 v30, s60, 8
	s_add_i32 s60, 0, 0x2800c
	v_sub_u32_e32 v2, 63, v2
	v_cmp_eq_u32_e32 vcc, s0, v0
	s_movk_i32 s0, 0x5f
	s_movk_i32 s2, 0x7f
	s_movk_i32 s4, 0x9f
	s_movk_i32 s6, 0xbf
	s_movk_i32 s8, 0xdf
	s_movk_i32 s10, 0xff
	s_movk_i32 s12, 0x11f
	s_movk_i32 s14, 0x13f
	s_movk_i32 s16, 0x15f
	s_movk_i32 s18, 0x17f
	s_movk_i32 s20, 0x19f
	s_movk_i32 s22, 0x1bf
	s_movk_i32 s24, 0x1df
	s_movk_i32 s26, 0x1ff
	s_movk_i32 s28, 0x21f
	s_movk_i32 s30, 0x23f
	s_movk_i32 s34, 0x25f
	s_movk_i32 s36, 0x27f
	s_movk_i32 s38, 0x29f
	s_movk_i32 s40, 0x2bf
	s_movk_i32 s42, 0x2df
	s_movk_i32 s44, 0x2ff
	s_movk_i32 s46, 0x31f
	s_movk_i32 s48, 0x33f
	s_movk_i32 s50, 0x35f
	s_movk_i32 s52, 0x37f
	s_movk_i32 s54, 0x39f
	s_movk_i32 s56, 0x3bf
	s_movk_i32 s58, 0x3df
	v_lshl_add_u32 v5, v0, 4, 0
	v_writelane_b32 v30, s60, 9
	s_add_i32 s60, 0, 0x28014
	v_lshrrev_b64 v[2:3], v2, -1
	v_cmp_lt_u32_e64 s[0:1], s0, v0
	v_cmp_lt_u32_e64 s[2:3], s2, v0
	;; [unrolled: 1-line block ×29, first 2 shown]
	v_add_u32_e32 v5, 0x8000, v5
	s_waitcnt vmcnt(0)
	v_or_b32_e32 v6, 0xfffffc00, v0
	v_mov_b32_e32 v7, 0
	s_add_i32 s79, 0, 0x28010
	v_writelane_b32 v30, s60, 10
	s_add_i32 s82, 0, 0x28018
	s_add_i32 s83, 0, 0x2801c
	;; [unrolled: 1-line block ×26, first 2 shown]
	v_cmp_lt_u32_e64 s[60:61], 31, v0
	v_cmp_lt_u32_e64 s[62:63], 63, v0
	s_mov_b64 s[74:75], 0
	s_waitcnt lgkmcnt(0)
	s_barrier
	s_branch .LBB232_41
.LBB232_40:                             ;   in Loop: Header=BB232_41 Depth=1
	s_or_b64 exec, exec, s[64:65]
	v_mov_b32_e32 v8, s78
	s_waitcnt lgkmcnt(0)
	s_barrier
	ds_read_b32 v8, v8
	v_add_u32_e32 v6, 0x400, v6
	s_movk_i32 s64, 0x1bff
	v_cmp_lt_u32_e64 s[64:65], s64, v6
	v_add_u32_e32 v5, 0x4000, v5
	s_waitcnt lgkmcnt(0)
	v_add_u32_e32 v7, v8, v7
	s_or_b64 s[74:75], s[64:65], s[74:75]
	v_add_u32_e32 v1, 0x1000, v1
	s_andn2_b64 exec, exec, s[74:75]
	s_cbranch_execz .LBB232_107
.LBB232_41:                             ; =>This Inner Loop Header: Depth=1
	ds_read2_b64 v[10:13], v5 offset1:1
	ds_read_b32 v9, v1
	s_waitcnt lgkmcnt(1)
	scratch_store_dwordx4 off, v[10:13], off
	s_waitcnt lgkmcnt(0)
	v_cmp_gt_i32_e64 s[64:65], s33, v9
	s_bcnt1_i32_b64 s76, s[64:65]
	s_nop 0
	v_and_b32_e32 v10, s64, v2
	v_and_b32_e32 v8, s65, v3
	v_bcnt_u32_b32 v10, v10, 0
	v_bcnt_u32_b32 v8, v8, v10
	v_mov_b32_e32 v10, s76
	s_barrier
	ds_write_b32 v4, v10
	s_waitcnt lgkmcnt(0)
	s_barrier
	s_and_saveexec_b64 s[76:77], s[60:61]
	s_cbranch_execz .LBB232_74
; %bb.42:                               ;   in Loop: Header=BB232_41 Depth=1
	v_readlane_b32 s80, v30, 6
	s_nop 1
	v_mov_b32_e32 v10, s80
	ds_read_b32 v10, v10
	s_waitcnt lgkmcnt(0)
	v_add_u32_e32 v8, v10, v8
	s_or_b64 exec, exec, s[76:77]
	s_and_saveexec_b64 s[76:77], s[62:63]
	s_cbranch_execnz .LBB232_75
.LBB232_43:                             ;   in Loop: Header=BB232_41 Depth=1
	s_or_b64 exec, exec, s[76:77]
	s_and_saveexec_b64 s[76:77], s[0:1]
	s_cbranch_execz .LBB232_76
.LBB232_44:                             ;   in Loop: Header=BB232_41 Depth=1
	v_readlane_b32 s80, v30, 8
	s_nop 1
	v_mov_b32_e32 v10, s80
	ds_read_b32 v10, v10
	s_waitcnt lgkmcnt(0)
	v_add_u32_e32 v8, v10, v8
	s_or_b64 exec, exec, s[76:77]
	s_and_saveexec_b64 s[76:77], s[2:3]
	s_cbranch_execnz .LBB232_77
.LBB232_45:                             ;   in Loop: Header=BB232_41 Depth=1
	s_or_b64 exec, exec, s[76:77]
	s_and_saveexec_b64 s[76:77], s[4:5]
	s_cbranch_execz .LBB232_78
.LBB232_46:                             ;   in Loop: Header=BB232_41 Depth=1
	v_mov_b32_e32 v10, s79
	ds_read_b32 v10, v10
	s_waitcnt lgkmcnt(0)
	v_add_u32_e32 v8, v10, v8
	s_or_b64 exec, exec, s[76:77]
	s_and_saveexec_b64 s[76:77], s[6:7]
	s_cbranch_execnz .LBB232_79
.LBB232_47:                             ;   in Loop: Header=BB232_41 Depth=1
	s_or_b64 exec, exec, s[76:77]
	s_and_saveexec_b64 s[76:77], s[8:9]
	s_cbranch_execz .LBB232_80
.LBB232_48:                             ;   in Loop: Header=BB232_41 Depth=1
	v_mov_b32_e32 v10, s82
	ds_read_b32 v10, v10
	s_waitcnt lgkmcnt(0)
	v_add_u32_e32 v8, v10, v8
	s_or_b64 exec, exec, s[76:77]
	s_and_saveexec_b64 s[76:77], s[10:11]
	s_cbranch_execnz .LBB232_81
.LBB232_49:                             ;   in Loop: Header=BB232_41 Depth=1
	s_or_b64 exec, exec, s[76:77]
	s_and_saveexec_b64 s[76:77], s[12:13]
	s_cbranch_execz .LBB232_82
.LBB232_50:                             ;   in Loop: Header=BB232_41 Depth=1
	v_mov_b32_e32 v10, s84
	ds_read_b32 v10, v10
	s_waitcnt lgkmcnt(0)
	v_add_u32_e32 v8, v10, v8
	s_or_b64 exec, exec, s[76:77]
	s_and_saveexec_b64 s[76:77], s[14:15]
	s_cbranch_execnz .LBB232_83
.LBB232_51:                             ;   in Loop: Header=BB232_41 Depth=1
	s_or_b64 exec, exec, s[76:77]
	s_and_saveexec_b64 s[76:77], s[16:17]
	s_cbranch_execz .LBB232_84
.LBB232_52:                             ;   in Loop: Header=BB232_41 Depth=1
	v_mov_b32_e32 v10, s86
	ds_read_b32 v10, v10
	s_waitcnt lgkmcnt(0)
	v_add_u32_e32 v8, v10, v8
	s_or_b64 exec, exec, s[76:77]
	s_and_saveexec_b64 s[76:77], s[18:19]
	s_cbranch_execnz .LBB232_85
.LBB232_53:                             ;   in Loop: Header=BB232_41 Depth=1
	s_or_b64 exec, exec, s[76:77]
	s_and_saveexec_b64 s[76:77], s[20:21]
	s_cbranch_execz .LBB232_86
.LBB232_54:                             ;   in Loop: Header=BB232_41 Depth=1
	v_mov_b32_e32 v10, s88
	ds_read_b32 v10, v10
	s_waitcnt lgkmcnt(0)
	v_add_u32_e32 v8, v10, v8
	s_or_b64 exec, exec, s[76:77]
	s_and_saveexec_b64 s[76:77], s[22:23]
	s_cbranch_execnz .LBB232_87
.LBB232_55:                             ;   in Loop: Header=BB232_41 Depth=1
	s_or_b64 exec, exec, s[76:77]
	s_and_saveexec_b64 s[76:77], s[24:25]
	s_cbranch_execz .LBB232_88
.LBB232_56:                             ;   in Loop: Header=BB232_41 Depth=1
	v_mov_b32_e32 v10, s90
	ds_read_b32 v10, v10
	s_waitcnt lgkmcnt(0)
	v_add_u32_e32 v8, v10, v8
	s_or_b64 exec, exec, s[76:77]
	s_and_saveexec_b64 s[76:77], s[26:27]
	s_cbranch_execnz .LBB232_89
.LBB232_57:                             ;   in Loop: Header=BB232_41 Depth=1
	s_or_b64 exec, exec, s[76:77]
	s_and_saveexec_b64 s[76:77], s[28:29]
	s_cbranch_execz .LBB232_90
.LBB232_58:                             ;   in Loop: Header=BB232_41 Depth=1
	v_mov_b32_e32 v10, s92
	ds_read_b32 v10, v10
	s_waitcnt lgkmcnt(0)
	v_add_u32_e32 v8, v10, v8
	s_or_b64 exec, exec, s[76:77]
	s_and_saveexec_b64 s[76:77], s[30:31]
	s_cbranch_execnz .LBB232_91
.LBB232_59:                             ;   in Loop: Header=BB232_41 Depth=1
	s_or_b64 exec, exec, s[76:77]
	s_and_saveexec_b64 s[76:77], s[34:35]
	s_cbranch_execz .LBB232_92
.LBB232_60:                             ;   in Loop: Header=BB232_41 Depth=1
	v_mov_b32_e32 v10, s94
	ds_read_b32 v10, v10
	s_waitcnt lgkmcnt(0)
	v_add_u32_e32 v8, v10, v8
	s_or_b64 exec, exec, s[76:77]
	s_and_saveexec_b64 s[76:77], s[36:37]
	s_cbranch_execnz .LBB232_93
.LBB232_61:                             ;   in Loop: Header=BB232_41 Depth=1
	s_or_b64 exec, exec, s[76:77]
	s_and_saveexec_b64 s[76:77], s[38:39]
	s_cbranch_execz .LBB232_94
.LBB232_62:                             ;   in Loop: Header=BB232_41 Depth=1
	v_mov_b32_e32 v10, s96
	ds_read_b32 v10, v10
	s_waitcnt lgkmcnt(0)
	v_add_u32_e32 v8, v10, v8
	s_or_b64 exec, exec, s[76:77]
	s_and_saveexec_b64 s[76:77], s[40:41]
	s_cbranch_execnz .LBB232_95
.LBB232_63:                             ;   in Loop: Header=BB232_41 Depth=1
	s_or_b64 exec, exec, s[76:77]
	s_and_saveexec_b64 s[76:77], s[42:43]
	s_cbranch_execz .LBB232_96
.LBB232_64:                             ;   in Loop: Header=BB232_41 Depth=1
	v_mov_b32_e32 v10, s98
	ds_read_b32 v10, v10
	s_waitcnt lgkmcnt(0)
	v_add_u32_e32 v8, v10, v8
	s_or_b64 exec, exec, s[76:77]
	s_and_saveexec_b64 s[76:77], s[44:45]
	s_cbranch_execnz .LBB232_97
.LBB232_65:                             ;   in Loop: Header=BB232_41 Depth=1
	s_or_b64 exec, exec, s[76:77]
	s_and_saveexec_b64 s[76:77], s[46:47]
	s_cbranch_execz .LBB232_98
.LBB232_66:                             ;   in Loop: Header=BB232_41 Depth=1
	v_mov_b32_e32 v10, s72
	ds_read_b32 v10, v10
	s_waitcnt lgkmcnt(0)
	v_add_u32_e32 v8, v10, v8
	s_or_b64 exec, exec, s[76:77]
	s_and_saveexec_b64 s[76:77], s[48:49]
	s_cbranch_execnz .LBB232_99
.LBB232_67:                             ;   in Loop: Header=BB232_41 Depth=1
	s_or_b64 exec, exec, s[76:77]
	s_and_saveexec_b64 s[76:77], s[50:51]
	s_cbranch_execz .LBB232_100
.LBB232_68:                             ;   in Loop: Header=BB232_41 Depth=1
	v_mov_b32_e32 v10, s68
	ds_read_b32 v10, v10
	s_waitcnt lgkmcnt(0)
	v_add_u32_e32 v8, v10, v8
	s_or_b64 exec, exec, s[76:77]
	s_and_saveexec_b64 s[76:77], s[52:53]
	s_cbranch_execnz .LBB232_101
.LBB232_69:                             ;   in Loop: Header=BB232_41 Depth=1
	s_or_b64 exec, exec, s[76:77]
	s_and_saveexec_b64 s[76:77], s[54:55]
	s_cbranch_execz .LBB232_102
.LBB232_70:                             ;   in Loop: Header=BB232_41 Depth=1
	v_mov_b32_e32 v10, s71
	ds_read_b32 v10, v10
	s_waitcnt lgkmcnt(0)
	v_add_u32_e32 v8, v10, v8
	s_or_b64 exec, exec, s[76:77]
	s_and_saveexec_b64 s[76:77], s[56:57]
	s_cbranch_execnz .LBB232_103
.LBB232_71:                             ;   in Loop: Header=BB232_41 Depth=1
	s_or_b64 exec, exec, s[76:77]
	s_and_saveexec_b64 s[76:77], s[58:59]
	s_cbranch_execz .LBB232_104
.LBB232_72:                             ;   in Loop: Header=BB232_41 Depth=1
	v_mov_b32_e32 v10, s69
	ds_read_b32 v10, v10
	s_waitcnt lgkmcnt(0)
	v_add_u32_e32 v8, v10, v8
	s_or_b64 exec, exec, s[76:77]
	s_and_saveexec_b64 s[76:77], s[64:65]
	s_cbranch_execnz .LBB232_105
.LBB232_73:                             ;   in Loop: Header=BB232_41 Depth=1
	s_or_b64 exec, exec, s[76:77]
	s_and_saveexec_b64 s[64:65], vcc
	s_cbranch_execz .LBB232_40
	s_branch .LBB232_106
.LBB232_74:                             ;   in Loop: Header=BB232_41 Depth=1
	s_or_b64 exec, exec, s[76:77]
	s_and_saveexec_b64 s[76:77], s[62:63]
	s_cbranch_execz .LBB232_43
.LBB232_75:                             ;   in Loop: Header=BB232_41 Depth=1
	v_readlane_b32 s80, v30, 7
	s_nop 1
	v_mov_b32_e32 v10, s80
	ds_read_b32 v10, v10
	s_waitcnt lgkmcnt(0)
	v_add_u32_e32 v8, v10, v8
	s_or_b64 exec, exec, s[76:77]
	s_and_saveexec_b64 s[76:77], s[0:1]
	s_cbranch_execnz .LBB232_44
.LBB232_76:                             ;   in Loop: Header=BB232_41 Depth=1
	s_or_b64 exec, exec, s[76:77]
	s_and_saveexec_b64 s[76:77], s[2:3]
	s_cbranch_execz .LBB232_45
.LBB232_77:                             ;   in Loop: Header=BB232_41 Depth=1
	v_readlane_b32 s80, v30, 9
	s_nop 1
	v_mov_b32_e32 v10, s80
	ds_read_b32 v10, v10
	s_waitcnt lgkmcnt(0)
	v_add_u32_e32 v8, v10, v8
	s_or_b64 exec, exec, s[76:77]
	s_and_saveexec_b64 s[76:77], s[4:5]
	s_cbranch_execnz .LBB232_46
.LBB232_78:                             ;   in Loop: Header=BB232_41 Depth=1
	s_or_b64 exec, exec, s[76:77]
	s_and_saveexec_b64 s[76:77], s[6:7]
	s_cbranch_execz .LBB232_47
.LBB232_79:                             ;   in Loop: Header=BB232_41 Depth=1
	v_readlane_b32 s80, v30, 10
	s_nop 1
	v_mov_b32_e32 v10, s80
	ds_read_b32 v10, v10
	s_waitcnt lgkmcnt(0)
	v_add_u32_e32 v8, v10, v8
	s_or_b64 exec, exec, s[76:77]
	s_and_saveexec_b64 s[76:77], s[8:9]
	s_cbranch_execnz .LBB232_48
.LBB232_80:                             ;   in Loop: Header=BB232_41 Depth=1
	s_or_b64 exec, exec, s[76:77]
	s_and_saveexec_b64 s[76:77], s[10:11]
	s_cbranch_execz .LBB232_49
.LBB232_81:                             ;   in Loop: Header=BB232_41 Depth=1
	v_mov_b32_e32 v10, s83
	ds_read_b32 v10, v10
	s_waitcnt lgkmcnt(0)
	v_add_u32_e32 v8, v10, v8
	s_or_b64 exec, exec, s[76:77]
	s_and_saveexec_b64 s[76:77], s[12:13]
	s_cbranch_execnz .LBB232_50
.LBB232_82:                             ;   in Loop: Header=BB232_41 Depth=1
	s_or_b64 exec, exec, s[76:77]
	s_and_saveexec_b64 s[76:77], s[14:15]
	s_cbranch_execz .LBB232_51
.LBB232_83:                             ;   in Loop: Header=BB232_41 Depth=1
	v_mov_b32_e32 v10, s85
	ds_read_b32 v10, v10
	s_waitcnt lgkmcnt(0)
	v_add_u32_e32 v8, v10, v8
	s_or_b64 exec, exec, s[76:77]
	s_and_saveexec_b64 s[76:77], s[16:17]
	s_cbranch_execnz .LBB232_52
.LBB232_84:                             ;   in Loop: Header=BB232_41 Depth=1
	s_or_b64 exec, exec, s[76:77]
	s_and_saveexec_b64 s[76:77], s[18:19]
	s_cbranch_execz .LBB232_53
.LBB232_85:                             ;   in Loop: Header=BB232_41 Depth=1
	v_mov_b32_e32 v10, s87
	ds_read_b32 v10, v10
	s_waitcnt lgkmcnt(0)
	v_add_u32_e32 v8, v10, v8
	s_or_b64 exec, exec, s[76:77]
	s_and_saveexec_b64 s[76:77], s[20:21]
	s_cbranch_execnz .LBB232_54
.LBB232_86:                             ;   in Loop: Header=BB232_41 Depth=1
	s_or_b64 exec, exec, s[76:77]
	s_and_saveexec_b64 s[76:77], s[22:23]
	s_cbranch_execz .LBB232_55
.LBB232_87:                             ;   in Loop: Header=BB232_41 Depth=1
	v_mov_b32_e32 v10, s89
	ds_read_b32 v10, v10
	s_waitcnt lgkmcnt(0)
	v_add_u32_e32 v8, v10, v8
	s_or_b64 exec, exec, s[76:77]
	s_and_saveexec_b64 s[76:77], s[24:25]
	s_cbranch_execnz .LBB232_56
.LBB232_88:                             ;   in Loop: Header=BB232_41 Depth=1
	s_or_b64 exec, exec, s[76:77]
	s_and_saveexec_b64 s[76:77], s[26:27]
	s_cbranch_execz .LBB232_57
.LBB232_89:                             ;   in Loop: Header=BB232_41 Depth=1
	v_mov_b32_e32 v10, s91
	ds_read_b32 v10, v10
	s_waitcnt lgkmcnt(0)
	v_add_u32_e32 v8, v10, v8
	s_or_b64 exec, exec, s[76:77]
	s_and_saveexec_b64 s[76:77], s[28:29]
	s_cbranch_execnz .LBB232_58
.LBB232_90:                             ;   in Loop: Header=BB232_41 Depth=1
	s_or_b64 exec, exec, s[76:77]
	s_and_saveexec_b64 s[76:77], s[30:31]
	s_cbranch_execz .LBB232_59
.LBB232_91:                             ;   in Loop: Header=BB232_41 Depth=1
	v_mov_b32_e32 v10, s93
	ds_read_b32 v10, v10
	s_waitcnt lgkmcnt(0)
	v_add_u32_e32 v8, v10, v8
	s_or_b64 exec, exec, s[76:77]
	s_and_saveexec_b64 s[76:77], s[34:35]
	s_cbranch_execnz .LBB232_60
.LBB232_92:                             ;   in Loop: Header=BB232_41 Depth=1
	s_or_b64 exec, exec, s[76:77]
	s_and_saveexec_b64 s[76:77], s[36:37]
	s_cbranch_execz .LBB232_61
.LBB232_93:                             ;   in Loop: Header=BB232_41 Depth=1
	v_mov_b32_e32 v10, s95
	ds_read_b32 v10, v10
	s_waitcnt lgkmcnt(0)
	v_add_u32_e32 v8, v10, v8
	s_or_b64 exec, exec, s[76:77]
	s_and_saveexec_b64 s[76:77], s[38:39]
	s_cbranch_execnz .LBB232_62
.LBB232_94:                             ;   in Loop: Header=BB232_41 Depth=1
	s_or_b64 exec, exec, s[76:77]
	s_and_saveexec_b64 s[76:77], s[40:41]
	s_cbranch_execz .LBB232_63
.LBB232_95:                             ;   in Loop: Header=BB232_41 Depth=1
	v_mov_b32_e32 v10, s97
	ds_read_b32 v10, v10
	s_waitcnt lgkmcnt(0)
	v_add_u32_e32 v8, v10, v8
	s_or_b64 exec, exec, s[76:77]
	s_and_saveexec_b64 s[76:77], s[42:43]
	s_cbranch_execnz .LBB232_64
.LBB232_96:                             ;   in Loop: Header=BB232_41 Depth=1
	s_or_b64 exec, exec, s[76:77]
	s_and_saveexec_b64 s[76:77], s[44:45]
	s_cbranch_execz .LBB232_65
.LBB232_97:                             ;   in Loop: Header=BB232_41 Depth=1
	v_mov_b32_e32 v10, s99
	ds_read_b32 v10, v10
	s_waitcnt lgkmcnt(0)
	v_add_u32_e32 v8, v10, v8
	s_or_b64 exec, exec, s[76:77]
	s_and_saveexec_b64 s[76:77], s[46:47]
	s_cbranch_execnz .LBB232_66
.LBB232_98:                             ;   in Loop: Header=BB232_41 Depth=1
	s_or_b64 exec, exec, s[76:77]
	s_and_saveexec_b64 s[76:77], s[48:49]
	s_cbranch_execz .LBB232_67
.LBB232_99:                             ;   in Loop: Header=BB232_41 Depth=1
	v_mov_b32_e32 v10, s73
	ds_read_b32 v10, v10
	s_waitcnt lgkmcnt(0)
	v_add_u32_e32 v8, v10, v8
	s_or_b64 exec, exec, s[76:77]
	s_and_saveexec_b64 s[76:77], s[50:51]
	s_cbranch_execnz .LBB232_68
.LBB232_100:                            ;   in Loop: Header=BB232_41 Depth=1
	s_or_b64 exec, exec, s[76:77]
	s_and_saveexec_b64 s[76:77], s[52:53]
	s_cbranch_execz .LBB232_69
.LBB232_101:                            ;   in Loop: Header=BB232_41 Depth=1
	v_mov_b32_e32 v10, s70
	ds_read_b32 v10, v10
	s_waitcnt lgkmcnt(0)
	v_add_u32_e32 v8, v10, v8
	s_or_b64 exec, exec, s[76:77]
	s_and_saveexec_b64 s[76:77], s[54:55]
	s_cbranch_execnz .LBB232_70
.LBB232_102:                            ;   in Loop: Header=BB232_41 Depth=1
	s_or_b64 exec, exec, s[76:77]
	s_and_saveexec_b64 s[76:77], s[56:57]
	s_cbranch_execz .LBB232_71
.LBB232_103:                            ;   in Loop: Header=BB232_41 Depth=1
	v_mov_b32_e32 v10, s67
	ds_read_b32 v10, v10
	s_waitcnt lgkmcnt(0)
	v_add_u32_e32 v8, v10, v8
	s_or_b64 exec, exec, s[76:77]
	s_and_saveexec_b64 s[76:77], s[58:59]
	s_cbranch_execnz .LBB232_72
.LBB232_104:                            ;   in Loop: Header=BB232_41 Depth=1
	s_or_b64 exec, exec, s[76:77]
	s_and_saveexec_b64 s[76:77], s[64:65]
	s_cbranch_execz .LBB232_73
.LBB232_105:                            ;   in Loop: Header=BB232_41 Depth=1
	scratch_load_dwordx4 v[10:13], off, off
	v_add3_u32 v14, v7, -1, v8
	v_add_u32_e32 v15, v7, v8
	v_lshl_add_u32 v14, v14, 2, 0
	v_lshl_add_u32 v15, v15, 4, 0
	v_add_u32_e32 v15, 0x7ff0, v15
	ds_write_b32 v14, v9
	s_waitcnt vmcnt(0)
	ds_write2_b64 v15, v[10:11], v[12:13] offset1:1
	s_or_b64 exec, exec, s[76:77]
	s_and_saveexec_b64 s[64:65], vcc
	s_cbranch_execz .LBB232_40
.LBB232_106:                            ;   in Loop: Header=BB232_41 Depth=1
	v_mov_b32_e32 v9, s78
	ds_write_b32 v9, v8
	s_branch .LBB232_40
.LBB232_107:
	s_or_b64 exec, exec, s[74:75]
	v_readlane_b32 s0, v30, 4
	v_readlane_b32 s1, v30, 5
	s_ashr_i32 s1, s0, 31
	s_lshl_b64 s[0:1], s[0:1], 3
	v_readlane_b32 s2, v30, 0
	v_readlane_b32 s3, v30, 1
	s_add_u32 s4, s2, s0
	s_addc_u32 s5, s3, s1
	s_load_dwordx4 s[0:3], s[4:5], 0x0
	s_waitcnt lgkmcnt(0)
	s_sub_i32 s8, s2, s0
	v_cmp_gt_i32_e32 vcc, s8, v0
	s_and_saveexec_b64 s[4:5], vcc
	v_readlane_b32 s16, v30, 2
	v_readlane_b32 s17, v30, 3
	s_cbranch_execz .LBB232_117
; %bb.108:
	s_sub_u32 s4, s0, s66
	s_subb_u32 s5, s1, 0
	s_and_b32 s10, s8, 7
	s_sub_i32 s0, s0, s2
	s_cmp_lt_u32 s0, -7
	s_cselect_b64 s[0:1], -1, 0
	s_and_b32 s11, s8, -8
	s_cmp_lg_u32 s10, 0
	v_cndmask_b32_e64 v1, 0, 1, s[0:1]
	s_cselect_b64 s[2:3], -1, 0
	v_cmp_ne_u32_e64 s[0:1], 1, v1
	v_cndmask_b32_e64 v1, 0, 1, s[2:3]
	s_mov_b32 s9, 0
	s_mov_b64 s[6:7], 0
	v_cmp_ne_u32_e64 s[2:3], 1, v1
	s_mov_b32 s12, 0x8000
	s_branch .LBB232_110
.LBB232_109:                            ;   in Loop: Header=BB232_110 Depth=1
	s_waitcnt lgkmcnt(0)
	v_mul_lo_u32 v4, v0, 12
	v_add3_u32 v1, v1, v4, s12
	ds_read2_b64 v[4:7], v1 offset1:1
	v_add_u32_e32 v0, 0x400, v0
	v_cmp_le_i32_e32 vcc, s8, v0
	v_lshl_add_u64 v[2:3], v[2:3], 4, s[16:17]
	s_or_b64 s[6:7], vcc, s[6:7]
	s_waitcnt lgkmcnt(0)
	global_store_dwordx4 v[2:3], v[4:7], off
	s_andn2_b64 exec, exec, s[6:7]
	s_cbranch_execz .LBB232_117
.LBB232_110:                            ; =>This Loop Header: Depth=1
                                        ;     Child Loop BB232_112 Depth 2
                                        ;     Child Loop BB232_116 Depth 2
	v_lshl_add_u32 v1, v0, 2, 0
	ds_read_b32 v4, v1
	s_and_b64 vcc, exec, s[0:1]
	v_mov_b64_e32 v[2:3], s[4:5]
	s_mov_b32 s13, 0
	s_cbranch_vccnz .LBB232_114
; %bb.111:                              ;   in Loop: Header=BB232_110 Depth=1
	s_mov_b32 s14, 0
	v_mov_b64_e32 v[2:3], s[4:5]
.LBB232_112:                            ;   Parent Loop BB232_110 Depth=1
                                        ; =>  This Inner Loop Header: Depth=2
	v_mov_b32_e32 v5, s14
	ds_read2_b32 v[22:23], v5 offset1:1
	ds_read2_b32 v[24:25], v5 offset0:2 offset1:3
	ds_read2_b32 v[26:27], v5 offset0:4 offset1:5
	;; [unrolled: 1-line block ×3, first 2 shown]
	v_mov_b32_e32 v7, s9
	s_waitcnt lgkmcnt(3)
	v_cmp_gt_i32_e32 vcc, v4, v22
	v_mov_b32_e32 v9, s9
	v_mov_b32_e32 v11, s9
	v_cndmask_b32_e64 v6, 0, 1, vcc
	v_cmp_gt_i32_e32 vcc, v4, v23
	v_lshl_add_u64 v[2:3], v[2:3], 0, v[6:7]
	v_mov_b32_e32 v13, s9
	v_cndmask_b32_e64 v8, 0, 1, vcc
	s_waitcnt lgkmcnt(2)
	v_cmp_gt_i32_e32 vcc, v4, v24
	v_lshl_add_u64 v[2:3], v[2:3], 0, v[8:9]
	v_mov_b32_e32 v15, s9
	v_cndmask_b32_e64 v10, 0, 1, vcc
	v_cmp_gt_i32_e32 vcc, v4, v25
	v_lshl_add_u64 v[2:3], v[2:3], 0, v[10:11]
	v_mov_b32_e32 v17, s9
	v_cndmask_b32_e64 v12, 0, 1, vcc
	s_waitcnt lgkmcnt(1)
	v_cmp_gt_i32_e32 vcc, v4, v26
	v_lshl_add_u64 v[2:3], v[2:3], 0, v[12:13]
	;; [unrolled: 9-line block ×3, first 2 shown]
	s_add_i32 s13, s13, 8
	v_cndmask_b32_e64 v18, 0, 1, vcc
	v_cmp_gt_i32_e32 vcc, v4, v29
	s_add_i32 s14, s14, 32
	v_lshl_add_u64 v[2:3], v[2:3], 0, v[18:19]
	v_cndmask_b32_e64 v20, 0, 1, vcc
	s_cmp_eq_u32 s11, s13
	v_lshl_add_u64 v[2:3], v[2:3], 0, v[20:21]
	s_cbranch_scc0 .LBB232_112
; %bb.113:                              ;   in Loop: Header=BB232_110 Depth=1
	s_mov_b32 s13, s11
.LBB232_114:                            ;   in Loop: Header=BB232_110 Depth=1
	s_and_b64 vcc, exec, s[2:3]
	s_cbranch_vccnz .LBB232_109
; %bb.115:                              ;   in Loop: Header=BB232_110 Depth=1
	s_lshl_b32 s13, s13, 2
	s_add_i32 s13, s13, 0
	s_mov_b32 s14, s10
.LBB232_116:                            ;   Parent Loop BB232_110 Depth=1
                                        ; =>  This Inner Loop Header: Depth=2
	v_mov_b32_e32 v5, s13
	ds_read_b32 v5, v5
	v_mov_b32_e32 v7, s9
	s_add_i32 s13, s13, 4
	s_add_i32 s14, s14, -1
	s_cmp_lg_u32 s14, 0
	s_waitcnt lgkmcnt(0)
	v_cmp_gt_i32_e32 vcc, v4, v5
	s_nop 1
	v_cndmask_b32_e64 v6, 0, 1, vcc
	v_lshl_add_u64 v[2:3], v[2:3], 0, v[6:7]
	s_cbranch_scc1 .LBB232_116
	s_branch .LBB232_109
.LBB232_117:
	s_endpgm
	.section	.rodata,"a",@progbits
	.p2align	6, 0x0
	.amdhsa_kernel _ZN9rocsparseL41csrgemm_numeric_fill_block_per_row_kernelILj1024ELj64ELj8192ELj137ELj32Eli21rocsparse_complex_numIdEEEvT5_PKS3_S5_NS_24const_host_device_scalarIT6_EEPKT4_S5_PKS7_SB_S5_SD_S8_SB_S5_SD_SB_S5_PS7_21rocsparse_index_base_SF_SF_SF_bbb
		.amdhsa_group_segment_fixed_size 0
		.amdhsa_private_segment_fixed_size 40
		.amdhsa_kernarg_size 172
		.amdhsa_user_sgpr_count 2
		.amdhsa_user_sgpr_dispatch_ptr 0
		.amdhsa_user_sgpr_queue_ptr 0
		.amdhsa_user_sgpr_kernarg_segment_ptr 1
		.amdhsa_user_sgpr_dispatch_id 0
		.amdhsa_user_sgpr_kernarg_preload_length 0
		.amdhsa_user_sgpr_kernarg_preload_offset 0
		.amdhsa_user_sgpr_private_segment_size 0
		.amdhsa_uses_dynamic_stack 0
		.amdhsa_enable_private_segment 1
		.amdhsa_system_sgpr_workgroup_id_x 1
		.amdhsa_system_sgpr_workgroup_id_y 0
		.amdhsa_system_sgpr_workgroup_id_z 0
		.amdhsa_system_sgpr_workgroup_info 0
		.amdhsa_system_vgpr_workitem_id 0
		.amdhsa_next_free_vgpr 31
		.amdhsa_next_free_sgpr 100
		.amdhsa_accum_offset 32
		.amdhsa_reserve_vcc 1
		.amdhsa_float_round_mode_32 0
		.amdhsa_float_round_mode_16_64 0
		.amdhsa_float_denorm_mode_32 3
		.amdhsa_float_denorm_mode_16_64 3
		.amdhsa_dx10_clamp 1
		.amdhsa_ieee_mode 1
		.amdhsa_fp16_overflow 0
		.amdhsa_tg_split 0
		.amdhsa_exception_fp_ieee_invalid_op 0
		.amdhsa_exception_fp_denorm_src 0
		.amdhsa_exception_fp_ieee_div_zero 0
		.amdhsa_exception_fp_ieee_overflow 0
		.amdhsa_exception_fp_ieee_underflow 0
		.amdhsa_exception_fp_ieee_inexact 0
		.amdhsa_exception_int_div_zero 0
	.end_amdhsa_kernel
	.section	.text._ZN9rocsparseL41csrgemm_numeric_fill_block_per_row_kernelILj1024ELj64ELj8192ELj137ELj32Eli21rocsparse_complex_numIdEEEvT5_PKS3_S5_NS_24const_host_device_scalarIT6_EEPKT4_S5_PKS7_SB_S5_SD_S8_SB_S5_SD_SB_S5_PS7_21rocsparse_index_base_SF_SF_SF_bbb,"axG",@progbits,_ZN9rocsparseL41csrgemm_numeric_fill_block_per_row_kernelILj1024ELj64ELj8192ELj137ELj32Eli21rocsparse_complex_numIdEEEvT5_PKS3_S5_NS_24const_host_device_scalarIT6_EEPKT4_S5_PKS7_SB_S5_SD_S8_SB_S5_SD_SB_S5_PS7_21rocsparse_index_base_SF_SF_SF_bbb,comdat
.Lfunc_end232:
	.size	_ZN9rocsparseL41csrgemm_numeric_fill_block_per_row_kernelILj1024ELj64ELj8192ELj137ELj32Eli21rocsparse_complex_numIdEEEvT5_PKS3_S5_NS_24const_host_device_scalarIT6_EEPKT4_S5_PKS7_SB_S5_SD_S8_SB_S5_SD_SB_S5_PS7_21rocsparse_index_base_SF_SF_SF_bbb, .Lfunc_end232-_ZN9rocsparseL41csrgemm_numeric_fill_block_per_row_kernelILj1024ELj64ELj8192ELj137ELj32Eli21rocsparse_complex_numIdEEEvT5_PKS3_S5_NS_24const_host_device_scalarIT6_EEPKT4_S5_PKS7_SB_S5_SD_S8_SB_S5_SD_SB_S5_PS7_21rocsparse_index_base_SF_SF_SF_bbb
                                        ; -- End function
	.set _ZN9rocsparseL41csrgemm_numeric_fill_block_per_row_kernelILj1024ELj64ELj8192ELj137ELj32Eli21rocsparse_complex_numIdEEEvT5_PKS3_S5_NS_24const_host_device_scalarIT6_EEPKT4_S5_PKS7_SB_S5_SD_S8_SB_S5_SD_SB_S5_PS7_21rocsparse_index_base_SF_SF_SF_bbb.num_vgpr, 31
	.set _ZN9rocsparseL41csrgemm_numeric_fill_block_per_row_kernelILj1024ELj64ELj8192ELj137ELj32Eli21rocsparse_complex_numIdEEEvT5_PKS3_S5_NS_24const_host_device_scalarIT6_EEPKT4_S5_PKS7_SB_S5_SD_S8_SB_S5_SD_SB_S5_PS7_21rocsparse_index_base_SF_SF_SF_bbb.num_agpr, 0
	.set _ZN9rocsparseL41csrgemm_numeric_fill_block_per_row_kernelILj1024ELj64ELj8192ELj137ELj32Eli21rocsparse_complex_numIdEEEvT5_PKS3_S5_NS_24const_host_device_scalarIT6_EEPKT4_S5_PKS7_SB_S5_SD_S8_SB_S5_SD_SB_S5_PS7_21rocsparse_index_base_SF_SF_SF_bbb.numbered_sgpr, 100
	.set _ZN9rocsparseL41csrgemm_numeric_fill_block_per_row_kernelILj1024ELj64ELj8192ELj137ELj32Eli21rocsparse_complex_numIdEEEvT5_PKS3_S5_NS_24const_host_device_scalarIT6_EEPKT4_S5_PKS7_SB_S5_SD_S8_SB_S5_SD_SB_S5_PS7_21rocsparse_index_base_SF_SF_SF_bbb.num_named_barrier, 0
	.set _ZN9rocsparseL41csrgemm_numeric_fill_block_per_row_kernelILj1024ELj64ELj8192ELj137ELj32Eli21rocsparse_complex_numIdEEEvT5_PKS3_S5_NS_24const_host_device_scalarIT6_EEPKT4_S5_PKS7_SB_S5_SD_S8_SB_S5_SD_SB_S5_PS7_21rocsparse_index_base_SF_SF_SF_bbb.private_seg_size, 40
	.set _ZN9rocsparseL41csrgemm_numeric_fill_block_per_row_kernelILj1024ELj64ELj8192ELj137ELj32Eli21rocsparse_complex_numIdEEEvT5_PKS3_S5_NS_24const_host_device_scalarIT6_EEPKT4_S5_PKS7_SB_S5_SD_S8_SB_S5_SD_SB_S5_PS7_21rocsparse_index_base_SF_SF_SF_bbb.uses_vcc, 1
	.set _ZN9rocsparseL41csrgemm_numeric_fill_block_per_row_kernelILj1024ELj64ELj8192ELj137ELj32Eli21rocsparse_complex_numIdEEEvT5_PKS3_S5_NS_24const_host_device_scalarIT6_EEPKT4_S5_PKS7_SB_S5_SD_S8_SB_S5_SD_SB_S5_PS7_21rocsparse_index_base_SF_SF_SF_bbb.uses_flat_scratch, 0
	.set _ZN9rocsparseL41csrgemm_numeric_fill_block_per_row_kernelILj1024ELj64ELj8192ELj137ELj32Eli21rocsparse_complex_numIdEEEvT5_PKS3_S5_NS_24const_host_device_scalarIT6_EEPKT4_S5_PKS7_SB_S5_SD_S8_SB_S5_SD_SB_S5_PS7_21rocsparse_index_base_SF_SF_SF_bbb.has_dyn_sized_stack, 0
	.set _ZN9rocsparseL41csrgemm_numeric_fill_block_per_row_kernelILj1024ELj64ELj8192ELj137ELj32Eli21rocsparse_complex_numIdEEEvT5_PKS3_S5_NS_24const_host_device_scalarIT6_EEPKT4_S5_PKS7_SB_S5_SD_S8_SB_S5_SD_SB_S5_PS7_21rocsparse_index_base_SF_SF_SF_bbb.has_recursion, 0
	.set _ZN9rocsparseL41csrgemm_numeric_fill_block_per_row_kernelILj1024ELj64ELj8192ELj137ELj32Eli21rocsparse_complex_numIdEEEvT5_PKS3_S5_NS_24const_host_device_scalarIT6_EEPKT4_S5_PKS7_SB_S5_SD_S8_SB_S5_SD_SB_S5_PS7_21rocsparse_index_base_SF_SF_SF_bbb.has_indirect_call, 0
	.section	.AMDGPU.csdata,"",@progbits
; Kernel info:
; codeLenInByte = 4904
; TotalNumSgprs: 106
; NumVgprs: 31
; NumAgprs: 0
; TotalNumVgprs: 31
; ScratchSize: 40
; MemoryBound: 0
; FloatMode: 240
; IeeeMode: 1
; LDSByteSize: 0 bytes/workgroup (compile time only)
; SGPRBlocks: 13
; VGPRBlocks: 3
; NumSGPRsForWavesPerEU: 106
; NumVGPRsForWavesPerEU: 31
; AccumOffset: 32
; Occupancy: 7
; WaveLimiterHint : 1
; COMPUTE_PGM_RSRC2:SCRATCH_EN: 1
; COMPUTE_PGM_RSRC2:USER_SGPR: 2
; COMPUTE_PGM_RSRC2:TRAP_HANDLER: 0
; COMPUTE_PGM_RSRC2:TGID_X_EN: 1
; COMPUTE_PGM_RSRC2:TGID_Y_EN: 0
; COMPUTE_PGM_RSRC2:TGID_Z_EN: 0
; COMPUTE_PGM_RSRC2:TIDIG_COMP_CNT: 0
; COMPUTE_PGM_RSRC3_GFX90A:ACCUM_OFFSET: 7
; COMPUTE_PGM_RSRC3_GFX90A:TG_SPLIT: 0
	.section	.text._ZN9rocsparseL41csrgemm_numeric_fill_block_per_row_kernelILj1024ELj64ELj8192ELj137ELj64Eli21rocsparse_complex_numIdEEEvT5_PKS3_S5_NS_24const_host_device_scalarIT6_EEPKT4_S5_PKS7_SB_S5_SD_S8_SB_S5_SD_SB_S5_PS7_21rocsparse_index_base_SF_SF_SF_bbb,"axG",@progbits,_ZN9rocsparseL41csrgemm_numeric_fill_block_per_row_kernelILj1024ELj64ELj8192ELj137ELj64Eli21rocsparse_complex_numIdEEEvT5_PKS3_S5_NS_24const_host_device_scalarIT6_EEPKT4_S5_PKS7_SB_S5_SD_S8_SB_S5_SD_SB_S5_PS7_21rocsparse_index_base_SF_SF_SF_bbb,comdat
	.globl	_ZN9rocsparseL41csrgemm_numeric_fill_block_per_row_kernelILj1024ELj64ELj8192ELj137ELj64Eli21rocsparse_complex_numIdEEEvT5_PKS3_S5_NS_24const_host_device_scalarIT6_EEPKT4_S5_PKS7_SB_S5_SD_S8_SB_S5_SD_SB_S5_PS7_21rocsparse_index_base_SF_SF_SF_bbb ; -- Begin function _ZN9rocsparseL41csrgemm_numeric_fill_block_per_row_kernelILj1024ELj64ELj8192ELj137ELj64Eli21rocsparse_complex_numIdEEEvT5_PKS3_S5_NS_24const_host_device_scalarIT6_EEPKT4_S5_PKS7_SB_S5_SD_S8_SB_S5_SD_SB_S5_PS7_21rocsparse_index_base_SF_SF_SF_bbb
	.p2align	8
	.type	_ZN9rocsparseL41csrgemm_numeric_fill_block_per_row_kernelILj1024ELj64ELj8192ELj137ELj64Eli21rocsparse_complex_numIdEEEvT5_PKS3_S5_NS_24const_host_device_scalarIT6_EEPKT4_S5_PKS7_SB_S5_SD_S8_SB_S5_SD_SB_S5_PS7_21rocsparse_index_base_SF_SF_SF_bbb,@function
_ZN9rocsparseL41csrgemm_numeric_fill_block_per_row_kernelILj1024ELj64ELj8192ELj137ELj64Eli21rocsparse_complex_numIdEEEvT5_PKS3_S5_NS_24const_host_device_scalarIT6_EEPKT4_S5_PKS7_SB_S5_SD_S8_SB_S5_SD_SB_S5_PS7_21rocsparse_index_base_SF_SF_SF_bbb: ; @_ZN9rocsparseL41csrgemm_numeric_fill_block_per_row_kernelILj1024ELj64ELj8192ELj137ELj64Eli21rocsparse_complex_numIdEEEvT5_PKS3_S5_NS_24const_host_device_scalarIT6_EEPKT4_S5_PKS7_SB_S5_SD_S8_SB_S5_SD_SB_S5_PS7_21rocsparse_index_base_SF_SF_SF_bbb
; %bb.0:
	s_load_dword s3, s[0:1], 0xa8
	s_load_dwordx8 s[8:15], s[0:1], 0x8
	s_load_dwordx4 s[36:39], s[0:1], 0x98
	s_load_dwordx4 s[16:19], s[0:1], 0x58
	v_mov_b64_e32 v[6:7], 0
	v_mov_b64_e32 v[10:11], 0
	s_waitcnt lgkmcnt(0)
	s_bitcmp1_b32 s3, 0
	s_cselect_b64 s[6:7], -1, 0
	s_bitcmp1_b32 s3, 16
	s_cselect_b64 s[20:21], -1, 0
	s_xor_b64 s[4:5], s[20:21], -1
	v_mov_b64_e32 v[2:3], s[12:13]
	v_cndmask_b32_e64 v1, 0, 1, s[4:5]
	scratch_store_dwordx2 off, v[2:3], off offset:16
	v_mov_b64_e32 v[2:3], s[16:17]
	s_bitcmp0_b32 s3, 0
	v_cmp_ne_u32_e64 s[4:5], 1, v1
	v_mov_b64_e32 v[12:13], 0
	scratch_store_dwordx2 off, v[2:3], off offset:24
	s_cbranch_scc1 .LBB233_3
; %bb.1:
	s_mov_b64 s[22:23], src_private_base
	s_and_b64 s[24:25], s[20:21], exec
	s_cselect_b32 s22, s23, s13
	s_cselect_b32 s23, 16, s12
	v_mov_b32_e32 v2, s23
	v_mov_b32_e32 v3, s22
	flat_load_dwordx2 v[10:11], v[2:3]
	s_and_b64 vcc, exec, s[4:5]
	v_mov_b64_e32 v[12:13], s[14:15]
	s_cbranch_vccnz .LBB233_3
; %bb.2:
	v_mov_b64_e32 v[2:3], s[12:13]
	flat_load_dwordx2 v[12:13], v[2:3] offset:8
.LBB233_3:
	s_bitcmp1_b32 s3, 8
	s_cselect_b64 s[12:13], -1, 0
	s_bfe_u32 s3, s3, 0x10008
	s_cmp_eq_u32 s3, 0
	v_mov_b64_e32 v[8:9], 0
	s_cbranch_scc1 .LBB233_6
; %bb.4:
	s_mov_b64 s[14:15], src_private_base
	s_and_b64 s[20:21], s[20:21], exec
	s_cselect_b32 s3, s15, s17
	s_cselect_b32 s14, 24, s16
	v_mov_b32_e32 v2, s14
	v_mov_b32_e32 v3, s3
	flat_load_dwordx2 v[8:9], v[2:3]
	s_and_b64 vcc, exec, s[4:5]
	v_mov_b64_e32 v[6:7], s[18:19]
	s_cbranch_vccnz .LBB233_6
; %bb.5:
	v_mov_b64_e32 v[2:3], s[16:17]
	flat_load_dwordx2 v[6:7], v[2:3] offset:8
.LBB233_6:
	s_load_dword s33, s[0:1], 0x0
	s_mov_b32 s4, 0
	v_lshl_add_u32 v1, v0, 2, 0
	v_mad_u32_u24 v14, v0, 12, v1
	s_mov_b32 s5, s4
	s_waitcnt lgkmcnt(0)
	v_mov_b32_e32 v2, s33
	s_mov_b32 s14, s4
	s_mov_b32 s15, s4
	v_add_u32_e32 v15, 0x8000, v14
	ds_write_b32 v1, v2
	v_mov_b64_e32 v[2:3], s[4:5]
	v_mov_b64_e32 v[4:5], s[14:15]
	ds_write2_b64 v15, v[2:3], v[4:5] offset1:1
	v_mad_i32_i24 v14, v0, -12, v14
	v_mov_b32_e32 v15, s33
	s_add_i32 s3, 0, 0x8000
	ds_write_b32 v14, v15 offset:4096
	v_mad_u32_u24 v14, v0, 12, v14
	v_lshl_add_u32 v16, v0, 4, s3
	v_add_u32_e32 v15, 0xc000, v14
	v_add_u32_e32 v17, 0x8000, v16
	ds_write2_b64 v15, v[2:3], v[4:5] offset1:1
	v_mad_i32_i24 v14, v0, -12, v14
	v_mov_b32_e32 v15, s33
	ds_write2_b64 v17, v[2:3], v[4:5] offset1:1
	v_mov_b32_e32 v17, s33
	ds_write2st64_b32 v14, v15, v17 offset0:32 offset1:48
	v_add_u32_e32 v15, 0xc000, v16
	v_add_u32_e32 v17, 0x10000, v16
	ds_write2_b64 v15, v[2:3], v[4:5] offset1:1
	v_mov_b32_e32 v15, s33
	ds_write2_b64 v17, v[2:3], v[4:5] offset1:1
	v_mov_b32_e32 v17, s33
	ds_write2st64_b32 v14, v15, v17 offset0:64 offset1:80
	v_add_u32_e32 v15, 0x14000, v16
	v_add_u32_e32 v17, 0x18000, v16
	ds_write2_b64 v15, v[2:3], v[4:5] offset1:1
	v_mov_b32_e32 v15, s33
	ds_write2_b64 v17, v[2:3], v[4:5] offset1:1
	v_mov_b32_e32 v17, s33
	ds_write2st64_b32 v14, v15, v17 offset0:96 offset1:112
	v_add_u32_e32 v14, 0x1c000, v16
	ds_write2_b64 v14, v[2:3], v[4:5] offset1:1
	s_waitcnt lgkmcnt(0)
	s_barrier
	s_load_dword s3, s[8:9], 0x0
	v_lshrrev_b32_e32 v26, 6, v0
	s_waitcnt lgkmcnt(0)
	s_add_i32 s2, s3, s2
	s_mov_b32 s3, s4
	s_lshl_b64 s[2:3], s[2:3], 2
	s_add_u32 s2, s10, s2
	s_addc_u32 s3, s11, s3
	s_load_dword s34, s[2:3], 0x0
	s_andn2_b64 vcc, exec, s[6:7]
	s_cbranch_vccnz .LBB233_24
; %bb.7:
	s_load_dwordx2 s[2:3], s[0:1], 0x28
	s_waitcnt lgkmcnt(0)
	s_ashr_i32 s35, s34, 31
	s_lshl_b64 s[4:5], s[34:35], 3
	v_subrev_co_u32_e32 v2, vcc, s36, v26
	s_add_u32 s2, s2, s4
	s_addc_u32 s3, s3, s5
	s_load_dwordx4 s[4:7], s[2:3], 0x0
	v_subb_co_u32_e64 v3, s[2:3], 0, 0, vcc
	s_waitcnt lgkmcnt(0)
	s_sub_u32 s2, s6, s36
	s_subb_u32 s3, s7, 0
	v_lshl_add_u64 v[14:15], s[4:5], 0, v[2:3]
	v_cmp_gt_i64_e32 vcc, s[2:3], v[14:15]
	s_and_saveexec_b64 s[14:15], vcc
	s_cbranch_execz .LBB233_23
; %bb.8:
	s_load_dwordx2 s[16:17], s[0:1], 0x50
	s_load_dwordx8 s[4:11], s[0:1], 0x30
	v_and_b32_e32 v2, 63, v0
	v_subrev_co_u32_e32 v16, vcc, s37, v2
	s_mov_b32 s35, s37
	s_nop 0
	v_subb_co_u32_e64 v17, s[18:19], 0, 0, vcc
	s_mov_b64 s[18:19], 0
	s_movk_i32 s42, 0x89
	s_branch .LBB233_10
.LBB233_9:                              ;   in Loop: Header=BB233_10 Depth=1
	s_or_b64 exec, exec, s[20:21]
	v_lshl_add_u64 v[14:15], v[14:15], 0, 16
	v_cmp_le_i64_e32 vcc, s[2:3], v[14:15]
	s_or_b64 s[18:19], vcc, s[18:19]
	s_andn2_b64 exec, exec, s[18:19]
	s_cbranch_execz .LBB233_23
.LBB233_10:                             ; =>This Loop Header: Depth=1
                                        ;     Child Loop BB233_14 Depth 2
                                        ;       Child Loop BB233_17 Depth 3
	s_waitcnt lgkmcnt(0)
	v_lshl_add_u64 v[2:3], v[14:15], 2, s[4:5]
	global_load_dword v2, v[2:3], off
	s_waitcnt vmcnt(0)
	v_subrev_u32_e32 v2, s36, v2
	v_ashrrev_i32_e32 v3, 31, v2
	v_lshl_add_u64 v[2:3], v[2:3], 3, s[8:9]
	global_load_dwordx4 v[2:5], v[2:3], off
	s_waitcnt vmcnt(0)
	v_subrev_co_u32_e32 v18, vcc, s35, v4
	s_nop 1
	v_subbrev_co_u32_e32 v19, vcc, 0, v5, vcc
	v_lshl_add_u64 v[20:21], v[2:3], 0, v[16:17]
	v_cmp_lt_i64_e32 vcc, v[20:21], v[18:19]
	s_and_saveexec_b64 s[20:21], vcc
	s_cbranch_execz .LBB233_9
; %bb.11:                               ;   in Loop: Header=BB233_10 Depth=1
	v_lshl_add_u64 v[2:3], v[14:15], 4, s[6:7]
	global_load_dwordx4 v[2:5], v[2:3], off
	s_mov_b64 s[22:23], 0
	s_waitcnt vmcnt(0)
	v_mul_f64 v[22:23], v[4:5], -v[12:13]
	v_mul_f64 v[24:25], v[10:11], v[4:5]
	v_fmac_f64_e32 v[22:23], v[10:11], v[2:3]
	v_fmac_f64_e32 v[24:25], v[12:13], v[2:3]
	s_branch .LBB233_14
.LBB233_12:                             ;   in Loop: Header=BB233_14 Depth=2
	s_or_b64 exec, exec, s[26:27]
.LBB233_13:                             ;   in Loop: Header=BB233_14 Depth=2
	s_or_b64 exec, exec, s[24:25]
	s_waitcnt vmcnt(0)
	v_mul_f64 v[28:29], v[4:5], -v[24:25]
	v_mul_f64 v[4:5], v[22:23], v[4:5]
	v_fmac_f64_e32 v[28:29], v[22:23], v[2:3]
	v_fmac_f64_e32 v[4:5], v[24:25], v[2:3]
	v_lshl_add_u32 v2, v27, 4, 0
	ds_add_f64 v2, v[28:29] offset:32768
	ds_add_f64 v2, v[4:5] offset:32776
	v_lshl_add_u64 v[20:21], v[20:21], 0, 64
	v_cmp_ge_i64_e32 vcc, v[20:21], v[18:19]
	s_or_b64 s[22:23], vcc, s[22:23]
	s_andn2_b64 exec, exec, s[22:23]
	s_cbranch_execz .LBB233_9
.LBB233_14:                             ;   Parent Loop BB233_10 Depth=1
                                        ; =>  This Loop Header: Depth=2
                                        ;       Child Loop BB233_17 Depth 3
	v_lshl_add_u64 v[2:3], v[20:21], 2, s[10:11]
	global_load_dword v27, v[2:3], off
	v_lshl_add_u64 v[2:3], v[20:21], 4, s[16:17]
	global_load_dwordx4 v[2:5], v[2:3], off
	s_waitcnt vmcnt(1)
	v_subrev_u32_e32 v28, s37, v27
	v_mul_lo_u32 v27, v28, s42
	v_and_b32_e32 v27, 0x1fff, v27
	v_lshl_add_u32 v29, v27, 2, 0
	ds_read_b32 v30, v29
	s_waitcnt lgkmcnt(0)
	v_cmp_ne_u32_e32 vcc, v30, v28
	s_and_saveexec_b64 s[24:25], vcc
	s_cbranch_execz .LBB233_13
; %bb.15:                               ;   in Loop: Header=BB233_14 Depth=2
	s_mov_b64 s[26:27], 0
	s_branch .LBB233_17
.LBB233_16:                             ;   in Loop: Header=BB233_17 Depth=3
	s_or_b64 exec, exec, s[40:41]
	s_and_b64 s[28:29], exec, s[30:31]
	s_or_b64 s[26:27], s[28:29], s[26:27]
	s_andn2_b64 exec, exec, s[26:27]
	s_cbranch_execz .LBB233_12
.LBB233_17:                             ;   Parent Loop BB233_10 Depth=1
                                        ;     Parent Loop BB233_14 Depth=2
                                        ; =>    This Inner Loop Header: Depth=3
	v_cmp_ne_u32_e32 vcc, s33, v30
	s_mov_b64 s[28:29], 0
	s_and_saveexec_b64 s[30:31], vcc
	s_xor_b64 s[30:31], exec, s[30:31]
	s_cbranch_execz .LBB233_19
; %bb.18:                               ;   in Loop: Header=BB233_17 Depth=3
	v_add_u32_e32 v27, 1, v27
	s_mov_b64 s[28:29], exec
	v_and_b32_e32 v27, 0x1fff, v27
                                        ; implicit-def: $vgpr29
	s_andn2_saveexec_b64 s[30:31], s[30:31]
	s_cbranch_execz .LBB233_21
	s_branch .LBB233_20
.LBB233_19:                             ;   in Loop: Header=BB233_17 Depth=3
	s_andn2_saveexec_b64 s[30:31], s[30:31]
	s_cbranch_execz .LBB233_21
.LBB233_20:                             ;   in Loop: Header=BB233_17 Depth=3
	v_mov_b32_e32 v30, s33
	ds_cmpst_rtn_b32 v29, v29, v30, v28
	s_andn2_b64 s[28:29], s[28:29], exec
	s_waitcnt lgkmcnt(0)
	v_cmp_ne_u32_e32 vcc, s33, v29
	s_and_b64 s[40:41], vcc, exec
	s_or_b64 s[28:29], s[28:29], s[40:41]
.LBB233_21:                             ;   in Loop: Header=BB233_17 Depth=3
	s_or_b64 exec, exec, s[30:31]
	s_mov_b64 s[30:31], -1
                                        ; implicit-def: $vgpr29
                                        ; implicit-def: $vgpr30
	s_and_saveexec_b64 s[40:41], s[28:29]
	s_cbranch_execz .LBB233_16
; %bb.22:                               ;   in Loop: Header=BB233_17 Depth=3
	v_lshl_add_u32 v29, v27, 2, 0
	ds_read_b32 v30, v29
	s_waitcnt lgkmcnt(0)
	v_cmp_eq_u32_e32 vcc, v30, v28
	s_orn2_b64 s[30:31], vcc, exec
	s_branch .LBB233_16
.LBB233_23:
	s_or_b64 exec, exec, s[14:15]
.LBB233_24:
	s_load_dwordx2 s[36:37], s[0:1], 0x90
	s_load_dwordx2 s[40:41], s[0:1], 0x80
	s_andn2_b64 vcc, exec, s[12:13]
	s_cbranch_vccnz .LBB233_39
; %bb.25:
	s_load_dwordx2 s[2:3], s[0:1], 0x68
	s_waitcnt lgkmcnt(0)
	s_ashr_i32 s35, s34, 31
	s_lshl_b64 s[4:5], s[34:35], 3
	v_subrev_co_u32_e32 v2, vcc, s39, v0
	s_add_u32 s2, s2, s4
	s_addc_u32 s3, s3, s5
	s_load_dwordx4 s[4:7], s[2:3], 0x0
	v_subb_co_u32_e64 v3, s[2:3], 0, 0, vcc
	s_waitcnt lgkmcnt(0)
	s_sub_u32 s2, s6, s39
	s_subb_u32 s3, s7, 0
	s_waitcnt vmcnt(0)
	v_lshl_add_u64 v[10:11], s[4:5], 0, v[2:3]
	v_cmp_gt_i64_e32 vcc, s[2:3], v[10:11]
	s_and_saveexec_b64 s[8:9], vcc
	s_cbranch_execz .LBB233_38
; %bb.26:
	s_load_dwordx4 s[4:7], s[0:1], 0x70
	s_mov_b64 s[0:1], 0
	s_movk_i32 s22, 0x89
	s_mov_b64 s[10:11], 0x400
	s_branch .LBB233_29
.LBB233_27:                             ;   in Loop: Header=BB233_29 Depth=1
	s_or_b64 exec, exec, s[14:15]
.LBB233_28:                             ;   in Loop: Header=BB233_29 Depth=1
	s_or_b64 exec, exec, s[12:13]
	s_waitcnt vmcnt(0)
	v_mul_f64 v[14:15], v[4:5], -v[6:7]
	v_mul_f64 v[4:5], v[8:9], v[4:5]
	v_fmac_f64_e32 v[14:15], v[8:9], v[2:3]
	v_fmac_f64_e32 v[4:5], v[6:7], v[2:3]
	v_lshl_add_u32 v2, v12, 4, 0
	ds_add_f64 v2, v[14:15] offset:32768
	ds_add_f64 v2, v[4:5] offset:32776
	v_lshl_add_u64 v[10:11], v[10:11], 0, s[10:11]
	v_cmp_le_i64_e32 vcc, s[2:3], v[10:11]
	s_or_b64 s[0:1], vcc, s[0:1]
	s_andn2_b64 exec, exec, s[0:1]
	s_cbranch_execz .LBB233_38
.LBB233_29:                             ; =>This Loop Header: Depth=1
                                        ;     Child Loop BB233_32 Depth 2
	s_waitcnt lgkmcnt(0)
	v_lshl_add_u64 v[2:3], v[10:11], 2, s[4:5]
	global_load_dword v12, v[2:3], off
	v_lshl_add_u64 v[2:3], v[10:11], 4, s[6:7]
	global_load_dwordx4 v[2:5], v[2:3], off
	s_waitcnt vmcnt(1)
	v_subrev_u32_e32 v13, s39, v12
	v_mul_lo_u32 v12, v13, s22
	v_and_b32_e32 v12, 0x1fff, v12
	v_lshl_add_u32 v14, v12, 2, 0
	ds_read_b32 v15, v14
	s_waitcnt lgkmcnt(0)
	v_cmp_ne_u32_e32 vcc, v15, v13
	s_and_saveexec_b64 s[12:13], vcc
	s_cbranch_execz .LBB233_28
; %bb.30:                               ;   in Loop: Header=BB233_29 Depth=1
	s_mov_b64 s[14:15], 0
	s_branch .LBB233_32
.LBB233_31:                             ;   in Loop: Header=BB233_32 Depth=2
	s_or_b64 exec, exec, s[20:21]
	s_and_b64 s[16:17], exec, s[18:19]
	s_or_b64 s[14:15], s[16:17], s[14:15]
	s_andn2_b64 exec, exec, s[14:15]
	s_cbranch_execz .LBB233_27
.LBB233_32:                             ;   Parent Loop BB233_29 Depth=1
                                        ; =>  This Inner Loop Header: Depth=2
	v_cmp_ne_u32_e32 vcc, s33, v15
	s_mov_b64 s[16:17], 0
	s_and_saveexec_b64 s[18:19], vcc
	s_xor_b64 s[18:19], exec, s[18:19]
	s_cbranch_execz .LBB233_34
; %bb.33:                               ;   in Loop: Header=BB233_32 Depth=2
	v_add_u32_e32 v12, 1, v12
	s_mov_b64 s[16:17], exec
	v_and_b32_e32 v12, 0x1fff, v12
                                        ; implicit-def: $vgpr14
	s_andn2_saveexec_b64 s[18:19], s[18:19]
	s_cbranch_execz .LBB233_36
	s_branch .LBB233_35
.LBB233_34:                             ;   in Loop: Header=BB233_32 Depth=2
	s_andn2_saveexec_b64 s[18:19], s[18:19]
	s_cbranch_execz .LBB233_36
.LBB233_35:                             ;   in Loop: Header=BB233_32 Depth=2
	v_mov_b32_e32 v15, s33
	ds_cmpst_rtn_b32 v14, v14, v15, v13
	s_andn2_b64 s[16:17], s[16:17], exec
	s_waitcnt lgkmcnt(0)
	v_cmp_ne_u32_e32 vcc, s33, v14
	s_and_b64 s[20:21], vcc, exec
	s_or_b64 s[16:17], s[16:17], s[20:21]
.LBB233_36:                             ;   in Loop: Header=BB233_32 Depth=2
	s_or_b64 exec, exec, s[18:19]
	s_mov_b64 s[18:19], -1
                                        ; implicit-def: $vgpr14
                                        ; implicit-def: $vgpr15
	s_and_saveexec_b64 s[20:21], s[16:17]
	s_cbranch_execz .LBB233_31
; %bb.37:                               ;   in Loop: Header=BB233_32 Depth=2
	v_lshl_add_u32 v14, v12, 2, 0
	ds_read_b32 v15, v14
	s_waitcnt lgkmcnt(0)
	v_cmp_eq_u32_e32 vcc, v15, v13
	s_orn2_b64 s[18:19], vcc, exec
	s_branch .LBB233_31
.LBB233_38:
	s_or_b64 exec, exec, s[8:9]
.LBB233_39:
	v_mbcnt_lo_u32_b32 v2, -1, 0
	v_mbcnt_hi_u32_b32 v2, -1, v2
	v_sub_u32_e32 v2, 63, v2
	s_add_i32 s35, 0, 0x28000
	s_movk_i32 s0, 0x3ff
	s_movk_i32 s2, 0x7f
	;; [unrolled: 1-line block ×15, first 2 shown]
	v_lshl_add_u32 v5, v0, 4, 0
	s_add_i32 s59, 0, 0x2803c
	v_lshrrev_b64 v[2:3], v2, -1
	v_lshl_add_u32 v4, v26, 2, s35
	v_cmp_eq_u32_e32 vcc, s0, v0
	v_cmp_lt_u32_e64 s[0:1], 63, v0
	v_cmp_lt_u32_e64 s[2:3], s2, v0
	;; [unrolled: 1-line block ×15, first 2 shown]
	v_add_u32_e32 v5, 0x8000, v5
	s_waitcnt vmcnt(0)
	v_or_b32_e32 v6, 0xfffffc00, v0
	s_mov_b64 s[42:43], 0
	v_mov_b32_e32 v7, 0
	s_add_i32 s39, 0, 0x28004
	s_add_i32 s46, 0, 0x28008
	;; [unrolled: 1-line block ×14, first 2 shown]
	v_mov_b32_e32 v8, s59
	s_movk_i32 s60, 0x1bff
	s_waitcnt lgkmcnt(0)
	s_barrier
	s_branch .LBB233_41
.LBB233_40:                             ;   in Loop: Header=BB233_41 Depth=1
	s_or_b64 exec, exec, s[30:31]
	s_waitcnt lgkmcnt(0)
	s_barrier
	ds_read_b32 v9, v8
	v_add_u32_e32 v6, 0x400, v6
	v_cmp_lt_u32_e64 s[30:31], s60, v6
	v_add_u32_e32 v5, 0x4000, v5
	s_or_b64 s[42:43], s[30:31], s[42:43]
	s_waitcnt lgkmcnt(0)
	v_add_u32_e32 v7, v9, v7
	v_add_u32_e32 v1, 0x1000, v1
	s_andn2_b64 exec, exec, s[42:43]
	s_cbranch_execz .LBB233_75
.LBB233_41:                             ; =>This Inner Loop Header: Depth=1
	ds_read2_b64 v[12:15], v5 offset1:1
	ds_read_b32 v10, v1
	s_waitcnt lgkmcnt(1)
	scratch_store_dwordx4 off, v[12:15], off
	s_waitcnt lgkmcnt(0)
	v_cmp_gt_i32_e64 s[30:31], s33, v10
	s_bcnt1_i32_b64 s44, s[30:31]
	s_nop 0
	v_and_b32_e32 v11, s30, v2
	v_and_b32_e32 v9, s31, v3
	v_bcnt_u32_b32 v11, v11, 0
	v_bcnt_u32_b32 v9, v9, v11
	v_mov_b32_e32 v11, s44
	s_barrier
	ds_write_b32 v4, v11
	s_waitcnt lgkmcnt(0)
	s_barrier
	s_and_saveexec_b64 s[44:45], s[0:1]
	s_cbranch_execz .LBB233_58
; %bb.42:                               ;   in Loop: Header=BB233_41 Depth=1
	v_mov_b32_e32 v11, s35
	ds_read_b32 v11, v11
	s_waitcnt lgkmcnt(0)
	v_add_u32_e32 v9, v11, v9
	s_or_b64 exec, exec, s[44:45]
	s_and_saveexec_b64 s[44:45], s[2:3]
	s_cbranch_execnz .LBB233_59
.LBB233_43:                             ;   in Loop: Header=BB233_41 Depth=1
	s_or_b64 exec, exec, s[44:45]
	s_and_saveexec_b64 s[44:45], s[4:5]
	s_cbranch_execz .LBB233_60
.LBB233_44:                             ;   in Loop: Header=BB233_41 Depth=1
	v_mov_b32_e32 v11, s46
	ds_read_b32 v11, v11
	s_waitcnt lgkmcnt(0)
	v_add_u32_e32 v9, v11, v9
	s_or_b64 exec, exec, s[44:45]
	s_and_saveexec_b64 s[44:45], s[6:7]
	s_cbranch_execnz .LBB233_61
.LBB233_45:                             ;   in Loop: Header=BB233_41 Depth=1
	s_or_b64 exec, exec, s[44:45]
	s_and_saveexec_b64 s[44:45], s[8:9]
	s_cbranch_execz .LBB233_62
.LBB233_46:                             ;   in Loop: Header=BB233_41 Depth=1
	v_mov_b32_e32 v11, s48
	ds_read_b32 v11, v11
	s_waitcnt lgkmcnt(0)
	v_add_u32_e32 v9, v11, v9
	s_or_b64 exec, exec, s[44:45]
	s_and_saveexec_b64 s[44:45], s[10:11]
	s_cbranch_execnz .LBB233_63
.LBB233_47:                             ;   in Loop: Header=BB233_41 Depth=1
	s_or_b64 exec, exec, s[44:45]
	s_and_saveexec_b64 s[44:45], s[12:13]
	s_cbranch_execz .LBB233_64
.LBB233_48:                             ;   in Loop: Header=BB233_41 Depth=1
	v_mov_b32_e32 v11, s50
	ds_read_b32 v11, v11
	s_waitcnt lgkmcnt(0)
	v_add_u32_e32 v9, v11, v9
	s_or_b64 exec, exec, s[44:45]
	s_and_saveexec_b64 s[44:45], s[14:15]
	s_cbranch_execnz .LBB233_65
.LBB233_49:                             ;   in Loop: Header=BB233_41 Depth=1
	s_or_b64 exec, exec, s[44:45]
	s_and_saveexec_b64 s[44:45], s[16:17]
	s_cbranch_execz .LBB233_66
.LBB233_50:                             ;   in Loop: Header=BB233_41 Depth=1
	v_mov_b32_e32 v11, s52
	ds_read_b32 v11, v11
	s_waitcnt lgkmcnt(0)
	v_add_u32_e32 v9, v11, v9
	s_or_b64 exec, exec, s[44:45]
	s_and_saveexec_b64 s[44:45], s[18:19]
	s_cbranch_execnz .LBB233_67
.LBB233_51:                             ;   in Loop: Header=BB233_41 Depth=1
	s_or_b64 exec, exec, s[44:45]
	s_and_saveexec_b64 s[44:45], s[20:21]
	s_cbranch_execz .LBB233_68
.LBB233_52:                             ;   in Loop: Header=BB233_41 Depth=1
	v_mov_b32_e32 v11, s54
	ds_read_b32 v11, v11
	s_waitcnt lgkmcnt(0)
	v_add_u32_e32 v9, v11, v9
	s_or_b64 exec, exec, s[44:45]
	s_and_saveexec_b64 s[44:45], s[22:23]
	s_cbranch_execnz .LBB233_69
.LBB233_53:                             ;   in Loop: Header=BB233_41 Depth=1
	s_or_b64 exec, exec, s[44:45]
	s_and_saveexec_b64 s[44:45], s[24:25]
	s_cbranch_execz .LBB233_70
.LBB233_54:                             ;   in Loop: Header=BB233_41 Depth=1
	v_mov_b32_e32 v11, s56
	ds_read_b32 v11, v11
	s_waitcnt lgkmcnt(0)
	v_add_u32_e32 v9, v11, v9
	s_or_b64 exec, exec, s[44:45]
	s_and_saveexec_b64 s[44:45], s[26:27]
	s_cbranch_execnz .LBB233_71
.LBB233_55:                             ;   in Loop: Header=BB233_41 Depth=1
	s_or_b64 exec, exec, s[44:45]
	s_and_saveexec_b64 s[44:45], s[28:29]
	s_cbranch_execz .LBB233_72
.LBB233_56:                             ;   in Loop: Header=BB233_41 Depth=1
	v_mov_b32_e32 v11, s58
	ds_read_b32 v11, v11
	s_waitcnt lgkmcnt(0)
	v_add_u32_e32 v9, v11, v9
	s_or_b64 exec, exec, s[44:45]
	s_and_saveexec_b64 s[44:45], s[30:31]
	s_cbranch_execnz .LBB233_73
.LBB233_57:                             ;   in Loop: Header=BB233_41 Depth=1
	s_or_b64 exec, exec, s[44:45]
	s_and_saveexec_b64 s[30:31], vcc
	s_cbranch_execz .LBB233_40
	s_branch .LBB233_74
.LBB233_58:                             ;   in Loop: Header=BB233_41 Depth=1
	s_or_b64 exec, exec, s[44:45]
	s_and_saveexec_b64 s[44:45], s[2:3]
	s_cbranch_execz .LBB233_43
.LBB233_59:                             ;   in Loop: Header=BB233_41 Depth=1
	v_mov_b32_e32 v11, s39
	ds_read_b32 v11, v11
	s_waitcnt lgkmcnt(0)
	v_add_u32_e32 v9, v11, v9
	s_or_b64 exec, exec, s[44:45]
	s_and_saveexec_b64 s[44:45], s[4:5]
	s_cbranch_execnz .LBB233_44
.LBB233_60:                             ;   in Loop: Header=BB233_41 Depth=1
	s_or_b64 exec, exec, s[44:45]
	s_and_saveexec_b64 s[44:45], s[6:7]
	s_cbranch_execz .LBB233_45
.LBB233_61:                             ;   in Loop: Header=BB233_41 Depth=1
	v_mov_b32_e32 v11, s47
	ds_read_b32 v11, v11
	s_waitcnt lgkmcnt(0)
	v_add_u32_e32 v9, v11, v9
	s_or_b64 exec, exec, s[44:45]
	s_and_saveexec_b64 s[44:45], s[8:9]
	s_cbranch_execnz .LBB233_46
.LBB233_62:                             ;   in Loop: Header=BB233_41 Depth=1
	s_or_b64 exec, exec, s[44:45]
	s_and_saveexec_b64 s[44:45], s[10:11]
	s_cbranch_execz .LBB233_47
.LBB233_63:                             ;   in Loop: Header=BB233_41 Depth=1
	v_mov_b32_e32 v11, s49
	ds_read_b32 v11, v11
	s_waitcnt lgkmcnt(0)
	v_add_u32_e32 v9, v11, v9
	s_or_b64 exec, exec, s[44:45]
	s_and_saveexec_b64 s[44:45], s[12:13]
	s_cbranch_execnz .LBB233_48
.LBB233_64:                             ;   in Loop: Header=BB233_41 Depth=1
	s_or_b64 exec, exec, s[44:45]
	s_and_saveexec_b64 s[44:45], s[14:15]
	s_cbranch_execz .LBB233_49
.LBB233_65:                             ;   in Loop: Header=BB233_41 Depth=1
	v_mov_b32_e32 v11, s51
	ds_read_b32 v11, v11
	s_waitcnt lgkmcnt(0)
	v_add_u32_e32 v9, v11, v9
	s_or_b64 exec, exec, s[44:45]
	s_and_saveexec_b64 s[44:45], s[16:17]
	s_cbranch_execnz .LBB233_50
.LBB233_66:                             ;   in Loop: Header=BB233_41 Depth=1
	s_or_b64 exec, exec, s[44:45]
	s_and_saveexec_b64 s[44:45], s[18:19]
	s_cbranch_execz .LBB233_51
.LBB233_67:                             ;   in Loop: Header=BB233_41 Depth=1
	v_mov_b32_e32 v11, s53
	ds_read_b32 v11, v11
	s_waitcnt lgkmcnt(0)
	v_add_u32_e32 v9, v11, v9
	s_or_b64 exec, exec, s[44:45]
	s_and_saveexec_b64 s[44:45], s[20:21]
	s_cbranch_execnz .LBB233_52
.LBB233_68:                             ;   in Loop: Header=BB233_41 Depth=1
	s_or_b64 exec, exec, s[44:45]
	s_and_saveexec_b64 s[44:45], s[22:23]
	s_cbranch_execz .LBB233_53
.LBB233_69:                             ;   in Loop: Header=BB233_41 Depth=1
	v_mov_b32_e32 v11, s55
	ds_read_b32 v11, v11
	s_waitcnt lgkmcnt(0)
	v_add_u32_e32 v9, v11, v9
	s_or_b64 exec, exec, s[44:45]
	s_and_saveexec_b64 s[44:45], s[24:25]
	s_cbranch_execnz .LBB233_54
.LBB233_70:                             ;   in Loop: Header=BB233_41 Depth=1
	s_or_b64 exec, exec, s[44:45]
	s_and_saveexec_b64 s[44:45], s[26:27]
	s_cbranch_execz .LBB233_55
.LBB233_71:                             ;   in Loop: Header=BB233_41 Depth=1
	v_mov_b32_e32 v11, s57
	ds_read_b32 v11, v11
	s_waitcnt lgkmcnt(0)
	v_add_u32_e32 v9, v11, v9
	s_or_b64 exec, exec, s[44:45]
	s_and_saveexec_b64 s[44:45], s[28:29]
	s_cbranch_execnz .LBB233_56
.LBB233_72:                             ;   in Loop: Header=BB233_41 Depth=1
	s_or_b64 exec, exec, s[44:45]
	s_and_saveexec_b64 s[44:45], s[30:31]
	s_cbranch_execz .LBB233_57
.LBB233_73:                             ;   in Loop: Header=BB233_41 Depth=1
	scratch_load_dwordx4 v[12:15], off, off
	v_add3_u32 v11, v7, -1, v9
	v_add_u32_e32 v16, v7, v9
	v_lshl_add_u32 v11, v11, 2, 0
	v_lshl_add_u32 v16, v16, 4, 0
	v_add_u32_e32 v16, 0x7ff0, v16
	ds_write_b32 v11, v10
	s_waitcnt vmcnt(0)
	ds_write2_b64 v16, v[12:13], v[14:15] offset1:1
	s_or_b64 exec, exec, s[44:45]
	s_and_saveexec_b64 s[30:31], vcc
	s_cbranch_execz .LBB233_40
.LBB233_74:                             ;   in Loop: Header=BB233_41 Depth=1
	v_mov_b32_e32 v10, s59
	ds_write_b32 v10, v9
	s_branch .LBB233_40
.LBB233_75:
	s_or_b64 exec, exec, s[42:43]
	s_ashr_i32 s35, s34, 31
	s_lshl_b64 s[0:1], s[34:35], 3
	s_add_u32 s4, s40, s0
	s_addc_u32 s5, s41, s1
	s_load_dwordx4 s[0:3], s[4:5], 0x0
	s_waitcnt lgkmcnt(0)
	s_sub_i32 s8, s2, s0
	v_cmp_gt_i32_e32 vcc, s8, v0
	s_and_saveexec_b64 s[4:5], vcc
	s_cbranch_execz .LBB233_85
; %bb.76:
	s_sub_u32 s4, s0, s38
	s_subb_u32 s5, s1, 0
	s_and_b32 s10, s8, 7
	s_sub_i32 s0, s0, s2
	s_cmp_lt_u32 s0, -7
	s_cselect_b64 s[0:1], -1, 0
	s_and_b32 s11, s8, -8
	s_cmp_lg_u32 s10, 0
	v_cndmask_b32_e64 v1, 0, 1, s[0:1]
	s_cselect_b64 s[2:3], -1, 0
	v_cmp_ne_u32_e64 s[0:1], 1, v1
	v_cndmask_b32_e64 v1, 0, 1, s[2:3]
	s_mov_b32 s9, 0
	s_mov_b64 s[6:7], 0
	v_cmp_ne_u32_e64 s[2:3], 1, v1
	s_mov_b32 s12, 0x8000
	s_branch .LBB233_78
.LBB233_77:                             ;   in Loop: Header=BB233_78 Depth=1
	s_waitcnt lgkmcnt(0)
	v_mul_lo_u32 v4, v0, 12
	v_add3_u32 v1, v1, v4, s12
	ds_read2_b64 v[4:7], v1 offset1:1
	v_add_u32_e32 v0, 0x400, v0
	v_cmp_le_i32_e32 vcc, s8, v0
	v_lshl_add_u64 v[2:3], v[2:3], 4, s[36:37]
	s_or_b64 s[6:7], vcc, s[6:7]
	s_waitcnt lgkmcnt(0)
	global_store_dwordx4 v[2:3], v[4:7], off
	s_andn2_b64 exec, exec, s[6:7]
	s_cbranch_execz .LBB233_85
.LBB233_78:                             ; =>This Loop Header: Depth=1
                                        ;     Child Loop BB233_80 Depth 2
                                        ;     Child Loop BB233_84 Depth 2
	v_lshl_add_u32 v1, v0, 2, 0
	ds_read_b32 v4, v1
	s_and_b64 vcc, exec, s[0:1]
	v_mov_b64_e32 v[2:3], s[4:5]
	s_mov_b32 s13, 0
	s_cbranch_vccnz .LBB233_82
; %bb.79:                               ;   in Loop: Header=BB233_78 Depth=1
	s_mov_b32 s14, 0
	v_mov_b64_e32 v[2:3], s[4:5]
.LBB233_80:                             ;   Parent Loop BB233_78 Depth=1
                                        ; =>  This Inner Loop Header: Depth=2
	v_mov_b32_e32 v5, s14
	ds_read2_b32 v[22:23], v5 offset1:1
	ds_read2_b32 v[24:25], v5 offset0:2 offset1:3
	ds_read2_b32 v[26:27], v5 offset0:4 offset1:5
	ds_read2_b32 v[28:29], v5 offset0:6 offset1:7
	v_mov_b32_e32 v7, s9
	s_waitcnt lgkmcnt(3)
	v_cmp_gt_i32_e32 vcc, v4, v22
	v_mov_b32_e32 v9, s9
	v_mov_b32_e32 v11, s9
	v_cndmask_b32_e64 v6, 0, 1, vcc
	v_cmp_gt_i32_e32 vcc, v4, v23
	v_lshl_add_u64 v[2:3], v[2:3], 0, v[6:7]
	v_mov_b32_e32 v13, s9
	v_cndmask_b32_e64 v8, 0, 1, vcc
	s_waitcnt lgkmcnt(2)
	v_cmp_gt_i32_e32 vcc, v4, v24
	v_lshl_add_u64 v[2:3], v[2:3], 0, v[8:9]
	v_mov_b32_e32 v15, s9
	v_cndmask_b32_e64 v10, 0, 1, vcc
	v_cmp_gt_i32_e32 vcc, v4, v25
	v_lshl_add_u64 v[2:3], v[2:3], 0, v[10:11]
	v_mov_b32_e32 v17, s9
	v_cndmask_b32_e64 v12, 0, 1, vcc
	s_waitcnt lgkmcnt(1)
	v_cmp_gt_i32_e32 vcc, v4, v26
	v_lshl_add_u64 v[2:3], v[2:3], 0, v[12:13]
	;; [unrolled: 9-line block ×3, first 2 shown]
	s_add_i32 s13, s13, 8
	v_cndmask_b32_e64 v18, 0, 1, vcc
	v_cmp_gt_i32_e32 vcc, v4, v29
	s_add_i32 s14, s14, 32
	v_lshl_add_u64 v[2:3], v[2:3], 0, v[18:19]
	v_cndmask_b32_e64 v20, 0, 1, vcc
	s_cmp_eq_u32 s11, s13
	v_lshl_add_u64 v[2:3], v[2:3], 0, v[20:21]
	s_cbranch_scc0 .LBB233_80
; %bb.81:                               ;   in Loop: Header=BB233_78 Depth=1
	s_mov_b32 s13, s11
.LBB233_82:                             ;   in Loop: Header=BB233_78 Depth=1
	s_and_b64 vcc, exec, s[2:3]
	s_cbranch_vccnz .LBB233_77
; %bb.83:                               ;   in Loop: Header=BB233_78 Depth=1
	s_lshl_b32 s13, s13, 2
	s_add_i32 s13, s13, 0
	s_mov_b32 s14, s10
.LBB233_84:                             ;   Parent Loop BB233_78 Depth=1
                                        ; =>  This Inner Loop Header: Depth=2
	v_mov_b32_e32 v5, s13
	ds_read_b32 v5, v5
	v_mov_b32_e32 v7, s9
	s_add_i32 s13, s13, 4
	s_add_i32 s14, s14, -1
	s_cmp_lg_u32 s14, 0
	s_waitcnt lgkmcnt(0)
	v_cmp_gt_i32_e32 vcc, v4, v5
	s_nop 1
	v_cndmask_b32_e64 v6, 0, 1, vcc
	v_lshl_add_u64 v[2:3], v[2:3], 0, v[6:7]
	s_cbranch_scc1 .LBB233_84
	s_branch .LBB233_77
.LBB233_85:
	s_endpgm
	.section	.rodata,"a",@progbits
	.p2align	6, 0x0
	.amdhsa_kernel _ZN9rocsparseL41csrgemm_numeric_fill_block_per_row_kernelILj1024ELj64ELj8192ELj137ELj64Eli21rocsparse_complex_numIdEEEvT5_PKS3_S5_NS_24const_host_device_scalarIT6_EEPKT4_S5_PKS7_SB_S5_SD_S8_SB_S5_SD_SB_S5_PS7_21rocsparse_index_base_SF_SF_SF_bbb
		.amdhsa_group_segment_fixed_size 0
		.amdhsa_private_segment_fixed_size 40
		.amdhsa_kernarg_size 172
		.amdhsa_user_sgpr_count 2
		.amdhsa_user_sgpr_dispatch_ptr 0
		.amdhsa_user_sgpr_queue_ptr 0
		.amdhsa_user_sgpr_kernarg_segment_ptr 1
		.amdhsa_user_sgpr_dispatch_id 0
		.amdhsa_user_sgpr_kernarg_preload_length 0
		.amdhsa_user_sgpr_kernarg_preload_offset 0
		.amdhsa_user_sgpr_private_segment_size 0
		.amdhsa_uses_dynamic_stack 0
		.amdhsa_enable_private_segment 1
		.amdhsa_system_sgpr_workgroup_id_x 1
		.amdhsa_system_sgpr_workgroup_id_y 0
		.amdhsa_system_sgpr_workgroup_id_z 0
		.amdhsa_system_sgpr_workgroup_info 0
		.amdhsa_system_vgpr_workitem_id 0
		.amdhsa_next_free_vgpr 31
		.amdhsa_next_free_sgpr 61
		.amdhsa_accum_offset 32
		.amdhsa_reserve_vcc 1
		.amdhsa_float_round_mode_32 0
		.amdhsa_float_round_mode_16_64 0
		.amdhsa_float_denorm_mode_32 3
		.amdhsa_float_denorm_mode_16_64 3
		.amdhsa_dx10_clamp 1
		.amdhsa_ieee_mode 1
		.amdhsa_fp16_overflow 0
		.amdhsa_tg_split 0
		.amdhsa_exception_fp_ieee_invalid_op 0
		.amdhsa_exception_fp_denorm_src 0
		.amdhsa_exception_fp_ieee_div_zero 0
		.amdhsa_exception_fp_ieee_overflow 0
		.amdhsa_exception_fp_ieee_underflow 0
		.amdhsa_exception_fp_ieee_inexact 0
		.amdhsa_exception_int_div_zero 0
	.end_amdhsa_kernel
	.section	.text._ZN9rocsparseL41csrgemm_numeric_fill_block_per_row_kernelILj1024ELj64ELj8192ELj137ELj64Eli21rocsparse_complex_numIdEEEvT5_PKS3_S5_NS_24const_host_device_scalarIT6_EEPKT4_S5_PKS7_SB_S5_SD_S8_SB_S5_SD_SB_S5_PS7_21rocsparse_index_base_SF_SF_SF_bbb,"axG",@progbits,_ZN9rocsparseL41csrgemm_numeric_fill_block_per_row_kernelILj1024ELj64ELj8192ELj137ELj64Eli21rocsparse_complex_numIdEEEvT5_PKS3_S5_NS_24const_host_device_scalarIT6_EEPKT4_S5_PKS7_SB_S5_SD_S8_SB_S5_SD_SB_S5_PS7_21rocsparse_index_base_SF_SF_SF_bbb,comdat
.Lfunc_end233:
	.size	_ZN9rocsparseL41csrgemm_numeric_fill_block_per_row_kernelILj1024ELj64ELj8192ELj137ELj64Eli21rocsparse_complex_numIdEEEvT5_PKS3_S5_NS_24const_host_device_scalarIT6_EEPKT4_S5_PKS7_SB_S5_SD_S8_SB_S5_SD_SB_S5_PS7_21rocsparse_index_base_SF_SF_SF_bbb, .Lfunc_end233-_ZN9rocsparseL41csrgemm_numeric_fill_block_per_row_kernelILj1024ELj64ELj8192ELj137ELj64Eli21rocsparse_complex_numIdEEEvT5_PKS3_S5_NS_24const_host_device_scalarIT6_EEPKT4_S5_PKS7_SB_S5_SD_S8_SB_S5_SD_SB_S5_PS7_21rocsparse_index_base_SF_SF_SF_bbb
                                        ; -- End function
	.set _ZN9rocsparseL41csrgemm_numeric_fill_block_per_row_kernelILj1024ELj64ELj8192ELj137ELj64Eli21rocsparse_complex_numIdEEEvT5_PKS3_S5_NS_24const_host_device_scalarIT6_EEPKT4_S5_PKS7_SB_S5_SD_S8_SB_S5_SD_SB_S5_PS7_21rocsparse_index_base_SF_SF_SF_bbb.num_vgpr, 31
	.set _ZN9rocsparseL41csrgemm_numeric_fill_block_per_row_kernelILj1024ELj64ELj8192ELj137ELj64Eli21rocsparse_complex_numIdEEEvT5_PKS3_S5_NS_24const_host_device_scalarIT6_EEPKT4_S5_PKS7_SB_S5_SD_S8_SB_S5_SD_SB_S5_PS7_21rocsparse_index_base_SF_SF_SF_bbb.num_agpr, 0
	.set _ZN9rocsparseL41csrgemm_numeric_fill_block_per_row_kernelILj1024ELj64ELj8192ELj137ELj64Eli21rocsparse_complex_numIdEEEvT5_PKS3_S5_NS_24const_host_device_scalarIT6_EEPKT4_S5_PKS7_SB_S5_SD_S8_SB_S5_SD_SB_S5_PS7_21rocsparse_index_base_SF_SF_SF_bbb.numbered_sgpr, 61
	.set _ZN9rocsparseL41csrgemm_numeric_fill_block_per_row_kernelILj1024ELj64ELj8192ELj137ELj64Eli21rocsparse_complex_numIdEEEvT5_PKS3_S5_NS_24const_host_device_scalarIT6_EEPKT4_S5_PKS7_SB_S5_SD_S8_SB_S5_SD_SB_S5_PS7_21rocsparse_index_base_SF_SF_SF_bbb.num_named_barrier, 0
	.set _ZN9rocsparseL41csrgemm_numeric_fill_block_per_row_kernelILj1024ELj64ELj8192ELj137ELj64Eli21rocsparse_complex_numIdEEEvT5_PKS3_S5_NS_24const_host_device_scalarIT6_EEPKT4_S5_PKS7_SB_S5_SD_S8_SB_S5_SD_SB_S5_PS7_21rocsparse_index_base_SF_SF_SF_bbb.private_seg_size, 40
	.set _ZN9rocsparseL41csrgemm_numeric_fill_block_per_row_kernelILj1024ELj64ELj8192ELj137ELj64Eli21rocsparse_complex_numIdEEEvT5_PKS3_S5_NS_24const_host_device_scalarIT6_EEPKT4_S5_PKS7_SB_S5_SD_S8_SB_S5_SD_SB_S5_PS7_21rocsparse_index_base_SF_SF_SF_bbb.uses_vcc, 1
	.set _ZN9rocsparseL41csrgemm_numeric_fill_block_per_row_kernelILj1024ELj64ELj8192ELj137ELj64Eli21rocsparse_complex_numIdEEEvT5_PKS3_S5_NS_24const_host_device_scalarIT6_EEPKT4_S5_PKS7_SB_S5_SD_S8_SB_S5_SD_SB_S5_PS7_21rocsparse_index_base_SF_SF_SF_bbb.uses_flat_scratch, 0
	.set _ZN9rocsparseL41csrgemm_numeric_fill_block_per_row_kernelILj1024ELj64ELj8192ELj137ELj64Eli21rocsparse_complex_numIdEEEvT5_PKS3_S5_NS_24const_host_device_scalarIT6_EEPKT4_S5_PKS7_SB_S5_SD_S8_SB_S5_SD_SB_S5_PS7_21rocsparse_index_base_SF_SF_SF_bbb.has_dyn_sized_stack, 0
	.set _ZN9rocsparseL41csrgemm_numeric_fill_block_per_row_kernelILj1024ELj64ELj8192ELj137ELj64Eli21rocsparse_complex_numIdEEEvT5_PKS3_S5_NS_24const_host_device_scalarIT6_EEPKT4_S5_PKS7_SB_S5_SD_S8_SB_S5_SD_SB_S5_PS7_21rocsparse_index_base_SF_SF_SF_bbb.has_recursion, 0
	.set _ZN9rocsparseL41csrgemm_numeric_fill_block_per_row_kernelILj1024ELj64ELj8192ELj137ELj64Eli21rocsparse_complex_numIdEEEvT5_PKS3_S5_NS_24const_host_device_scalarIT6_EEPKT4_S5_PKS7_SB_S5_SD_S8_SB_S5_SD_SB_S5_PS7_21rocsparse_index_base_SF_SF_SF_bbb.has_indirect_call, 0
	.section	.AMDGPU.csdata,"",@progbits
; Kernel info:
; codeLenInByte = 3672
; TotalNumSgprs: 67
; NumVgprs: 31
; NumAgprs: 0
; TotalNumVgprs: 31
; ScratchSize: 40
; MemoryBound: 0
; FloatMode: 240
; IeeeMode: 1
; LDSByteSize: 0 bytes/workgroup (compile time only)
; SGPRBlocks: 8
; VGPRBlocks: 3
; NumSGPRsForWavesPerEU: 67
; NumVGPRsForWavesPerEU: 31
; AccumOffset: 32
; Occupancy: 8
; WaveLimiterHint : 1
; COMPUTE_PGM_RSRC2:SCRATCH_EN: 1
; COMPUTE_PGM_RSRC2:USER_SGPR: 2
; COMPUTE_PGM_RSRC2:TRAP_HANDLER: 0
; COMPUTE_PGM_RSRC2:TGID_X_EN: 1
; COMPUTE_PGM_RSRC2:TGID_Y_EN: 0
; COMPUTE_PGM_RSRC2:TGID_Z_EN: 0
; COMPUTE_PGM_RSRC2:TIDIG_COMP_CNT: 0
; COMPUTE_PGM_RSRC3_GFX90A:ACCUM_OFFSET: 7
; COMPUTE_PGM_RSRC3_GFX90A:TG_SPLIT: 0
	.section	.text._ZN9rocsparseL41csrgemm_numeric_fill_block_per_row_kernelILj1024ELj64ELj16384ELj137ELj32Eli21rocsparse_complex_numIdEEEvT5_PKS3_S5_NS_24const_host_device_scalarIT6_EEPKT4_S5_PKS7_SB_S5_SD_S8_SB_S5_SD_SB_S5_PS7_21rocsparse_index_base_SF_SF_SF_bbb,"axG",@progbits,_ZN9rocsparseL41csrgemm_numeric_fill_block_per_row_kernelILj1024ELj64ELj16384ELj137ELj32Eli21rocsparse_complex_numIdEEEvT5_PKS3_S5_NS_24const_host_device_scalarIT6_EEPKT4_S5_PKS7_SB_S5_SD_S8_SB_S5_SD_SB_S5_PS7_21rocsparse_index_base_SF_SF_SF_bbb,comdat
	.globl	_ZN9rocsparseL41csrgemm_numeric_fill_block_per_row_kernelILj1024ELj64ELj16384ELj137ELj32Eli21rocsparse_complex_numIdEEEvT5_PKS3_S5_NS_24const_host_device_scalarIT6_EEPKT4_S5_PKS7_SB_S5_SD_S8_SB_S5_SD_SB_S5_PS7_21rocsparse_index_base_SF_SF_SF_bbb ; -- Begin function _ZN9rocsparseL41csrgemm_numeric_fill_block_per_row_kernelILj1024ELj64ELj16384ELj137ELj32Eli21rocsparse_complex_numIdEEEvT5_PKS3_S5_NS_24const_host_device_scalarIT6_EEPKT4_S5_PKS7_SB_S5_SD_S8_SB_S5_SD_SB_S5_PS7_21rocsparse_index_base_SF_SF_SF_bbb
	.p2align	8
	.type	_ZN9rocsparseL41csrgemm_numeric_fill_block_per_row_kernelILj1024ELj64ELj16384ELj137ELj32Eli21rocsparse_complex_numIdEEEvT5_PKS3_S5_NS_24const_host_device_scalarIT6_EEPKT4_S5_PKS7_SB_S5_SD_S8_SB_S5_SD_SB_S5_PS7_21rocsparse_index_base_SF_SF_SF_bbb,@function
_ZN9rocsparseL41csrgemm_numeric_fill_block_per_row_kernelILj1024ELj64ELj16384ELj137ELj32Eli21rocsparse_complex_numIdEEEvT5_PKS3_S5_NS_24const_host_device_scalarIT6_EEPKT4_S5_PKS7_SB_S5_SD_S8_SB_S5_SD_SB_S5_PS7_21rocsparse_index_base_SF_SF_SF_bbb: ; @_ZN9rocsparseL41csrgemm_numeric_fill_block_per_row_kernelILj1024ELj64ELj16384ELj137ELj32Eli21rocsparse_complex_numIdEEEvT5_PKS3_S5_NS_24const_host_device_scalarIT6_EEPKT4_S5_PKS7_SB_S5_SD_S8_SB_S5_SD_SB_S5_PS7_21rocsparse_index_base_SF_SF_SF_bbb
; %bb.0:
	s_load_dword s3, s[0:1], 0xa8
	s_load_dwordx4 s[68:71], s[0:1], 0x98
	s_load_dwordx4 s[8:11], s[0:1], 0x18
	;; [unrolled: 1-line block ×3, first 2 shown]
	v_mov_b64_e32 v[6:7], 0
	s_waitcnt lgkmcnt(0)
	s_bitcmp1_b32 s3, 0
	s_cselect_b64 s[28:29], -1, 0
	s_bitcmp1_b32 s3, 16
	s_cselect_b64 s[30:31], -1, 0
	s_xor_b64 s[4:5], s[30:31], -1
	v_mov_b64_e32 v[2:3], s[8:9]
	v_cndmask_b32_e64 v1, 0, 1, s[4:5]
	scratch_store_dwordx2 off, v[2:3], off offset:16
	v_mov_b64_e32 v[2:3], s[24:25]
	s_bitcmp0_b32 s3, 0
	v_cmp_ne_u32_e64 s[4:5], 1, v1
	v_mov_b64_e32 v[10:11], 0
	v_mov_b64_e32 v[12:13], 0
	scratch_store_dwordx2 off, v[2:3], off offset:24
	s_cbranch_scc1 .LBB234_3
; %bb.1:
	s_mov_b64 s[6:7], src_private_base
	s_and_b64 s[12:13], s[30:31], exec
	s_cselect_b32 s6, s7, s9
	s_cselect_b32 s7, 16, s8
	v_mov_b32_e32 v2, s7
	v_mov_b32_e32 v3, s6
	flat_load_dwordx2 v[10:11], v[2:3]
	s_and_b64 vcc, exec, s[4:5]
	v_mov_b64_e32 v[12:13], s[10:11]
	s_cbranch_vccnz .LBB234_3
; %bb.2:
	v_mov_b64_e32 v[2:3], s[8:9]
	flat_load_dwordx2 v[12:13], v[2:3] offset:8
.LBB234_3:
	s_load_dwordx2 s[6:7], s[0:1], 0x90
	s_load_dwordx8 s[8:15], s[0:1], 0x68
                                        ; implicit-def: $vgpr32 : SGPR spill to VGPR lane
	s_bitcmp1_b32 s3, 8
	v_mov_b64_e32 v[8:9], 0
	s_waitcnt lgkmcnt(0)
	v_writelane_b32 v32, s6, 0
	s_nop 1
	v_writelane_b32 v32, s7, 1
	v_writelane_b32 v32, s8, 2
	s_cselect_b64 s[6:7], -1, 0
	s_bfe_u32 s3, s3, 0x10008
	v_writelane_b32 v32, s9, 3
	v_writelane_b32 v32, s10, 4
	;; [unrolled: 1-line block ×7, first 2 shown]
	s_load_dwordx4 s[16:19], s[0:1], 0x48
	s_load_dwordx4 s[20:23], s[0:1], 0x8
	s_load_dwordx8 s[8:15], s[0:1], 0x28
	s_cmp_eq_u32 s3, 0
	s_cbranch_scc1 .LBB234_6
; %bb.4:
	s_mov_b64 s[34:35], src_private_base
	s_and_b64 s[30:31], s[30:31], exec
	s_cselect_b32 s3, s35, s25
	s_cselect_b32 s30, 24, s24
	v_mov_b32_e32 v2, s30
	v_mov_b32_e32 v3, s3
	flat_load_dwordx2 v[8:9], v[2:3]
	s_and_b64 vcc, exec, s[4:5]
	v_mov_b64_e32 v[6:7], s[26:27]
	s_cbranch_vccnz .LBB234_6
; %bb.5:
	v_mov_b64_e32 v[2:3], s[24:25]
	flat_load_dwordx2 v[6:7], v[2:3] offset:8
.LBB234_6:
	s_load_dword s33, s[0:1], 0x0
	v_lshlrev_b32_e32 v2, 4, v0
	s_mov_b32 s4, 0
	v_or_b32_e32 v1, 0xfffffc00, v0
	v_add_u32_e32 v27, 0, v2
	v_lshl_add_u32 v26, v0, 2, 0
	s_mov_b32 s5, s4
	s_mov_b32 s24, s4
	;; [unrolled: 1-line block ×3, first 2 shown]
	v_add_u32_e32 v14, 0x10008, v27
	s_mov_b64 s[0:1], 0
	s_waitcnt lgkmcnt(0)
	v_mov_b32_e32 v17, s33
	v_mov_b64_e32 v[2:3], s[4:5]
	v_mov_b64_e32 v[4:5], s[24:25]
	s_movk_i32 s3, 0x3bff
	v_mov_b32_e32 v15, v26
	v_mov_b32_e32 v16, v1
.LBB234_7:                              ; =>This Inner Loop Header: Depth=1
	v_add_u32_e32 v16, 0x400, v16
	v_cmp_lt_u32_e32 vcc, s3, v16
	ds_write_b32 v15, v17
	v_add_u32_e32 v18, -8, v14
	v_add_u32_e32 v14, 0x4000, v14
	v_add_u32_e32 v15, 0x1000, v15
	s_or_b64 s[0:1], vcc, s[0:1]
	ds_write2_b64 v18, v[2:3], v[4:5] offset1:1
	s_andn2_b64 exec, exec, s[0:1]
	s_cbranch_execnz .LBB234_7
; %bb.8:
	s_or_b64 exec, exec, s[0:1]
	s_waitcnt lgkmcnt(0)
	s_barrier
	s_load_dword s0, s[20:21], 0x0
	s_mov_b32 s1, 0
	s_waitcnt lgkmcnt(0)
	s_add_i32 s0, s0, s2
	s_lshl_b64 s[0:1], s[0:1], 2
	s_add_u32 s0, s22, s0
	s_addc_u32 s1, s23, s1
	s_load_dword s0, s[0:1], 0x0
	s_and_b64 vcc, exec, s[28:29]
	s_waitcnt lgkmcnt(0)
	v_writelane_b32 v32, s0, 10
	s_nop 1
	v_writelane_b32 v32, s1, 11
	s_cbranch_vccz .LBB234_26
; %bb.9:
	v_readlane_b32 s0, v32, 10
	v_readlane_b32 s1, v32, 11
	s_mov_b32 s2, s0
	s_ashr_i32 s3, s0, 31
	v_writelane_b32 v32, s0, 10
	v_lshrrev_b32_e32 v2, 6, v0
	v_subrev_co_u32_e32 v2, vcc, s68, v2
	v_writelane_b32 v32, s1, 11
	s_lshl_b64 s[0:1], s[2:3], 3
	s_add_u32 s0, s8, s0
	s_addc_u32 s1, s9, s1
	s_load_dwordx4 s[20:23], s[0:1], 0x0
	v_subb_co_u32_e64 v3, s[2:3], 0, 0, vcc
	s_waitcnt lgkmcnt(0)
	s_sub_u32 s0, s22, s68
	s_subb_u32 s1, s23, 0
	v_lshl_add_u64 v[14:15], s[20:21], 0, v[2:3]
	v_cmp_gt_i64_e32 vcc, s[0:1], v[14:15]
	s_and_saveexec_b64 s[2:3], vcc
	s_cbranch_execz .LBB234_25
; %bb.10:
	v_and_b32_e32 v2, 63, v0
	v_subrev_co_u32_e32 v16, vcc, s69, v2
	s_mov_b32 s34, s69
	s_nop 0
	v_subb_co_u32_e64 v17, s[4:5], 0, 0, vcc
	s_mov_b64 s[4:5], 0
	s_movk_i32 s35, 0x89
	s_branch .LBB234_12
.LBB234_11:                             ;   in Loop: Header=BB234_12 Depth=1
	s_or_b64 exec, exec, s[8:9]
	v_lshl_add_u64 v[14:15], v[14:15], 0, 16
	v_cmp_le_i64_e32 vcc, s[0:1], v[14:15]
	s_or_b64 s[4:5], vcc, s[4:5]
	s_andn2_b64 exec, exec, s[4:5]
	s_cbranch_execz .LBB234_25
.LBB234_12:                             ; =>This Loop Header: Depth=1
                                        ;     Child Loop BB234_16 Depth 2
                                        ;       Child Loop BB234_19 Depth 3
	v_lshl_add_u64 v[2:3], v[14:15], 2, s[10:11]
	global_load_dword v2, v[2:3], off
	s_waitcnt vmcnt(0)
	v_subrev_u32_e32 v2, s68, v2
	v_ashrrev_i32_e32 v3, 31, v2
	v_lshl_add_u64 v[2:3], v[2:3], 3, s[14:15]
	global_load_dwordx4 v[2:5], v[2:3], off
	s_waitcnt vmcnt(0)
	v_subrev_co_u32_e32 v18, vcc, s34, v4
	s_nop 1
	v_subbrev_co_u32_e32 v19, vcc, 0, v5, vcc
	v_lshl_add_u64 v[20:21], v[2:3], 0, v[16:17]
	v_cmp_lt_i64_e32 vcc, v[20:21], v[18:19]
	s_and_saveexec_b64 s[8:9], vcc
	s_cbranch_execz .LBB234_11
; %bb.13:                               ;   in Loop: Header=BB234_12 Depth=1
	v_lshl_add_u64 v[2:3], v[14:15], 4, s[12:13]
	global_load_dwordx4 v[2:5], v[2:3], off
	s_mov_b64 s[20:21], 0
	s_waitcnt vmcnt(0)
	v_mul_f64 v[22:23], v[4:5], -v[12:13]
	v_mul_f64 v[24:25], v[10:11], v[4:5]
	v_fmac_f64_e32 v[22:23], v[10:11], v[2:3]
	v_fmac_f64_e32 v[24:25], v[12:13], v[2:3]
	s_branch .LBB234_16
.LBB234_14:                             ;   in Loop: Header=BB234_16 Depth=2
	s_or_b64 exec, exec, s[24:25]
.LBB234_15:                             ;   in Loop: Header=BB234_16 Depth=2
	s_or_b64 exec, exec, s[22:23]
	s_waitcnt vmcnt(0)
	v_mul_f64 v[30:31], v[4:5], -v[24:25]
	v_mul_f64 v[4:5], v[22:23], v[4:5]
	v_fmac_f64_e32 v[30:31], v[22:23], v[2:3]
	v_fmac_f64_e32 v[4:5], v[24:25], v[2:3]
	v_lshl_add_u32 v2, v28, 4, 0
	v_add_u32_e32 v2, 0x10000, v2
	ds_add_f64 v2, v[30:31]
	ds_add_f64 v2, v[4:5] offset:8
	v_lshl_add_u64 v[20:21], v[20:21], 0, 64
	v_cmp_ge_i64_e32 vcc, v[20:21], v[18:19]
	s_or_b64 s[20:21], vcc, s[20:21]
	s_andn2_b64 exec, exec, s[20:21]
	s_cbranch_execz .LBB234_11
.LBB234_16:                             ;   Parent Loop BB234_12 Depth=1
                                        ; =>  This Loop Header: Depth=2
                                        ;       Child Loop BB234_19 Depth 3
	v_lshl_add_u64 v[2:3], v[20:21], 2, s[16:17]
	global_load_dword v28, v[2:3], off
	v_lshl_add_u64 v[2:3], v[20:21], 4, s[18:19]
	global_load_dwordx4 v[2:5], v[2:3], off
	s_waitcnt vmcnt(1)
	v_subrev_u32_e32 v29, s69, v28
	v_mul_lo_u32 v28, v29, s35
	v_and_b32_e32 v28, 0x3fff, v28
	v_lshl_add_u32 v30, v28, 2, 0
	ds_read_b32 v31, v30
	s_waitcnt lgkmcnt(0)
	v_cmp_ne_u32_e32 vcc, v31, v29
	s_and_saveexec_b64 s[22:23], vcc
	s_cbranch_execz .LBB234_15
; %bb.17:                               ;   in Loop: Header=BB234_16 Depth=2
	s_mov_b64 s[24:25], 0
	s_branch .LBB234_19
.LBB234_18:                             ;   in Loop: Header=BB234_19 Depth=3
	s_or_b64 exec, exec, s[30:31]
	s_and_b64 s[26:27], exec, s[28:29]
	s_or_b64 s[24:25], s[26:27], s[24:25]
	s_andn2_b64 exec, exec, s[24:25]
	s_cbranch_execz .LBB234_14
.LBB234_19:                             ;   Parent Loop BB234_12 Depth=1
                                        ;     Parent Loop BB234_16 Depth=2
                                        ; =>    This Inner Loop Header: Depth=3
	v_cmp_ne_u32_e32 vcc, s33, v31
	s_mov_b64 s[26:27], 0
	s_and_saveexec_b64 s[28:29], vcc
	s_xor_b64 s[28:29], exec, s[28:29]
	s_cbranch_execz .LBB234_21
; %bb.20:                               ;   in Loop: Header=BB234_19 Depth=3
	v_add_u32_e32 v28, 1, v28
	s_mov_b64 s[26:27], exec
	v_and_b32_e32 v28, 0x3fff, v28
                                        ; implicit-def: $vgpr30
	s_andn2_saveexec_b64 s[28:29], s[28:29]
	s_cbranch_execz .LBB234_23
	s_branch .LBB234_22
.LBB234_21:                             ;   in Loop: Header=BB234_19 Depth=3
	s_andn2_saveexec_b64 s[28:29], s[28:29]
	s_cbranch_execz .LBB234_23
.LBB234_22:                             ;   in Loop: Header=BB234_19 Depth=3
	v_mov_b32_e32 v31, s33
	ds_cmpst_rtn_b32 v30, v30, v31, v29
	s_andn2_b64 s[26:27], s[26:27], exec
	s_waitcnt lgkmcnt(0)
	v_cmp_ne_u32_e32 vcc, s33, v30
	s_and_b64 s[30:31], vcc, exec
	s_or_b64 s[26:27], s[26:27], s[30:31]
.LBB234_23:                             ;   in Loop: Header=BB234_19 Depth=3
	s_or_b64 exec, exec, s[28:29]
	s_mov_b64 s[28:29], -1
                                        ; implicit-def: $vgpr30
                                        ; implicit-def: $vgpr31
	s_and_saveexec_b64 s[30:31], s[26:27]
	s_cbranch_execz .LBB234_18
; %bb.24:                               ;   in Loop: Header=BB234_19 Depth=3
	v_lshl_add_u32 v30, v28, 2, 0
	ds_read_b32 v31, v30
	s_waitcnt lgkmcnt(0)
	v_cmp_eq_u32_e32 vcc, v31, v29
	s_orn2_b64 s[28:29], vcc, exec
	s_branch .LBB234_18
.LBB234_25:
	s_or_b64 exec, exec, s[2:3]
.LBB234_26:
	s_andn2_b64 vcc, exec, s[6:7]
	s_cbranch_vccnz .LBB234_41
; %bb.27:
	v_readlane_b32 s0, v32, 10
	v_readlane_b32 s1, v32, 11
	s_mov_b32 s2, s0
	s_ashr_i32 s3, s0, 31
	v_writelane_b32 v32, s0, 10
	v_subrev_co_u32_e32 v2, vcc, s71, v0
	s_nop 0
	v_writelane_b32 v32, s1, 11
	s_lshl_b64 s[0:1], s[2:3], 3
	v_readlane_b32 s4, v32, 2
	v_readlane_b32 s5, v32, 3
	s_add_u32 s0, s4, s0
	v_readlane_b32 s6, v32, 4
	v_readlane_b32 s7, v32, 5
	s_addc_u32 s1, s5, s1
	s_load_dwordx4 s[4:7], s[0:1], 0x0
	v_subb_co_u32_e64 v3, s[0:1], 0, 0, vcc
	v_readlane_b32 s8, v32, 6
	v_readlane_b32 s9, v32, 7
	s_waitcnt lgkmcnt(0)
	s_sub_u32 s0, s6, s71
	s_subb_u32 s1, s7, 0
	s_waitcnt vmcnt(0)
	v_lshl_add_u64 v[10:11], s[4:5], 0, v[2:3]
	v_cmp_gt_i64_e32 vcc, s[0:1], v[10:11]
	v_readlane_b32 s10, v32, 8
	v_readlane_b32 s11, v32, 9
	s_and_saveexec_b64 s[2:3], vcc
	s_cbranch_execz .LBB234_40
; %bb.28:
	s_mov_b64 s[4:5], 0
	s_movk_i32 s18, 0x89
	s_mov_b64 s[6:7], 0x400
	s_branch .LBB234_31
.LBB234_29:                             ;   in Loop: Header=BB234_31 Depth=1
	s_or_b64 exec, exec, s[10:11]
.LBB234_30:                             ;   in Loop: Header=BB234_31 Depth=1
	s_or_b64 exec, exec, s[8:9]
	s_waitcnt vmcnt(0)
	v_mul_f64 v[14:15], v[4:5], -v[6:7]
	v_mul_f64 v[4:5], v[8:9], v[4:5]
	v_fmac_f64_e32 v[14:15], v[8:9], v[2:3]
	v_fmac_f64_e32 v[4:5], v[6:7], v[2:3]
	v_lshl_add_u32 v2, v12, 4, 0
	v_add_u32_e32 v2, 0x10000, v2
	ds_add_f64 v2, v[14:15]
	ds_add_f64 v2, v[4:5] offset:8
	v_lshl_add_u64 v[10:11], v[10:11], 0, s[6:7]
	v_cmp_le_i64_e32 vcc, s[0:1], v[10:11]
	s_or_b64 s[4:5], vcc, s[4:5]
	s_andn2_b64 exec, exec, s[4:5]
	s_cbranch_execz .LBB234_40
.LBB234_31:                             ; =>This Loop Header: Depth=1
                                        ;     Child Loop BB234_34 Depth 2
	v_readlane_b32 s8, v32, 2
	v_readlane_b32 s10, v32, 4
	;; [unrolled: 1-line block ×5, first 2 shown]
	v_lshl_add_u64 v[2:3], v[10:11], 2, s[10:11]
	global_load_dword v12, v[2:3], off
	v_lshl_add_u64 v[2:3], v[10:11], 4, s[12:13]
	global_load_dwordx4 v[2:5], v[2:3], off
	v_readlane_b32 s9, v32, 3
	v_readlane_b32 s14, v32, 8
	;; [unrolled: 1-line block ×3, first 2 shown]
	s_waitcnt vmcnt(1)
	v_subrev_u32_e32 v13, s71, v12
	v_mul_lo_u32 v12, v13, s18
	v_and_b32_e32 v12, 0x3fff, v12
	v_lshl_add_u32 v14, v12, 2, 0
	ds_read_b32 v15, v14
	s_waitcnt lgkmcnt(0)
	v_cmp_ne_u32_e32 vcc, v15, v13
	s_and_saveexec_b64 s[8:9], vcc
	s_cbranch_execz .LBB234_30
; %bb.32:                               ;   in Loop: Header=BB234_31 Depth=1
	s_mov_b64 s[10:11], 0
	s_branch .LBB234_34
.LBB234_33:                             ;   in Loop: Header=BB234_34 Depth=2
	s_or_b64 exec, exec, s[16:17]
	s_and_b64 s[12:13], exec, s[14:15]
	s_or_b64 s[10:11], s[12:13], s[10:11]
	s_andn2_b64 exec, exec, s[10:11]
	s_cbranch_execz .LBB234_29
.LBB234_34:                             ;   Parent Loop BB234_31 Depth=1
                                        ; =>  This Inner Loop Header: Depth=2
	v_cmp_ne_u32_e32 vcc, s33, v15
	s_mov_b64 s[12:13], 0
	s_and_saveexec_b64 s[14:15], vcc
	s_xor_b64 s[14:15], exec, s[14:15]
	s_cbranch_execz .LBB234_36
; %bb.35:                               ;   in Loop: Header=BB234_34 Depth=2
	v_add_u32_e32 v12, 1, v12
	s_mov_b64 s[12:13], exec
	v_and_b32_e32 v12, 0x3fff, v12
                                        ; implicit-def: $vgpr14
	s_andn2_saveexec_b64 s[14:15], s[14:15]
	s_cbranch_execz .LBB234_38
	s_branch .LBB234_37
.LBB234_36:                             ;   in Loop: Header=BB234_34 Depth=2
	s_andn2_saveexec_b64 s[14:15], s[14:15]
	s_cbranch_execz .LBB234_38
.LBB234_37:                             ;   in Loop: Header=BB234_34 Depth=2
	v_mov_b32_e32 v15, s33
	ds_cmpst_rtn_b32 v14, v14, v15, v13
	s_andn2_b64 s[12:13], s[12:13], exec
	s_waitcnt lgkmcnt(0)
	v_cmp_ne_u32_e32 vcc, s33, v14
	s_and_b64 s[16:17], vcc, exec
	s_or_b64 s[12:13], s[12:13], s[16:17]
.LBB234_38:                             ;   in Loop: Header=BB234_34 Depth=2
	s_or_b64 exec, exec, s[14:15]
	s_mov_b64 s[14:15], -1
                                        ; implicit-def: $vgpr14
                                        ; implicit-def: $vgpr15
	s_and_saveexec_b64 s[16:17], s[12:13]
	s_cbranch_execz .LBB234_33
; %bb.39:                               ;   in Loop: Header=BB234_34 Depth=2
	v_lshl_add_u32 v14, v12, 2, 0
	ds_read_b32 v15, v14
	s_waitcnt lgkmcnt(0)
	v_cmp_eq_u32_e32 vcc, v15, v13
	s_orn2_b64 s[14:15], vcc, exec
	s_branch .LBB234_33
.LBB234_40:
	s_or_b64 exec, exec, s[2:3]
.LBB234_41:
	s_add_i32 s0, 0, 0x50000
	v_lshrrev_b32_e32 v4, 3, v0
	v_writelane_b32 v32, s0, 12
	s_add_i32 s60, 0, 0x50004
	v_mbcnt_lo_u32_b32 v2, -1, 0
	v_and_b32_e32 v4, 0x7c, v4
	v_writelane_b32 v32, s60, 13
	s_add_i32 s60, 0, 0x50008
	v_mbcnt_hi_u32_b32 v2, -1, v2
	v_add_u32_e32 v4, s0, v4
	s_movk_i32 s0, 0x3ff
	v_writelane_b32 v32, s60, 14
	s_add_i32 s60, 0, 0x5000c
	v_sub_u32_e32 v2, 63, v2
	v_cmp_eq_u32_e32 vcc, s0, v0
	s_movk_i32 s0, 0x5f
	s_movk_i32 s2, 0x7f
	;; [unrolled: 1-line block ×29, first 2 shown]
	v_writelane_b32 v32, s60, 15
	s_add_i32 s60, 0, 0x50014
	v_lshrrev_b64 v[2:3], v2, -1
	v_cmp_lt_u32_e64 s[0:1], s0, v0
	v_cmp_lt_u32_e64 s[2:3], s2, v0
	;; [unrolled: 1-line block ×29, first 2 shown]
	v_add_u32_e32 v5, 0x10000, v27
	s_waitcnt vmcnt(0)
	v_mov_b32_e32 v6, 0
	s_add_i32 s79, 0, 0x50010
	v_writelane_b32 v32, s60, 16
	s_add_i32 s82, 0, 0x50018
	s_add_i32 s83, 0, 0x5001c
	;; [unrolled: 1-line block ×26, first 2 shown]
	v_cmp_lt_u32_e64 s[60:61], 31, v0
	v_cmp_lt_u32_e64 s[62:63], 63, v0
	s_mov_b64 s[68:69], 0
	s_waitcnt lgkmcnt(0)
	s_barrier
	s_branch .LBB234_43
.LBB234_42:                             ;   in Loop: Header=BB234_43 Depth=1
	s_or_b64 exec, exec, s[64:65]
	v_mov_b32_e32 v7, s78
	s_waitcnt lgkmcnt(0)
	s_barrier
	ds_read_b32 v7, v7
	v_add_u32_e32 v1, 0x400, v1
	s_movk_i32 s64, 0x3bff
	v_cmp_lt_u32_e64 s[64:65], s64, v1
	v_add_u32_e32 v5, 0x4000, v5
	s_waitcnt lgkmcnt(0)
	v_add_u32_e32 v6, v7, v6
	s_or_b64 s[68:69], s[64:65], s[68:69]
	v_add_u32_e32 v26, 0x1000, v26
	s_andn2_b64 exec, exec, s[68:69]
	s_cbranch_execz .LBB234_109
.LBB234_43:                             ; =>This Inner Loop Header: Depth=1
	ds_read2_b64 v[10:13], v5 offset1:1
	ds_read_b32 v8, v26
	s_waitcnt lgkmcnt(1)
	scratch_store_dwordx4 off, v[10:13], off
	s_waitcnt lgkmcnt(0)
	v_cmp_gt_i32_e64 s[64:65], s33, v8
	s_bcnt1_i32_b64 s76, s[64:65]
	s_nop 0
	v_and_b32_e32 v9, s64, v2
	v_and_b32_e32 v7, s65, v3
	v_bcnt_u32_b32 v9, v9, 0
	v_bcnt_u32_b32 v7, v7, v9
	v_mov_b32_e32 v9, s76
	s_barrier
	ds_write_b32 v4, v9
	s_waitcnt lgkmcnt(0)
	s_barrier
	s_and_saveexec_b64 s[76:77], s[60:61]
	s_cbranch_execz .LBB234_76
; %bb.44:                               ;   in Loop: Header=BB234_43 Depth=1
	v_readlane_b32 s80, v32, 12
	s_nop 1
	v_mov_b32_e32 v9, s80
	ds_read_b32 v9, v9
	s_waitcnt lgkmcnt(0)
	v_add_u32_e32 v7, v9, v7
	s_or_b64 exec, exec, s[76:77]
	s_and_saveexec_b64 s[76:77], s[62:63]
	s_cbranch_execnz .LBB234_77
.LBB234_45:                             ;   in Loop: Header=BB234_43 Depth=1
	s_or_b64 exec, exec, s[76:77]
	s_and_saveexec_b64 s[76:77], s[0:1]
	s_cbranch_execz .LBB234_78
.LBB234_46:                             ;   in Loop: Header=BB234_43 Depth=1
	v_readlane_b32 s80, v32, 14
	s_nop 1
	v_mov_b32_e32 v9, s80
	ds_read_b32 v9, v9
	s_waitcnt lgkmcnt(0)
	v_add_u32_e32 v7, v9, v7
	s_or_b64 exec, exec, s[76:77]
	s_and_saveexec_b64 s[76:77], s[2:3]
	s_cbranch_execnz .LBB234_79
.LBB234_47:                             ;   in Loop: Header=BB234_43 Depth=1
	s_or_b64 exec, exec, s[76:77]
	s_and_saveexec_b64 s[76:77], s[4:5]
	s_cbranch_execz .LBB234_80
.LBB234_48:                             ;   in Loop: Header=BB234_43 Depth=1
	v_mov_b32_e32 v9, s79
	ds_read_b32 v9, v9
	s_waitcnt lgkmcnt(0)
	v_add_u32_e32 v7, v9, v7
	s_or_b64 exec, exec, s[76:77]
	s_and_saveexec_b64 s[76:77], s[6:7]
	s_cbranch_execnz .LBB234_81
.LBB234_49:                             ;   in Loop: Header=BB234_43 Depth=1
	s_or_b64 exec, exec, s[76:77]
	s_and_saveexec_b64 s[76:77], s[8:9]
	s_cbranch_execz .LBB234_82
.LBB234_50:                             ;   in Loop: Header=BB234_43 Depth=1
	v_mov_b32_e32 v9, s82
	ds_read_b32 v9, v9
	s_waitcnt lgkmcnt(0)
	v_add_u32_e32 v7, v9, v7
	s_or_b64 exec, exec, s[76:77]
	s_and_saveexec_b64 s[76:77], s[10:11]
	s_cbranch_execnz .LBB234_83
.LBB234_51:                             ;   in Loop: Header=BB234_43 Depth=1
	s_or_b64 exec, exec, s[76:77]
	s_and_saveexec_b64 s[76:77], s[12:13]
	s_cbranch_execz .LBB234_84
.LBB234_52:                             ;   in Loop: Header=BB234_43 Depth=1
	v_mov_b32_e32 v9, s84
	ds_read_b32 v9, v9
	s_waitcnt lgkmcnt(0)
	v_add_u32_e32 v7, v9, v7
	s_or_b64 exec, exec, s[76:77]
	s_and_saveexec_b64 s[76:77], s[14:15]
	s_cbranch_execnz .LBB234_85
.LBB234_53:                             ;   in Loop: Header=BB234_43 Depth=1
	s_or_b64 exec, exec, s[76:77]
	s_and_saveexec_b64 s[76:77], s[16:17]
	s_cbranch_execz .LBB234_86
.LBB234_54:                             ;   in Loop: Header=BB234_43 Depth=1
	v_mov_b32_e32 v9, s86
	ds_read_b32 v9, v9
	s_waitcnt lgkmcnt(0)
	v_add_u32_e32 v7, v9, v7
	s_or_b64 exec, exec, s[76:77]
	s_and_saveexec_b64 s[76:77], s[18:19]
	s_cbranch_execnz .LBB234_87
.LBB234_55:                             ;   in Loop: Header=BB234_43 Depth=1
	s_or_b64 exec, exec, s[76:77]
	s_and_saveexec_b64 s[76:77], s[20:21]
	s_cbranch_execz .LBB234_88
.LBB234_56:                             ;   in Loop: Header=BB234_43 Depth=1
	v_mov_b32_e32 v9, s88
	ds_read_b32 v9, v9
	s_waitcnt lgkmcnt(0)
	v_add_u32_e32 v7, v9, v7
	s_or_b64 exec, exec, s[76:77]
	s_and_saveexec_b64 s[76:77], s[22:23]
	s_cbranch_execnz .LBB234_89
.LBB234_57:                             ;   in Loop: Header=BB234_43 Depth=1
	s_or_b64 exec, exec, s[76:77]
	s_and_saveexec_b64 s[76:77], s[24:25]
	s_cbranch_execz .LBB234_90
.LBB234_58:                             ;   in Loop: Header=BB234_43 Depth=1
	v_mov_b32_e32 v9, s90
	ds_read_b32 v9, v9
	s_waitcnt lgkmcnt(0)
	v_add_u32_e32 v7, v9, v7
	s_or_b64 exec, exec, s[76:77]
	s_and_saveexec_b64 s[76:77], s[26:27]
	s_cbranch_execnz .LBB234_91
.LBB234_59:                             ;   in Loop: Header=BB234_43 Depth=1
	s_or_b64 exec, exec, s[76:77]
	s_and_saveexec_b64 s[76:77], s[28:29]
	s_cbranch_execz .LBB234_92
.LBB234_60:                             ;   in Loop: Header=BB234_43 Depth=1
	v_mov_b32_e32 v9, s92
	ds_read_b32 v9, v9
	s_waitcnt lgkmcnt(0)
	v_add_u32_e32 v7, v9, v7
	s_or_b64 exec, exec, s[76:77]
	s_and_saveexec_b64 s[76:77], s[30:31]
	s_cbranch_execnz .LBB234_93
.LBB234_61:                             ;   in Loop: Header=BB234_43 Depth=1
	s_or_b64 exec, exec, s[76:77]
	s_and_saveexec_b64 s[76:77], s[34:35]
	s_cbranch_execz .LBB234_94
.LBB234_62:                             ;   in Loop: Header=BB234_43 Depth=1
	v_mov_b32_e32 v9, s94
	ds_read_b32 v9, v9
	s_waitcnt lgkmcnt(0)
	v_add_u32_e32 v7, v9, v7
	s_or_b64 exec, exec, s[76:77]
	s_and_saveexec_b64 s[76:77], s[36:37]
	s_cbranch_execnz .LBB234_95
.LBB234_63:                             ;   in Loop: Header=BB234_43 Depth=1
	s_or_b64 exec, exec, s[76:77]
	s_and_saveexec_b64 s[76:77], s[38:39]
	s_cbranch_execz .LBB234_96
.LBB234_64:                             ;   in Loop: Header=BB234_43 Depth=1
	v_mov_b32_e32 v9, s96
	ds_read_b32 v9, v9
	s_waitcnt lgkmcnt(0)
	v_add_u32_e32 v7, v9, v7
	s_or_b64 exec, exec, s[76:77]
	s_and_saveexec_b64 s[76:77], s[40:41]
	s_cbranch_execnz .LBB234_97
.LBB234_65:                             ;   in Loop: Header=BB234_43 Depth=1
	s_or_b64 exec, exec, s[76:77]
	s_and_saveexec_b64 s[76:77], s[42:43]
	s_cbranch_execz .LBB234_98
.LBB234_66:                             ;   in Loop: Header=BB234_43 Depth=1
	v_mov_b32_e32 v9, s98
	ds_read_b32 v9, v9
	s_waitcnt lgkmcnt(0)
	v_add_u32_e32 v7, v9, v7
	s_or_b64 exec, exec, s[76:77]
	s_and_saveexec_b64 s[76:77], s[44:45]
	s_cbranch_execnz .LBB234_99
.LBB234_67:                             ;   in Loop: Header=BB234_43 Depth=1
	s_or_b64 exec, exec, s[76:77]
	s_and_saveexec_b64 s[76:77], s[46:47]
	s_cbranch_execz .LBB234_100
.LBB234_68:                             ;   in Loop: Header=BB234_43 Depth=1
	v_mov_b32_e32 v9, s74
	ds_read_b32 v9, v9
	s_waitcnt lgkmcnt(0)
	v_add_u32_e32 v7, v9, v7
	s_or_b64 exec, exec, s[76:77]
	s_and_saveexec_b64 s[76:77], s[48:49]
	s_cbranch_execnz .LBB234_101
.LBB234_69:                             ;   in Loop: Header=BB234_43 Depth=1
	s_or_b64 exec, exec, s[76:77]
	s_and_saveexec_b64 s[76:77], s[50:51]
	s_cbranch_execz .LBB234_102
.LBB234_70:                             ;   in Loop: Header=BB234_43 Depth=1
	v_mov_b32_e32 v9, s73
	ds_read_b32 v9, v9
	s_waitcnt lgkmcnt(0)
	v_add_u32_e32 v7, v9, v7
	s_or_b64 exec, exec, s[76:77]
	s_and_saveexec_b64 s[76:77], s[52:53]
	s_cbranch_execnz .LBB234_103
.LBB234_71:                             ;   in Loop: Header=BB234_43 Depth=1
	s_or_b64 exec, exec, s[76:77]
	s_and_saveexec_b64 s[76:77], s[54:55]
	s_cbranch_execz .LBB234_104
.LBB234_72:                             ;   in Loop: Header=BB234_43 Depth=1
	v_mov_b32_e32 v9, s67
	ds_read_b32 v9, v9
	s_waitcnt lgkmcnt(0)
	v_add_u32_e32 v7, v9, v7
	s_or_b64 exec, exec, s[76:77]
	s_and_saveexec_b64 s[76:77], s[56:57]
	s_cbranch_execnz .LBB234_105
.LBB234_73:                             ;   in Loop: Header=BB234_43 Depth=1
	s_or_b64 exec, exec, s[76:77]
	s_and_saveexec_b64 s[76:77], s[58:59]
	s_cbranch_execz .LBB234_106
.LBB234_74:                             ;   in Loop: Header=BB234_43 Depth=1
	v_mov_b32_e32 v9, s75
	ds_read_b32 v9, v9
	s_waitcnt lgkmcnt(0)
	v_add_u32_e32 v7, v9, v7
	s_or_b64 exec, exec, s[76:77]
	s_and_saveexec_b64 s[76:77], s[64:65]
	s_cbranch_execnz .LBB234_107
.LBB234_75:                             ;   in Loop: Header=BB234_43 Depth=1
	s_or_b64 exec, exec, s[76:77]
	s_and_saveexec_b64 s[64:65], vcc
	s_cbranch_execz .LBB234_42
	s_branch .LBB234_108
.LBB234_76:                             ;   in Loop: Header=BB234_43 Depth=1
	s_or_b64 exec, exec, s[76:77]
	s_and_saveexec_b64 s[76:77], s[62:63]
	s_cbranch_execz .LBB234_45
.LBB234_77:                             ;   in Loop: Header=BB234_43 Depth=1
	v_readlane_b32 s80, v32, 13
	s_nop 1
	v_mov_b32_e32 v9, s80
	ds_read_b32 v9, v9
	s_waitcnt lgkmcnt(0)
	v_add_u32_e32 v7, v9, v7
	s_or_b64 exec, exec, s[76:77]
	s_and_saveexec_b64 s[76:77], s[0:1]
	s_cbranch_execnz .LBB234_46
.LBB234_78:                             ;   in Loop: Header=BB234_43 Depth=1
	s_or_b64 exec, exec, s[76:77]
	s_and_saveexec_b64 s[76:77], s[2:3]
	s_cbranch_execz .LBB234_47
.LBB234_79:                             ;   in Loop: Header=BB234_43 Depth=1
	v_readlane_b32 s80, v32, 15
	s_nop 1
	v_mov_b32_e32 v9, s80
	ds_read_b32 v9, v9
	s_waitcnt lgkmcnt(0)
	v_add_u32_e32 v7, v9, v7
	s_or_b64 exec, exec, s[76:77]
	s_and_saveexec_b64 s[76:77], s[4:5]
	s_cbranch_execnz .LBB234_48
.LBB234_80:                             ;   in Loop: Header=BB234_43 Depth=1
	s_or_b64 exec, exec, s[76:77]
	s_and_saveexec_b64 s[76:77], s[6:7]
	s_cbranch_execz .LBB234_49
.LBB234_81:                             ;   in Loop: Header=BB234_43 Depth=1
	v_readlane_b32 s80, v32, 16
	s_nop 1
	v_mov_b32_e32 v9, s80
	ds_read_b32 v9, v9
	s_waitcnt lgkmcnt(0)
	v_add_u32_e32 v7, v9, v7
	s_or_b64 exec, exec, s[76:77]
	s_and_saveexec_b64 s[76:77], s[8:9]
	s_cbranch_execnz .LBB234_50
.LBB234_82:                             ;   in Loop: Header=BB234_43 Depth=1
	s_or_b64 exec, exec, s[76:77]
	s_and_saveexec_b64 s[76:77], s[10:11]
	s_cbranch_execz .LBB234_51
.LBB234_83:                             ;   in Loop: Header=BB234_43 Depth=1
	v_mov_b32_e32 v9, s83
	ds_read_b32 v9, v9
	s_waitcnt lgkmcnt(0)
	v_add_u32_e32 v7, v9, v7
	s_or_b64 exec, exec, s[76:77]
	s_and_saveexec_b64 s[76:77], s[12:13]
	s_cbranch_execnz .LBB234_52
.LBB234_84:                             ;   in Loop: Header=BB234_43 Depth=1
	s_or_b64 exec, exec, s[76:77]
	s_and_saveexec_b64 s[76:77], s[14:15]
	s_cbranch_execz .LBB234_53
.LBB234_85:                             ;   in Loop: Header=BB234_43 Depth=1
	v_mov_b32_e32 v9, s85
	ds_read_b32 v9, v9
	s_waitcnt lgkmcnt(0)
	v_add_u32_e32 v7, v9, v7
	s_or_b64 exec, exec, s[76:77]
	s_and_saveexec_b64 s[76:77], s[16:17]
	s_cbranch_execnz .LBB234_54
.LBB234_86:                             ;   in Loop: Header=BB234_43 Depth=1
	s_or_b64 exec, exec, s[76:77]
	s_and_saveexec_b64 s[76:77], s[18:19]
	s_cbranch_execz .LBB234_55
.LBB234_87:                             ;   in Loop: Header=BB234_43 Depth=1
	v_mov_b32_e32 v9, s87
	ds_read_b32 v9, v9
	s_waitcnt lgkmcnt(0)
	v_add_u32_e32 v7, v9, v7
	s_or_b64 exec, exec, s[76:77]
	s_and_saveexec_b64 s[76:77], s[20:21]
	s_cbranch_execnz .LBB234_56
.LBB234_88:                             ;   in Loop: Header=BB234_43 Depth=1
	s_or_b64 exec, exec, s[76:77]
	s_and_saveexec_b64 s[76:77], s[22:23]
	s_cbranch_execz .LBB234_57
.LBB234_89:                             ;   in Loop: Header=BB234_43 Depth=1
	v_mov_b32_e32 v9, s89
	ds_read_b32 v9, v9
	s_waitcnt lgkmcnt(0)
	v_add_u32_e32 v7, v9, v7
	s_or_b64 exec, exec, s[76:77]
	s_and_saveexec_b64 s[76:77], s[24:25]
	s_cbranch_execnz .LBB234_58
.LBB234_90:                             ;   in Loop: Header=BB234_43 Depth=1
	s_or_b64 exec, exec, s[76:77]
	s_and_saveexec_b64 s[76:77], s[26:27]
	s_cbranch_execz .LBB234_59
.LBB234_91:                             ;   in Loop: Header=BB234_43 Depth=1
	v_mov_b32_e32 v9, s91
	ds_read_b32 v9, v9
	s_waitcnt lgkmcnt(0)
	v_add_u32_e32 v7, v9, v7
	s_or_b64 exec, exec, s[76:77]
	s_and_saveexec_b64 s[76:77], s[28:29]
	s_cbranch_execnz .LBB234_60
.LBB234_92:                             ;   in Loop: Header=BB234_43 Depth=1
	s_or_b64 exec, exec, s[76:77]
	s_and_saveexec_b64 s[76:77], s[30:31]
	s_cbranch_execz .LBB234_61
.LBB234_93:                             ;   in Loop: Header=BB234_43 Depth=1
	v_mov_b32_e32 v9, s93
	ds_read_b32 v9, v9
	s_waitcnt lgkmcnt(0)
	v_add_u32_e32 v7, v9, v7
	s_or_b64 exec, exec, s[76:77]
	s_and_saveexec_b64 s[76:77], s[34:35]
	s_cbranch_execnz .LBB234_62
.LBB234_94:                             ;   in Loop: Header=BB234_43 Depth=1
	s_or_b64 exec, exec, s[76:77]
	s_and_saveexec_b64 s[76:77], s[36:37]
	s_cbranch_execz .LBB234_63
.LBB234_95:                             ;   in Loop: Header=BB234_43 Depth=1
	v_mov_b32_e32 v9, s95
	ds_read_b32 v9, v9
	s_waitcnt lgkmcnt(0)
	v_add_u32_e32 v7, v9, v7
	s_or_b64 exec, exec, s[76:77]
	s_and_saveexec_b64 s[76:77], s[38:39]
	s_cbranch_execnz .LBB234_64
.LBB234_96:                             ;   in Loop: Header=BB234_43 Depth=1
	s_or_b64 exec, exec, s[76:77]
	s_and_saveexec_b64 s[76:77], s[40:41]
	s_cbranch_execz .LBB234_65
.LBB234_97:                             ;   in Loop: Header=BB234_43 Depth=1
	v_mov_b32_e32 v9, s97
	ds_read_b32 v9, v9
	s_waitcnt lgkmcnt(0)
	v_add_u32_e32 v7, v9, v7
	s_or_b64 exec, exec, s[76:77]
	s_and_saveexec_b64 s[76:77], s[42:43]
	s_cbranch_execnz .LBB234_66
.LBB234_98:                             ;   in Loop: Header=BB234_43 Depth=1
	s_or_b64 exec, exec, s[76:77]
	s_and_saveexec_b64 s[76:77], s[44:45]
	s_cbranch_execz .LBB234_67
.LBB234_99:                             ;   in Loop: Header=BB234_43 Depth=1
	v_mov_b32_e32 v9, s99
	ds_read_b32 v9, v9
	s_waitcnt lgkmcnt(0)
	v_add_u32_e32 v7, v9, v7
	s_or_b64 exec, exec, s[76:77]
	s_and_saveexec_b64 s[76:77], s[46:47]
	s_cbranch_execnz .LBB234_68
.LBB234_100:                            ;   in Loop: Header=BB234_43 Depth=1
	s_or_b64 exec, exec, s[76:77]
	s_and_saveexec_b64 s[76:77], s[48:49]
	s_cbranch_execz .LBB234_69
.LBB234_101:                            ;   in Loop: Header=BB234_43 Depth=1
	v_mov_b32_e32 v9, s72
	ds_read_b32 v9, v9
	s_waitcnt lgkmcnt(0)
	v_add_u32_e32 v7, v9, v7
	s_or_b64 exec, exec, s[76:77]
	s_and_saveexec_b64 s[76:77], s[50:51]
	s_cbranch_execnz .LBB234_70
.LBB234_102:                            ;   in Loop: Header=BB234_43 Depth=1
	s_or_b64 exec, exec, s[76:77]
	s_and_saveexec_b64 s[76:77], s[52:53]
	s_cbranch_execz .LBB234_71
.LBB234_103:                            ;   in Loop: Header=BB234_43 Depth=1
	v_mov_b32_e32 v9, s66
	ds_read_b32 v9, v9
	s_waitcnt lgkmcnt(0)
	v_add_u32_e32 v7, v9, v7
	s_or_b64 exec, exec, s[76:77]
	s_and_saveexec_b64 s[76:77], s[54:55]
	s_cbranch_execnz .LBB234_72
.LBB234_104:                            ;   in Loop: Header=BB234_43 Depth=1
	s_or_b64 exec, exec, s[76:77]
	s_and_saveexec_b64 s[76:77], s[56:57]
	s_cbranch_execz .LBB234_73
.LBB234_105:                            ;   in Loop: Header=BB234_43 Depth=1
	v_mov_b32_e32 v9, s71
	ds_read_b32 v9, v9
	s_waitcnt lgkmcnt(0)
	v_add_u32_e32 v7, v9, v7
	s_or_b64 exec, exec, s[76:77]
	s_and_saveexec_b64 s[76:77], s[58:59]
	s_cbranch_execnz .LBB234_74
.LBB234_106:                            ;   in Loop: Header=BB234_43 Depth=1
	s_or_b64 exec, exec, s[76:77]
	s_and_saveexec_b64 s[76:77], s[64:65]
	s_cbranch_execz .LBB234_75
.LBB234_107:                            ;   in Loop: Header=BB234_43 Depth=1
	scratch_load_dwordx4 v[10:13], off, off
	v_add3_u32 v9, v6, -1, v7
	v_add_u32_e32 v14, v6, v7
	v_lshl_add_u32 v9, v9, 2, 0
	v_lshl_add_u32 v14, v14, 4, 0
	v_add_u32_e32 v14, 0xfff0, v14
	ds_write_b32 v9, v8
	s_waitcnt vmcnt(0)
	ds_write2_b64 v14, v[10:11], v[12:13] offset1:1
	s_or_b64 exec, exec, s[76:77]
	s_and_saveexec_b64 s[64:65], vcc
	s_cbranch_execz .LBB234_42
.LBB234_108:                            ;   in Loop: Header=BB234_43 Depth=1
	v_mov_b32_e32 v8, s78
	ds_write_b32 v8, v7
	s_branch .LBB234_42
.LBB234_109:
	s_or_b64 exec, exec, s[68:69]
	v_readlane_b32 s0, v32, 10
	v_readlane_b32 s1, v32, 11
	;; [unrolled: 1-line block ×3, first 2 shown]
	s_ashr_i32 s1, s0, 31
	v_readlane_b32 s6, v32, 4
	v_readlane_b32 s7, v32, 5
	;; [unrolled: 1-line block ×4, first 2 shown]
	s_lshl_b64 s[0:1], s[0:1], 3
	s_mov_b64 s[6:7], s[10:11]
	v_readlane_b32 s5, v32, 3
	s_add_u32 s4, s6, s0
	s_addc_u32 s5, s7, s1
	s_load_dwordx4 s[0:3], s[4:5], 0x0
	v_readlane_b32 s8, v32, 6
	v_readlane_b32 s9, v32, 7
	s_waitcnt lgkmcnt(0)
	s_sub_i32 s8, s2, s0
	v_cmp_gt_i32_e32 vcc, s8, v0
	s_and_saveexec_b64 s[4:5], vcc
	s_cbranch_execz .LBB234_119
; %bb.110:
	s_sub_u32 s4, s0, s70
	s_subb_u32 s5, s1, 0
	s_and_b32 s10, s8, 7
	s_sub_i32 s0, s0, s2
	s_cmp_lt_u32 s0, -7
	s_cselect_b64 s[0:1], -1, 0
	s_and_b32 s11, s8, -8
	s_cmp_lg_u32 s10, 0
	v_cndmask_b32_e64 v1, 0, 1, s[0:1]
	s_cselect_b64 s[2:3], -1, 0
	v_cmp_ne_u32_e64 s[0:1], 1, v1
	v_cndmask_b32_e64 v1, 0, 1, s[2:3]
	s_mov_b32 s9, 0
	s_mov_b64 s[6:7], 0
	v_cmp_ne_u32_e64 s[2:3], 1, v1
	s_branch .LBB234_112
.LBB234_111:                            ;   in Loop: Header=BB234_112 Depth=1
	s_waitcnt lgkmcnt(0)
	v_lshl_add_u32 v1, v0, 4, 0
	v_add_u32_e32 v1, 0x10000, v1
	ds_read2_b64 v[4:7], v1 offset1:1
	v_readlane_b32 s12, v32, 0
	v_add_u32_e32 v0, 0x400, v0
	v_readlane_b32 s13, v32, 1
	v_cmp_le_i32_e32 vcc, s8, v0
	s_or_b64 s[6:7], vcc, s[6:7]
	v_lshl_add_u64 v[2:3], v[2:3], 4, s[12:13]
	s_waitcnt lgkmcnt(0)
	global_store_dwordx4 v[2:3], v[4:7], off
	s_andn2_b64 exec, exec, s[6:7]
	s_cbranch_execz .LBB234_119
.LBB234_112:                            ; =>This Loop Header: Depth=1
                                        ;     Child Loop BB234_114 Depth 2
                                        ;     Child Loop BB234_118 Depth 2
	v_lshl_add_u32 v1, v0, 2, 0
	ds_read_b32 v1, v1
	s_and_b64 vcc, exec, s[0:1]
	v_mov_b64_e32 v[2:3], s[4:5]
	s_mov_b32 s12, 0
	s_cbranch_vccnz .LBB234_116
; %bb.113:                              ;   in Loop: Header=BB234_112 Depth=1
	s_mov_b32 s13, 0
	v_mov_b64_e32 v[2:3], s[4:5]
.LBB234_114:                            ;   Parent Loop BB234_112 Depth=1
                                        ; =>  This Inner Loop Header: Depth=2
	v_mov_b32_e32 v4, s13
	ds_read2_b32 v[20:21], v4 offset1:1
	ds_read2_b32 v[22:23], v4 offset0:2 offset1:3
	ds_read2_b32 v[24:25], v4 offset0:4 offset1:5
	;; [unrolled: 1-line block ×3, first 2 shown]
	v_mov_b32_e32 v5, s9
	s_waitcnt lgkmcnt(3)
	v_cmp_gt_i32_e32 vcc, v1, v20
	v_mov_b32_e32 v7, s9
	v_mov_b32_e32 v9, s9
	v_cndmask_b32_e64 v4, 0, 1, vcc
	v_cmp_gt_i32_e32 vcc, v1, v21
	v_lshl_add_u64 v[2:3], v[2:3], 0, v[4:5]
	v_mov_b32_e32 v11, s9
	v_cndmask_b32_e64 v6, 0, 1, vcc
	s_waitcnt lgkmcnt(2)
	v_cmp_gt_i32_e32 vcc, v1, v22
	v_lshl_add_u64 v[2:3], v[2:3], 0, v[6:7]
	v_mov_b32_e32 v13, s9
	v_cndmask_b32_e64 v8, 0, 1, vcc
	v_cmp_gt_i32_e32 vcc, v1, v23
	v_lshl_add_u64 v[2:3], v[2:3], 0, v[8:9]
	v_mov_b32_e32 v15, s9
	v_cndmask_b32_e64 v10, 0, 1, vcc
	s_waitcnt lgkmcnt(1)
	v_cmp_gt_i32_e32 vcc, v1, v24
	v_lshl_add_u64 v[2:3], v[2:3], 0, v[10:11]
	;; [unrolled: 9-line block ×3, first 2 shown]
	s_add_i32 s12, s12, 8
	v_cndmask_b32_e64 v16, 0, 1, vcc
	v_cmp_gt_i32_e32 vcc, v1, v27
	s_add_i32 s13, s13, 32
	v_lshl_add_u64 v[2:3], v[2:3], 0, v[16:17]
	v_cndmask_b32_e64 v18, 0, 1, vcc
	s_cmp_eq_u32 s11, s12
	v_lshl_add_u64 v[2:3], v[2:3], 0, v[18:19]
	s_cbranch_scc0 .LBB234_114
; %bb.115:                              ;   in Loop: Header=BB234_112 Depth=1
	s_mov_b32 s12, s11
.LBB234_116:                            ;   in Loop: Header=BB234_112 Depth=1
	s_and_b64 vcc, exec, s[2:3]
	s_cbranch_vccnz .LBB234_111
; %bb.117:                              ;   in Loop: Header=BB234_112 Depth=1
	s_lshl_b32 s12, s12, 2
	s_add_i32 s12, s12, 0
	s_mov_b32 s13, s10
.LBB234_118:                            ;   Parent Loop BB234_112 Depth=1
                                        ; =>  This Inner Loop Header: Depth=2
	v_mov_b32_e32 v4, s12
	ds_read_b32 v4, v4
	v_mov_b32_e32 v5, s9
	s_add_i32 s12, s12, 4
	s_add_i32 s13, s13, -1
	s_cmp_lg_u32 s13, 0
	s_waitcnt lgkmcnt(0)
	v_cmp_gt_i32_e32 vcc, v1, v4
	s_nop 1
	v_cndmask_b32_e64 v4, 0, 1, vcc
	v_lshl_add_u64 v[2:3], v[2:3], 0, v[4:5]
	s_cbranch_scc1 .LBB234_118
	s_branch .LBB234_111
.LBB234_119:
	s_endpgm
	.section	.rodata,"a",@progbits
	.p2align	6, 0x0
	.amdhsa_kernel _ZN9rocsparseL41csrgemm_numeric_fill_block_per_row_kernelILj1024ELj64ELj16384ELj137ELj32Eli21rocsparse_complex_numIdEEEvT5_PKS3_S5_NS_24const_host_device_scalarIT6_EEPKT4_S5_PKS7_SB_S5_SD_S8_SB_S5_SD_SB_S5_PS7_21rocsparse_index_base_SF_SF_SF_bbb
		.amdhsa_group_segment_fixed_size 0
		.amdhsa_private_segment_fixed_size 40
		.amdhsa_kernarg_size 172
		.amdhsa_user_sgpr_count 2
		.amdhsa_user_sgpr_dispatch_ptr 0
		.amdhsa_user_sgpr_queue_ptr 0
		.amdhsa_user_sgpr_kernarg_segment_ptr 1
		.amdhsa_user_sgpr_dispatch_id 0
		.amdhsa_user_sgpr_kernarg_preload_length 0
		.amdhsa_user_sgpr_kernarg_preload_offset 0
		.amdhsa_user_sgpr_private_segment_size 0
		.amdhsa_uses_dynamic_stack 0
		.amdhsa_enable_private_segment 1
		.amdhsa_system_sgpr_workgroup_id_x 1
		.amdhsa_system_sgpr_workgroup_id_y 0
		.amdhsa_system_sgpr_workgroup_id_z 0
		.amdhsa_system_sgpr_workgroup_info 0
		.amdhsa_system_vgpr_workitem_id 0
		.amdhsa_next_free_vgpr 33
		.amdhsa_next_free_sgpr 100
		.amdhsa_accum_offset 36
		.amdhsa_reserve_vcc 1
		.amdhsa_float_round_mode_32 0
		.amdhsa_float_round_mode_16_64 0
		.amdhsa_float_denorm_mode_32 3
		.amdhsa_float_denorm_mode_16_64 3
		.amdhsa_dx10_clamp 1
		.amdhsa_ieee_mode 1
		.amdhsa_fp16_overflow 0
		.amdhsa_tg_split 0
		.amdhsa_exception_fp_ieee_invalid_op 0
		.amdhsa_exception_fp_denorm_src 0
		.amdhsa_exception_fp_ieee_div_zero 0
		.amdhsa_exception_fp_ieee_overflow 0
		.amdhsa_exception_fp_ieee_underflow 0
		.amdhsa_exception_fp_ieee_inexact 0
		.amdhsa_exception_int_div_zero 0
	.end_amdhsa_kernel
	.section	.text._ZN9rocsparseL41csrgemm_numeric_fill_block_per_row_kernelILj1024ELj64ELj16384ELj137ELj32Eli21rocsparse_complex_numIdEEEvT5_PKS3_S5_NS_24const_host_device_scalarIT6_EEPKT4_S5_PKS7_SB_S5_SD_S8_SB_S5_SD_SB_S5_PS7_21rocsparse_index_base_SF_SF_SF_bbb,"axG",@progbits,_ZN9rocsparseL41csrgemm_numeric_fill_block_per_row_kernelILj1024ELj64ELj16384ELj137ELj32Eli21rocsparse_complex_numIdEEEvT5_PKS3_S5_NS_24const_host_device_scalarIT6_EEPKT4_S5_PKS7_SB_S5_SD_S8_SB_S5_SD_SB_S5_PS7_21rocsparse_index_base_SF_SF_SF_bbb,comdat
.Lfunc_end234:
	.size	_ZN9rocsparseL41csrgemm_numeric_fill_block_per_row_kernelILj1024ELj64ELj16384ELj137ELj32Eli21rocsparse_complex_numIdEEEvT5_PKS3_S5_NS_24const_host_device_scalarIT6_EEPKT4_S5_PKS7_SB_S5_SD_S8_SB_S5_SD_SB_S5_PS7_21rocsparse_index_base_SF_SF_SF_bbb, .Lfunc_end234-_ZN9rocsparseL41csrgemm_numeric_fill_block_per_row_kernelILj1024ELj64ELj16384ELj137ELj32Eli21rocsparse_complex_numIdEEEvT5_PKS3_S5_NS_24const_host_device_scalarIT6_EEPKT4_S5_PKS7_SB_S5_SD_S8_SB_S5_SD_SB_S5_PS7_21rocsparse_index_base_SF_SF_SF_bbb
                                        ; -- End function
	.set _ZN9rocsparseL41csrgemm_numeric_fill_block_per_row_kernelILj1024ELj64ELj16384ELj137ELj32Eli21rocsparse_complex_numIdEEEvT5_PKS3_S5_NS_24const_host_device_scalarIT6_EEPKT4_S5_PKS7_SB_S5_SD_S8_SB_S5_SD_SB_S5_PS7_21rocsparse_index_base_SF_SF_SF_bbb.num_vgpr, 33
	.set _ZN9rocsparseL41csrgemm_numeric_fill_block_per_row_kernelILj1024ELj64ELj16384ELj137ELj32Eli21rocsparse_complex_numIdEEEvT5_PKS3_S5_NS_24const_host_device_scalarIT6_EEPKT4_S5_PKS7_SB_S5_SD_S8_SB_S5_SD_SB_S5_PS7_21rocsparse_index_base_SF_SF_SF_bbb.num_agpr, 0
	.set _ZN9rocsparseL41csrgemm_numeric_fill_block_per_row_kernelILj1024ELj64ELj16384ELj137ELj32Eli21rocsparse_complex_numIdEEEvT5_PKS3_S5_NS_24const_host_device_scalarIT6_EEPKT4_S5_PKS7_SB_S5_SD_S8_SB_S5_SD_SB_S5_PS7_21rocsparse_index_base_SF_SF_SF_bbb.numbered_sgpr, 100
	.set _ZN9rocsparseL41csrgemm_numeric_fill_block_per_row_kernelILj1024ELj64ELj16384ELj137ELj32Eli21rocsparse_complex_numIdEEEvT5_PKS3_S5_NS_24const_host_device_scalarIT6_EEPKT4_S5_PKS7_SB_S5_SD_S8_SB_S5_SD_SB_S5_PS7_21rocsparse_index_base_SF_SF_SF_bbb.num_named_barrier, 0
	.set _ZN9rocsparseL41csrgemm_numeric_fill_block_per_row_kernelILj1024ELj64ELj16384ELj137ELj32Eli21rocsparse_complex_numIdEEEvT5_PKS3_S5_NS_24const_host_device_scalarIT6_EEPKT4_S5_PKS7_SB_S5_SD_S8_SB_S5_SD_SB_S5_PS7_21rocsparse_index_base_SF_SF_SF_bbb.private_seg_size, 40
	.set _ZN9rocsparseL41csrgemm_numeric_fill_block_per_row_kernelILj1024ELj64ELj16384ELj137ELj32Eli21rocsparse_complex_numIdEEEvT5_PKS3_S5_NS_24const_host_device_scalarIT6_EEPKT4_S5_PKS7_SB_S5_SD_S8_SB_S5_SD_SB_S5_PS7_21rocsparse_index_base_SF_SF_SF_bbb.uses_vcc, 1
	.set _ZN9rocsparseL41csrgemm_numeric_fill_block_per_row_kernelILj1024ELj64ELj16384ELj137ELj32Eli21rocsparse_complex_numIdEEEvT5_PKS3_S5_NS_24const_host_device_scalarIT6_EEPKT4_S5_PKS7_SB_S5_SD_S8_SB_S5_SD_SB_S5_PS7_21rocsparse_index_base_SF_SF_SF_bbb.uses_flat_scratch, 0
	.set _ZN9rocsparseL41csrgemm_numeric_fill_block_per_row_kernelILj1024ELj64ELj16384ELj137ELj32Eli21rocsparse_complex_numIdEEEvT5_PKS3_S5_NS_24const_host_device_scalarIT6_EEPKT4_S5_PKS7_SB_S5_SD_S8_SB_S5_SD_SB_S5_PS7_21rocsparse_index_base_SF_SF_SF_bbb.has_dyn_sized_stack, 0
	.set _ZN9rocsparseL41csrgemm_numeric_fill_block_per_row_kernelILj1024ELj64ELj16384ELj137ELj32Eli21rocsparse_complex_numIdEEEvT5_PKS3_S5_NS_24const_host_device_scalarIT6_EEPKT4_S5_PKS7_SB_S5_SD_S8_SB_S5_SD_SB_S5_PS7_21rocsparse_index_base_SF_SF_SF_bbb.has_recursion, 0
	.set _ZN9rocsparseL41csrgemm_numeric_fill_block_per_row_kernelILj1024ELj64ELj16384ELj137ELj32Eli21rocsparse_complex_numIdEEEvT5_PKS3_S5_NS_24const_host_device_scalarIT6_EEPKT4_S5_PKS7_SB_S5_SD_S8_SB_S5_SD_SB_S5_PS7_21rocsparse_index_base_SF_SF_SF_bbb.has_indirect_call, 0
	.section	.AMDGPU.csdata,"",@progbits
; Kernel info:
; codeLenInByte = 5036
; TotalNumSgprs: 106
; NumVgprs: 33
; NumAgprs: 0
; TotalNumVgprs: 33
; ScratchSize: 40
; MemoryBound: 0
; FloatMode: 240
; IeeeMode: 1
; LDSByteSize: 0 bytes/workgroup (compile time only)
; SGPRBlocks: 13
; VGPRBlocks: 4
; NumSGPRsForWavesPerEU: 106
; NumVGPRsForWavesPerEU: 33
; AccumOffset: 36
; Occupancy: 7
; WaveLimiterHint : 1
; COMPUTE_PGM_RSRC2:SCRATCH_EN: 1
; COMPUTE_PGM_RSRC2:USER_SGPR: 2
; COMPUTE_PGM_RSRC2:TRAP_HANDLER: 0
; COMPUTE_PGM_RSRC2:TGID_X_EN: 1
; COMPUTE_PGM_RSRC2:TGID_Y_EN: 0
; COMPUTE_PGM_RSRC2:TGID_Z_EN: 0
; COMPUTE_PGM_RSRC2:TIDIG_COMP_CNT: 0
; COMPUTE_PGM_RSRC3_GFX90A:ACCUM_OFFSET: 8
; COMPUTE_PGM_RSRC3_GFX90A:TG_SPLIT: 0
	.section	.text._ZN9rocsparseL41csrgemm_numeric_fill_block_per_row_kernelILj1024ELj64ELj16384ELj137ELj64Eli21rocsparse_complex_numIdEEEvT5_PKS3_S5_NS_24const_host_device_scalarIT6_EEPKT4_S5_PKS7_SB_S5_SD_S8_SB_S5_SD_SB_S5_PS7_21rocsparse_index_base_SF_SF_SF_bbb,"axG",@progbits,_ZN9rocsparseL41csrgemm_numeric_fill_block_per_row_kernelILj1024ELj64ELj16384ELj137ELj64Eli21rocsparse_complex_numIdEEEvT5_PKS3_S5_NS_24const_host_device_scalarIT6_EEPKT4_S5_PKS7_SB_S5_SD_S8_SB_S5_SD_SB_S5_PS7_21rocsparse_index_base_SF_SF_SF_bbb,comdat
	.globl	_ZN9rocsparseL41csrgemm_numeric_fill_block_per_row_kernelILj1024ELj64ELj16384ELj137ELj64Eli21rocsparse_complex_numIdEEEvT5_PKS3_S5_NS_24const_host_device_scalarIT6_EEPKT4_S5_PKS7_SB_S5_SD_S8_SB_S5_SD_SB_S5_PS7_21rocsparse_index_base_SF_SF_SF_bbb ; -- Begin function _ZN9rocsparseL41csrgemm_numeric_fill_block_per_row_kernelILj1024ELj64ELj16384ELj137ELj64Eli21rocsparse_complex_numIdEEEvT5_PKS3_S5_NS_24const_host_device_scalarIT6_EEPKT4_S5_PKS7_SB_S5_SD_S8_SB_S5_SD_SB_S5_PS7_21rocsparse_index_base_SF_SF_SF_bbb
	.p2align	8
	.type	_ZN9rocsparseL41csrgemm_numeric_fill_block_per_row_kernelILj1024ELj64ELj16384ELj137ELj64Eli21rocsparse_complex_numIdEEEvT5_PKS3_S5_NS_24const_host_device_scalarIT6_EEPKT4_S5_PKS7_SB_S5_SD_S8_SB_S5_SD_SB_S5_PS7_21rocsparse_index_base_SF_SF_SF_bbb,@function
_ZN9rocsparseL41csrgemm_numeric_fill_block_per_row_kernelILj1024ELj64ELj16384ELj137ELj64Eli21rocsparse_complex_numIdEEEvT5_PKS3_S5_NS_24const_host_device_scalarIT6_EEPKT4_S5_PKS7_SB_S5_SD_S8_SB_S5_SD_SB_S5_PS7_21rocsparse_index_base_SF_SF_SF_bbb: ; @_ZN9rocsparseL41csrgemm_numeric_fill_block_per_row_kernelILj1024ELj64ELj16384ELj137ELj64Eli21rocsparse_complex_numIdEEEvT5_PKS3_S5_NS_24const_host_device_scalarIT6_EEPKT4_S5_PKS7_SB_S5_SD_S8_SB_S5_SD_SB_S5_PS7_21rocsparse_index_base_SF_SF_SF_bbb
; %bb.0:
	s_load_dword s3, s[0:1], 0xa8
	s_load_dwordx4 s[44:47], s[0:1], 0x98
	s_load_dwordx4 s[8:11], s[0:1], 0x18
	;; [unrolled: 1-line block ×3, first 2 shown]
	v_mov_b64_e32 v[6:7], 0
	s_waitcnt lgkmcnt(0)
	s_bitcmp1_b32 s3, 0
	s_cselect_b64 s[28:29], -1, 0
	s_bitcmp1_b32 s3, 16
	s_cselect_b64 s[30:31], -1, 0
	s_xor_b64 s[4:5], s[30:31], -1
	v_mov_b64_e32 v[2:3], s[8:9]
	v_cndmask_b32_e64 v1, 0, 1, s[4:5]
	scratch_store_dwordx2 off, v[2:3], off offset:16
	v_mov_b64_e32 v[2:3], s[24:25]
	s_bitcmp0_b32 s3, 0
	v_cmp_ne_u32_e64 s[4:5], 1, v1
	v_mov_b64_e32 v[10:11], 0
	v_mov_b64_e32 v[12:13], 0
	scratch_store_dwordx2 off, v[2:3], off offset:24
	s_cbranch_scc1 .LBB235_3
; %bb.1:
	s_mov_b64 s[6:7], src_private_base
	s_and_b64 s[12:13], s[30:31], exec
	s_cselect_b32 s6, s7, s9
	s_cselect_b32 s7, 16, s8
	v_mov_b32_e32 v2, s7
	v_mov_b32_e32 v3, s6
	flat_load_dwordx2 v[10:11], v[2:3]
	s_and_b64 vcc, exec, s[4:5]
	v_mov_b64_e32 v[12:13], s[10:11]
	s_cbranch_vccnz .LBB235_3
; %bb.2:
	v_mov_b64_e32 v[2:3], s[8:9]
	flat_load_dwordx2 v[12:13], v[2:3] offset:8
.LBB235_3:
	s_load_dwordx2 s[34:35], s[0:1], 0x90
	s_load_dwordx8 s[36:43], s[0:1], 0x68
	s_load_dwordx4 s[16:19], s[0:1], 0x48
	s_load_dwordx4 s[20:23], s[0:1], 0x8
	s_load_dwordx8 s[8:15], s[0:1], 0x28
	s_bitcmp1_b32 s3, 8
	s_cselect_b64 s[6:7], -1, 0
	s_bfe_u32 s3, s3, 0x10008
	s_cmp_eq_u32 s3, 0
	v_mov_b64_e32 v[8:9], 0
	s_cbranch_scc1 .LBB235_6
; %bb.4:
	s_mov_b64 s[48:49], src_private_base
	s_and_b64 s[30:31], s[30:31], exec
	s_cselect_b32 s3, s49, s25
	s_cselect_b32 s30, 24, s24
	v_mov_b32_e32 v2, s30
	v_mov_b32_e32 v3, s3
	flat_load_dwordx2 v[8:9], v[2:3]
	s_and_b64 vcc, exec, s[4:5]
	v_mov_b64_e32 v[6:7], s[26:27]
	s_cbranch_vccnz .LBB235_6
; %bb.5:
	v_mov_b64_e32 v[2:3], s[24:25]
	flat_load_dwordx2 v[6:7], v[2:3] offset:8
.LBB235_6:
	s_load_dword s33, s[0:1], 0x0
	v_lshlrev_b32_e32 v2, 4, v0
	s_mov_b32 s4, 0
	v_or_b32_e32 v1, 0xfffffc00, v0
	v_add_u32_e32 v27, 0, v2
	v_lshl_add_u32 v26, v0, 2, 0
	s_mov_b32 s5, s4
	s_mov_b32 s24, s4
	;; [unrolled: 1-line block ×3, first 2 shown]
	v_add_u32_e32 v14, 0x10008, v27
	s_mov_b64 s[0:1], 0
	s_waitcnt lgkmcnt(0)
	v_mov_b32_e32 v17, s33
	v_mov_b64_e32 v[2:3], s[4:5]
	v_mov_b64_e32 v[4:5], s[24:25]
	s_movk_i32 s3, 0x3bff
	v_mov_b32_e32 v15, v26
	v_mov_b32_e32 v16, v1
.LBB235_7:                              ; =>This Inner Loop Header: Depth=1
	v_add_u32_e32 v16, 0x400, v16
	v_cmp_lt_u32_e32 vcc, s3, v16
	ds_write_b32 v15, v17
	v_add_u32_e32 v18, -8, v14
	v_add_u32_e32 v14, 0x4000, v14
	v_add_u32_e32 v15, 0x1000, v15
	s_or_b64 s[0:1], vcc, s[0:1]
	ds_write2_b64 v18, v[2:3], v[4:5] offset1:1
	s_andn2_b64 exec, exec, s[0:1]
	s_cbranch_execnz .LBB235_7
; %bb.8:
	s_or_b64 exec, exec, s[0:1]
	s_waitcnt lgkmcnt(0)
	s_barrier
	s_load_dword s0, s[20:21], 0x0
	s_mov_b32 s1, 0
	v_lshrrev_b32_e32 v28, 6, v0
	s_waitcnt lgkmcnt(0)
	s_add_i32 s0, s0, s2
	s_lshl_b64 s[0:1], s[0:1], 2
	s_add_u32 s0, s22, s0
	s_addc_u32 s1, s23, s1
	s_load_dword s48, s[0:1], 0x0
	s_and_b64 vcc, exec, s[28:29]
	s_cbranch_vccz .LBB235_26
; %bb.9:
	s_waitcnt lgkmcnt(0)
	s_ashr_i32 s49, s48, 31
	s_lshl_b64 s[0:1], s[48:49], 3
	s_add_u32 s0, s8, s0
	s_addc_u32 s1, s9, s1
	s_load_dwordx4 s[20:23], s[0:1], 0x0
	v_subrev_co_u32_e32 v2, vcc, s44, v28
	s_nop 1
	v_subb_co_u32_e64 v3, s[0:1], 0, 0, vcc
	s_waitcnt lgkmcnt(0)
	s_sub_u32 s0, s22, s44
	s_subb_u32 s1, s23, 0
	v_lshl_add_u64 v[14:15], s[20:21], 0, v[2:3]
	v_cmp_gt_i64_e32 vcc, s[0:1], v[14:15]
	s_and_saveexec_b64 s[2:3], vcc
	s_cbranch_execz .LBB235_25
; %bb.10:
	v_and_b32_e32 v2, 63, v0
	v_subrev_co_u32_e32 v16, vcc, s45, v2
	s_mov_b32 s49, s45
	s_nop 0
	v_subb_co_u32_e64 v17, s[4:5], 0, 0, vcc
	s_mov_b64 s[4:5], 0
	s_movk_i32 s50, 0x89
	s_branch .LBB235_12
.LBB235_11:                             ;   in Loop: Header=BB235_12 Depth=1
	s_or_b64 exec, exec, s[8:9]
	v_lshl_add_u64 v[14:15], v[14:15], 0, 16
	v_cmp_le_i64_e32 vcc, s[0:1], v[14:15]
	s_or_b64 s[4:5], vcc, s[4:5]
	s_andn2_b64 exec, exec, s[4:5]
	s_cbranch_execz .LBB235_25
.LBB235_12:                             ; =>This Loop Header: Depth=1
                                        ;     Child Loop BB235_16 Depth 2
                                        ;       Child Loop BB235_19 Depth 3
	v_lshl_add_u64 v[2:3], v[14:15], 2, s[10:11]
	global_load_dword v2, v[2:3], off
	s_waitcnt vmcnt(0)
	v_subrev_u32_e32 v2, s44, v2
	v_ashrrev_i32_e32 v3, 31, v2
	v_lshl_add_u64 v[2:3], v[2:3], 3, s[14:15]
	global_load_dwordx4 v[2:5], v[2:3], off
	s_waitcnt vmcnt(0)
	v_subrev_co_u32_e32 v18, vcc, s49, v4
	s_nop 1
	v_subbrev_co_u32_e32 v19, vcc, 0, v5, vcc
	v_lshl_add_u64 v[20:21], v[2:3], 0, v[16:17]
	v_cmp_lt_i64_e32 vcc, v[20:21], v[18:19]
	s_and_saveexec_b64 s[8:9], vcc
	s_cbranch_execz .LBB235_11
; %bb.13:                               ;   in Loop: Header=BB235_12 Depth=1
	v_lshl_add_u64 v[2:3], v[14:15], 4, s[12:13]
	global_load_dwordx4 v[2:5], v[2:3], off
	s_mov_b64 s[20:21], 0
	s_waitcnt vmcnt(0)
	v_mul_f64 v[22:23], v[4:5], -v[12:13]
	v_mul_f64 v[24:25], v[10:11], v[4:5]
	v_fmac_f64_e32 v[22:23], v[10:11], v[2:3]
	v_fmac_f64_e32 v[24:25], v[12:13], v[2:3]
	s_branch .LBB235_16
.LBB235_14:                             ;   in Loop: Header=BB235_16 Depth=2
	s_or_b64 exec, exec, s[24:25]
.LBB235_15:                             ;   in Loop: Header=BB235_16 Depth=2
	s_or_b64 exec, exec, s[22:23]
	s_waitcnt vmcnt(0)
	v_mul_f64 v[30:31], v[4:5], -v[24:25]
	v_mul_f64 v[4:5], v[22:23], v[4:5]
	v_fmac_f64_e32 v[30:31], v[22:23], v[2:3]
	v_fmac_f64_e32 v[4:5], v[24:25], v[2:3]
	v_lshl_add_u32 v2, v29, 4, 0
	v_add_u32_e32 v2, 0x10000, v2
	ds_add_f64 v2, v[30:31]
	ds_add_f64 v2, v[4:5] offset:8
	v_lshl_add_u64 v[20:21], v[20:21], 0, 64
	v_cmp_ge_i64_e32 vcc, v[20:21], v[18:19]
	s_or_b64 s[20:21], vcc, s[20:21]
	s_andn2_b64 exec, exec, s[20:21]
	s_cbranch_execz .LBB235_11
.LBB235_16:                             ;   Parent Loop BB235_12 Depth=1
                                        ; =>  This Loop Header: Depth=2
                                        ;       Child Loop BB235_19 Depth 3
	v_lshl_add_u64 v[2:3], v[20:21], 2, s[16:17]
	global_load_dword v29, v[2:3], off
	v_lshl_add_u64 v[2:3], v[20:21], 4, s[18:19]
	global_load_dwordx4 v[2:5], v[2:3], off
	s_waitcnt vmcnt(1)
	v_subrev_u32_e32 v30, s45, v29
	v_mul_lo_u32 v29, v30, s50
	v_and_b32_e32 v29, 0x3fff, v29
	v_lshl_add_u32 v31, v29, 2, 0
	ds_read_b32 v32, v31
	s_waitcnt lgkmcnt(0)
	v_cmp_ne_u32_e32 vcc, v32, v30
	s_and_saveexec_b64 s[22:23], vcc
	s_cbranch_execz .LBB235_15
; %bb.17:                               ;   in Loop: Header=BB235_16 Depth=2
	s_mov_b64 s[24:25], 0
	s_branch .LBB235_19
.LBB235_18:                             ;   in Loop: Header=BB235_19 Depth=3
	s_or_b64 exec, exec, s[30:31]
	s_and_b64 s[26:27], exec, s[28:29]
	s_or_b64 s[24:25], s[26:27], s[24:25]
	s_andn2_b64 exec, exec, s[24:25]
	s_cbranch_execz .LBB235_14
.LBB235_19:                             ;   Parent Loop BB235_12 Depth=1
                                        ;     Parent Loop BB235_16 Depth=2
                                        ; =>    This Inner Loop Header: Depth=3
	v_cmp_ne_u32_e32 vcc, s33, v32
	s_mov_b64 s[26:27], 0
	s_and_saveexec_b64 s[28:29], vcc
	s_xor_b64 s[28:29], exec, s[28:29]
	s_cbranch_execz .LBB235_21
; %bb.20:                               ;   in Loop: Header=BB235_19 Depth=3
	v_add_u32_e32 v29, 1, v29
	s_mov_b64 s[26:27], exec
	v_and_b32_e32 v29, 0x3fff, v29
                                        ; implicit-def: $vgpr31
	s_andn2_saveexec_b64 s[28:29], s[28:29]
	s_cbranch_execz .LBB235_23
	s_branch .LBB235_22
.LBB235_21:                             ;   in Loop: Header=BB235_19 Depth=3
	s_andn2_saveexec_b64 s[28:29], s[28:29]
	s_cbranch_execz .LBB235_23
.LBB235_22:                             ;   in Loop: Header=BB235_19 Depth=3
	v_mov_b32_e32 v32, s33
	ds_cmpst_rtn_b32 v31, v31, v32, v30
	s_andn2_b64 s[26:27], s[26:27], exec
	s_waitcnt lgkmcnt(0)
	v_cmp_ne_u32_e32 vcc, s33, v31
	s_and_b64 s[30:31], vcc, exec
	s_or_b64 s[26:27], s[26:27], s[30:31]
.LBB235_23:                             ;   in Loop: Header=BB235_19 Depth=3
	s_or_b64 exec, exec, s[28:29]
	s_mov_b64 s[28:29], -1
                                        ; implicit-def: $vgpr31
                                        ; implicit-def: $vgpr32
	s_and_saveexec_b64 s[30:31], s[26:27]
	s_cbranch_execz .LBB235_18
; %bb.24:                               ;   in Loop: Header=BB235_19 Depth=3
	v_lshl_add_u32 v31, v29, 2, 0
	ds_read_b32 v32, v31
	s_waitcnt lgkmcnt(0)
	v_cmp_eq_u32_e32 vcc, v32, v30
	s_orn2_b64 s[28:29], vcc, exec
	s_branch .LBB235_18
.LBB235_25:
	s_or_b64 exec, exec, s[2:3]
.LBB235_26:
	s_andn2_b64 vcc, exec, s[6:7]
	s_cbranch_vccnz .LBB235_41
; %bb.27:
	s_waitcnt lgkmcnt(0)
	s_ashr_i32 s49, s48, 31
	s_lshl_b64 s[0:1], s[48:49], 3
	s_add_u32 s0, s36, s0
	s_addc_u32 s1, s37, s1
	s_load_dwordx4 s[4:7], s[0:1], 0x0
	v_subrev_co_u32_e32 v2, vcc, s47, v0
	s_nop 1
	v_subb_co_u32_e64 v3, s[0:1], 0, 0, vcc
	s_waitcnt lgkmcnt(0)
	s_sub_u32 s0, s6, s47
	s_subb_u32 s1, s7, 0
	s_waitcnt vmcnt(0)
	v_lshl_add_u64 v[10:11], s[4:5], 0, v[2:3]
	v_cmp_gt_i64_e32 vcc, s[0:1], v[10:11]
	s_and_saveexec_b64 s[2:3], vcc
	s_cbranch_execz .LBB235_40
; %bb.28:
	s_mov_b64 s[4:5], 0
	s_movk_i32 s18, 0x89
	s_mov_b64 s[6:7], 0x400
	s_branch .LBB235_31
.LBB235_29:                             ;   in Loop: Header=BB235_31 Depth=1
	s_or_b64 exec, exec, s[10:11]
.LBB235_30:                             ;   in Loop: Header=BB235_31 Depth=1
	s_or_b64 exec, exec, s[8:9]
	s_waitcnt vmcnt(0)
	v_mul_f64 v[14:15], v[4:5], -v[6:7]
	v_mul_f64 v[4:5], v[8:9], v[4:5]
	v_fmac_f64_e32 v[14:15], v[8:9], v[2:3]
	v_fmac_f64_e32 v[4:5], v[6:7], v[2:3]
	v_lshl_add_u32 v2, v12, 4, 0
	v_add_u32_e32 v2, 0x10000, v2
	ds_add_f64 v2, v[14:15]
	ds_add_f64 v2, v[4:5] offset:8
	v_lshl_add_u64 v[10:11], v[10:11], 0, s[6:7]
	v_cmp_le_i64_e32 vcc, s[0:1], v[10:11]
	s_or_b64 s[4:5], vcc, s[4:5]
	s_andn2_b64 exec, exec, s[4:5]
	s_cbranch_execz .LBB235_40
.LBB235_31:                             ; =>This Loop Header: Depth=1
                                        ;     Child Loop BB235_34 Depth 2
	v_lshl_add_u64 v[2:3], v[10:11], 2, s[38:39]
	global_load_dword v12, v[2:3], off
	v_lshl_add_u64 v[2:3], v[10:11], 4, s[40:41]
	global_load_dwordx4 v[2:5], v[2:3], off
	s_waitcnt vmcnt(1)
	v_subrev_u32_e32 v13, s47, v12
	v_mul_lo_u32 v12, v13, s18
	v_and_b32_e32 v12, 0x3fff, v12
	v_lshl_add_u32 v14, v12, 2, 0
	ds_read_b32 v15, v14
	s_waitcnt lgkmcnt(0)
	v_cmp_ne_u32_e32 vcc, v15, v13
	s_and_saveexec_b64 s[8:9], vcc
	s_cbranch_execz .LBB235_30
; %bb.32:                               ;   in Loop: Header=BB235_31 Depth=1
	s_mov_b64 s[10:11], 0
	s_branch .LBB235_34
.LBB235_33:                             ;   in Loop: Header=BB235_34 Depth=2
	s_or_b64 exec, exec, s[16:17]
	s_and_b64 s[12:13], exec, s[14:15]
	s_or_b64 s[10:11], s[12:13], s[10:11]
	s_andn2_b64 exec, exec, s[10:11]
	s_cbranch_execz .LBB235_29
.LBB235_34:                             ;   Parent Loop BB235_31 Depth=1
                                        ; =>  This Inner Loop Header: Depth=2
	v_cmp_ne_u32_e32 vcc, s33, v15
	s_mov_b64 s[12:13], 0
	s_and_saveexec_b64 s[14:15], vcc
	s_xor_b64 s[14:15], exec, s[14:15]
	s_cbranch_execz .LBB235_36
; %bb.35:                               ;   in Loop: Header=BB235_34 Depth=2
	v_add_u32_e32 v12, 1, v12
	s_mov_b64 s[12:13], exec
	v_and_b32_e32 v12, 0x3fff, v12
                                        ; implicit-def: $vgpr14
	s_andn2_saveexec_b64 s[14:15], s[14:15]
	s_cbranch_execz .LBB235_38
	s_branch .LBB235_37
.LBB235_36:                             ;   in Loop: Header=BB235_34 Depth=2
	s_andn2_saveexec_b64 s[14:15], s[14:15]
	s_cbranch_execz .LBB235_38
.LBB235_37:                             ;   in Loop: Header=BB235_34 Depth=2
	v_mov_b32_e32 v15, s33
	ds_cmpst_rtn_b32 v14, v14, v15, v13
	s_andn2_b64 s[12:13], s[12:13], exec
	s_waitcnt lgkmcnt(0)
	v_cmp_ne_u32_e32 vcc, s33, v14
	s_and_b64 s[16:17], vcc, exec
	s_or_b64 s[12:13], s[12:13], s[16:17]
.LBB235_38:                             ;   in Loop: Header=BB235_34 Depth=2
	s_or_b64 exec, exec, s[14:15]
	s_mov_b64 s[14:15], -1
                                        ; implicit-def: $vgpr14
                                        ; implicit-def: $vgpr15
	s_and_saveexec_b64 s[16:17], s[12:13]
	s_cbranch_execz .LBB235_33
; %bb.39:                               ;   in Loop: Header=BB235_34 Depth=2
	v_lshl_add_u32 v14, v12, 2, 0
	ds_read_b32 v15, v14
	s_waitcnt lgkmcnt(0)
	v_cmp_eq_u32_e32 vcc, v15, v13
	s_orn2_b64 s[14:15], vcc, exec
	s_branch .LBB235_33
.LBB235_40:
	s_or_b64 exec, exec, s[2:3]
.LBB235_41:
	v_mbcnt_lo_u32_b32 v2, -1, 0
	v_mbcnt_hi_u32_b32 v2, -1, v2
	v_sub_u32_e32 v2, 63, v2
	s_add_i32 s40, 0, 0x50000
	s_movk_i32 s0, 0x3ff
	s_movk_i32 s2, 0x7f
	;; [unrolled: 1-line block ×15, first 2 shown]
	s_add_i32 s59, 0, 0x5003c
	v_lshrrev_b64 v[2:3], v2, -1
	v_lshl_add_u32 v4, v28, 2, s40
	v_cmp_eq_u32_e32 vcc, s0, v0
	v_cmp_lt_u32_e64 s[0:1], 63, v0
	v_cmp_lt_u32_e64 s[2:3], s2, v0
	;; [unrolled: 1-line block ×15, first 2 shown]
	v_add_u32_e32 v5, 0x10000, v27
	s_mov_b64 s[36:37], 0
	s_waitcnt vmcnt(0)
	v_mov_b32_e32 v6, 0
	s_add_i32 s41, 0, 0x50004
	s_add_i32 s44, 0, 0x50008
	;; [unrolled: 1-line block ×14, first 2 shown]
	v_mov_b32_e32 v7, s59
	s_movk_i32 s60, 0x3bff
	s_waitcnt lgkmcnt(0)
	s_barrier
	s_branch .LBB235_43
.LBB235_42:                             ;   in Loop: Header=BB235_43 Depth=1
	s_or_b64 exec, exec, s[30:31]
	s_waitcnt lgkmcnt(0)
	s_barrier
	ds_read_b32 v8, v7
	v_add_u32_e32 v1, 0x400, v1
	v_cmp_lt_u32_e64 s[30:31], s60, v1
	v_add_u32_e32 v5, 0x4000, v5
	s_or_b64 s[36:37], s[30:31], s[36:37]
	s_waitcnt lgkmcnt(0)
	v_add_u32_e32 v6, v8, v6
	v_add_u32_e32 v26, 0x1000, v26
	s_andn2_b64 exec, exec, s[36:37]
	s_cbranch_execz .LBB235_77
.LBB235_43:                             ; =>This Inner Loop Header: Depth=1
	ds_read2_b64 v[10:13], v5 offset1:1
	ds_read_b32 v9, v26
	s_waitcnt lgkmcnt(1)
	scratch_store_dwordx4 off, v[10:13], off
	s_waitcnt lgkmcnt(0)
	v_cmp_gt_i32_e64 s[30:31], s33, v9
	s_bcnt1_i32_b64 s38, s[30:31]
	s_nop 0
	v_and_b32_e32 v10, s30, v2
	v_and_b32_e32 v8, s31, v3
	v_bcnt_u32_b32 v10, v10, 0
	v_bcnt_u32_b32 v8, v8, v10
	v_mov_b32_e32 v10, s38
	s_barrier
	ds_write_b32 v4, v10
	s_waitcnt lgkmcnt(0)
	s_barrier
	s_and_saveexec_b64 s[38:39], s[0:1]
	s_cbranch_execz .LBB235_60
; %bb.44:                               ;   in Loop: Header=BB235_43 Depth=1
	v_mov_b32_e32 v10, s40
	ds_read_b32 v10, v10
	s_waitcnt lgkmcnt(0)
	v_add_u32_e32 v8, v10, v8
	s_or_b64 exec, exec, s[38:39]
	s_and_saveexec_b64 s[38:39], s[2:3]
	s_cbranch_execnz .LBB235_61
.LBB235_45:                             ;   in Loop: Header=BB235_43 Depth=1
	s_or_b64 exec, exec, s[38:39]
	s_and_saveexec_b64 s[38:39], s[4:5]
	s_cbranch_execz .LBB235_62
.LBB235_46:                             ;   in Loop: Header=BB235_43 Depth=1
	v_mov_b32_e32 v10, s44
	ds_read_b32 v10, v10
	s_waitcnt lgkmcnt(0)
	v_add_u32_e32 v8, v10, v8
	s_or_b64 exec, exec, s[38:39]
	s_and_saveexec_b64 s[38:39], s[6:7]
	s_cbranch_execnz .LBB235_63
.LBB235_47:                             ;   in Loop: Header=BB235_43 Depth=1
	s_or_b64 exec, exec, s[38:39]
	s_and_saveexec_b64 s[38:39], s[8:9]
	s_cbranch_execz .LBB235_64
.LBB235_48:                             ;   in Loop: Header=BB235_43 Depth=1
	v_mov_b32_e32 v10, s47
	ds_read_b32 v10, v10
	s_waitcnt lgkmcnt(0)
	v_add_u32_e32 v8, v10, v8
	s_or_b64 exec, exec, s[38:39]
	s_and_saveexec_b64 s[38:39], s[10:11]
	s_cbranch_execnz .LBB235_65
.LBB235_49:                             ;   in Loop: Header=BB235_43 Depth=1
	s_or_b64 exec, exec, s[38:39]
	s_and_saveexec_b64 s[38:39], s[12:13]
	s_cbranch_execz .LBB235_66
.LBB235_50:                             ;   in Loop: Header=BB235_43 Depth=1
	v_mov_b32_e32 v10, s50
	ds_read_b32 v10, v10
	s_waitcnt lgkmcnt(0)
	v_add_u32_e32 v8, v10, v8
	s_or_b64 exec, exec, s[38:39]
	s_and_saveexec_b64 s[38:39], s[14:15]
	s_cbranch_execnz .LBB235_67
.LBB235_51:                             ;   in Loop: Header=BB235_43 Depth=1
	s_or_b64 exec, exec, s[38:39]
	s_and_saveexec_b64 s[38:39], s[16:17]
	s_cbranch_execz .LBB235_68
.LBB235_52:                             ;   in Loop: Header=BB235_43 Depth=1
	v_mov_b32_e32 v10, s52
	ds_read_b32 v10, v10
	s_waitcnt lgkmcnt(0)
	v_add_u32_e32 v8, v10, v8
	s_or_b64 exec, exec, s[38:39]
	s_and_saveexec_b64 s[38:39], s[18:19]
	s_cbranch_execnz .LBB235_69
.LBB235_53:                             ;   in Loop: Header=BB235_43 Depth=1
	s_or_b64 exec, exec, s[38:39]
	s_and_saveexec_b64 s[38:39], s[20:21]
	s_cbranch_execz .LBB235_70
.LBB235_54:                             ;   in Loop: Header=BB235_43 Depth=1
	v_mov_b32_e32 v10, s54
	ds_read_b32 v10, v10
	s_waitcnt lgkmcnt(0)
	v_add_u32_e32 v8, v10, v8
	s_or_b64 exec, exec, s[38:39]
	s_and_saveexec_b64 s[38:39], s[22:23]
	s_cbranch_execnz .LBB235_71
.LBB235_55:                             ;   in Loop: Header=BB235_43 Depth=1
	s_or_b64 exec, exec, s[38:39]
	s_and_saveexec_b64 s[38:39], s[24:25]
	s_cbranch_execz .LBB235_72
.LBB235_56:                             ;   in Loop: Header=BB235_43 Depth=1
	v_mov_b32_e32 v10, s56
	ds_read_b32 v10, v10
	s_waitcnt lgkmcnt(0)
	v_add_u32_e32 v8, v10, v8
	s_or_b64 exec, exec, s[38:39]
	s_and_saveexec_b64 s[38:39], s[26:27]
	s_cbranch_execnz .LBB235_73
.LBB235_57:                             ;   in Loop: Header=BB235_43 Depth=1
	s_or_b64 exec, exec, s[38:39]
	s_and_saveexec_b64 s[38:39], s[28:29]
	s_cbranch_execz .LBB235_74
.LBB235_58:                             ;   in Loop: Header=BB235_43 Depth=1
	v_mov_b32_e32 v10, s58
	ds_read_b32 v10, v10
	s_waitcnt lgkmcnt(0)
	v_add_u32_e32 v8, v10, v8
	s_or_b64 exec, exec, s[38:39]
	s_and_saveexec_b64 s[38:39], s[30:31]
	s_cbranch_execnz .LBB235_75
.LBB235_59:                             ;   in Loop: Header=BB235_43 Depth=1
	s_or_b64 exec, exec, s[38:39]
	s_and_saveexec_b64 s[30:31], vcc
	s_cbranch_execz .LBB235_42
	s_branch .LBB235_76
.LBB235_60:                             ;   in Loop: Header=BB235_43 Depth=1
	s_or_b64 exec, exec, s[38:39]
	s_and_saveexec_b64 s[38:39], s[2:3]
	s_cbranch_execz .LBB235_45
.LBB235_61:                             ;   in Loop: Header=BB235_43 Depth=1
	v_mov_b32_e32 v10, s41
	ds_read_b32 v10, v10
	s_waitcnt lgkmcnt(0)
	v_add_u32_e32 v8, v10, v8
	s_or_b64 exec, exec, s[38:39]
	s_and_saveexec_b64 s[38:39], s[4:5]
	s_cbranch_execnz .LBB235_46
.LBB235_62:                             ;   in Loop: Header=BB235_43 Depth=1
	s_or_b64 exec, exec, s[38:39]
	s_and_saveexec_b64 s[38:39], s[6:7]
	s_cbranch_execz .LBB235_47
.LBB235_63:                             ;   in Loop: Header=BB235_43 Depth=1
	v_mov_b32_e32 v10, s45
	ds_read_b32 v10, v10
	s_waitcnt lgkmcnt(0)
	v_add_u32_e32 v8, v10, v8
	s_or_b64 exec, exec, s[38:39]
	s_and_saveexec_b64 s[38:39], s[8:9]
	s_cbranch_execnz .LBB235_48
.LBB235_64:                             ;   in Loop: Header=BB235_43 Depth=1
	s_or_b64 exec, exec, s[38:39]
	s_and_saveexec_b64 s[38:39], s[10:11]
	s_cbranch_execz .LBB235_49
.LBB235_65:                             ;   in Loop: Header=BB235_43 Depth=1
	v_mov_b32_e32 v10, s49
	ds_read_b32 v10, v10
	s_waitcnt lgkmcnt(0)
	v_add_u32_e32 v8, v10, v8
	s_or_b64 exec, exec, s[38:39]
	s_and_saveexec_b64 s[38:39], s[12:13]
	s_cbranch_execnz .LBB235_50
.LBB235_66:                             ;   in Loop: Header=BB235_43 Depth=1
	s_or_b64 exec, exec, s[38:39]
	s_and_saveexec_b64 s[38:39], s[14:15]
	s_cbranch_execz .LBB235_51
.LBB235_67:                             ;   in Loop: Header=BB235_43 Depth=1
	v_mov_b32_e32 v10, s51
	ds_read_b32 v10, v10
	s_waitcnt lgkmcnt(0)
	v_add_u32_e32 v8, v10, v8
	s_or_b64 exec, exec, s[38:39]
	s_and_saveexec_b64 s[38:39], s[16:17]
	s_cbranch_execnz .LBB235_52
.LBB235_68:                             ;   in Loop: Header=BB235_43 Depth=1
	s_or_b64 exec, exec, s[38:39]
	s_and_saveexec_b64 s[38:39], s[18:19]
	s_cbranch_execz .LBB235_53
.LBB235_69:                             ;   in Loop: Header=BB235_43 Depth=1
	v_mov_b32_e32 v10, s53
	ds_read_b32 v10, v10
	s_waitcnt lgkmcnt(0)
	v_add_u32_e32 v8, v10, v8
	s_or_b64 exec, exec, s[38:39]
	s_and_saveexec_b64 s[38:39], s[20:21]
	s_cbranch_execnz .LBB235_54
.LBB235_70:                             ;   in Loop: Header=BB235_43 Depth=1
	s_or_b64 exec, exec, s[38:39]
	s_and_saveexec_b64 s[38:39], s[22:23]
	s_cbranch_execz .LBB235_55
.LBB235_71:                             ;   in Loop: Header=BB235_43 Depth=1
	v_mov_b32_e32 v10, s55
	ds_read_b32 v10, v10
	s_waitcnt lgkmcnt(0)
	v_add_u32_e32 v8, v10, v8
	s_or_b64 exec, exec, s[38:39]
	s_and_saveexec_b64 s[38:39], s[24:25]
	s_cbranch_execnz .LBB235_56
.LBB235_72:                             ;   in Loop: Header=BB235_43 Depth=1
	s_or_b64 exec, exec, s[38:39]
	s_and_saveexec_b64 s[38:39], s[26:27]
	s_cbranch_execz .LBB235_57
.LBB235_73:                             ;   in Loop: Header=BB235_43 Depth=1
	v_mov_b32_e32 v10, s57
	ds_read_b32 v10, v10
	s_waitcnt lgkmcnt(0)
	v_add_u32_e32 v8, v10, v8
	s_or_b64 exec, exec, s[38:39]
	s_and_saveexec_b64 s[38:39], s[28:29]
	s_cbranch_execnz .LBB235_58
.LBB235_74:                             ;   in Loop: Header=BB235_43 Depth=1
	s_or_b64 exec, exec, s[38:39]
	s_and_saveexec_b64 s[38:39], s[30:31]
	s_cbranch_execz .LBB235_59
.LBB235_75:                             ;   in Loop: Header=BB235_43 Depth=1
	scratch_load_dwordx4 v[10:13], off, off
	v_add3_u32 v14, v6, -1, v8
	v_add_u32_e32 v15, v6, v8
	v_lshl_add_u32 v14, v14, 2, 0
	v_lshl_add_u32 v15, v15, 4, 0
	v_add_u32_e32 v15, 0xfff0, v15
	ds_write_b32 v14, v9
	s_waitcnt vmcnt(0)
	ds_write2_b64 v15, v[10:11], v[12:13] offset1:1
	s_or_b64 exec, exec, s[38:39]
	s_and_saveexec_b64 s[30:31], vcc
	s_cbranch_execz .LBB235_42
.LBB235_76:                             ;   in Loop: Header=BB235_43 Depth=1
	v_mov_b32_e32 v9, s59
	ds_write_b32 v9, v8
	s_branch .LBB235_42
.LBB235_77:
	s_or_b64 exec, exec, s[36:37]
	s_ashr_i32 s49, s48, 31
	s_lshl_b64 s[0:1], s[48:49], 3
	s_add_u32 s4, s42, s0
	s_addc_u32 s5, s43, s1
	s_load_dwordx4 s[0:3], s[4:5], 0x0
	s_waitcnt lgkmcnt(0)
	s_sub_i32 s8, s2, s0
	v_cmp_gt_i32_e32 vcc, s8, v0
	s_and_saveexec_b64 s[4:5], vcc
	s_cbranch_execz .LBB235_87
; %bb.78:
	s_sub_u32 s4, s0, s46
	s_subb_u32 s5, s1, 0
	s_and_b32 s10, s8, 7
	s_sub_i32 s0, s0, s2
	s_cmp_lt_u32 s0, -7
	s_cselect_b64 s[0:1], -1, 0
	s_and_b32 s11, s8, -8
	s_cmp_lg_u32 s10, 0
	v_cndmask_b32_e64 v1, 0, 1, s[0:1]
	s_cselect_b64 s[2:3], -1, 0
	v_cmp_ne_u32_e64 s[0:1], 1, v1
	v_cndmask_b32_e64 v1, 0, 1, s[2:3]
	s_mov_b32 s9, 0
	s_mov_b64 s[6:7], 0
	v_cmp_ne_u32_e64 s[2:3], 1, v1
	s_branch .LBB235_80
.LBB235_79:                             ;   in Loop: Header=BB235_80 Depth=1
	s_waitcnt lgkmcnt(0)
	v_lshl_add_u32 v1, v0, 4, 0
	v_add_u32_e32 v1, 0x10000, v1
	ds_read2_b64 v[4:7], v1 offset1:1
	v_add_u32_e32 v0, 0x400, v0
	v_cmp_le_i32_e32 vcc, s8, v0
	v_lshl_add_u64 v[2:3], v[2:3], 4, s[34:35]
	s_or_b64 s[6:7], vcc, s[6:7]
	s_waitcnt lgkmcnt(0)
	global_store_dwordx4 v[2:3], v[4:7], off
	s_andn2_b64 exec, exec, s[6:7]
	s_cbranch_execz .LBB235_87
.LBB235_80:                             ; =>This Loop Header: Depth=1
                                        ;     Child Loop BB235_82 Depth 2
                                        ;     Child Loop BB235_86 Depth 2
	v_lshl_add_u32 v1, v0, 2, 0
	ds_read_b32 v1, v1
	s_and_b64 vcc, exec, s[0:1]
	v_mov_b64_e32 v[2:3], s[4:5]
	s_mov_b32 s12, 0
	s_cbranch_vccnz .LBB235_84
; %bb.81:                               ;   in Loop: Header=BB235_80 Depth=1
	s_mov_b32 s13, 0
	v_mov_b64_e32 v[2:3], s[4:5]
.LBB235_82:                             ;   Parent Loop BB235_80 Depth=1
                                        ; =>  This Inner Loop Header: Depth=2
	v_mov_b32_e32 v4, s13
	ds_read2_b32 v[20:21], v4 offset1:1
	ds_read2_b32 v[22:23], v4 offset0:2 offset1:3
	ds_read2_b32 v[24:25], v4 offset0:4 offset1:5
	;; [unrolled: 1-line block ×3, first 2 shown]
	v_mov_b32_e32 v5, s9
	s_waitcnt lgkmcnt(3)
	v_cmp_gt_i32_e32 vcc, v1, v20
	v_mov_b32_e32 v7, s9
	v_mov_b32_e32 v9, s9
	v_cndmask_b32_e64 v4, 0, 1, vcc
	v_cmp_gt_i32_e32 vcc, v1, v21
	v_lshl_add_u64 v[2:3], v[2:3], 0, v[4:5]
	v_mov_b32_e32 v11, s9
	v_cndmask_b32_e64 v6, 0, 1, vcc
	s_waitcnt lgkmcnt(2)
	v_cmp_gt_i32_e32 vcc, v1, v22
	v_lshl_add_u64 v[2:3], v[2:3], 0, v[6:7]
	v_mov_b32_e32 v13, s9
	v_cndmask_b32_e64 v8, 0, 1, vcc
	v_cmp_gt_i32_e32 vcc, v1, v23
	v_lshl_add_u64 v[2:3], v[2:3], 0, v[8:9]
	v_mov_b32_e32 v15, s9
	v_cndmask_b32_e64 v10, 0, 1, vcc
	s_waitcnt lgkmcnt(1)
	v_cmp_gt_i32_e32 vcc, v1, v24
	v_lshl_add_u64 v[2:3], v[2:3], 0, v[10:11]
	;; [unrolled: 9-line block ×3, first 2 shown]
	s_add_i32 s12, s12, 8
	v_cndmask_b32_e64 v16, 0, 1, vcc
	v_cmp_gt_i32_e32 vcc, v1, v27
	s_add_i32 s13, s13, 32
	v_lshl_add_u64 v[2:3], v[2:3], 0, v[16:17]
	v_cndmask_b32_e64 v18, 0, 1, vcc
	s_cmp_eq_u32 s11, s12
	v_lshl_add_u64 v[2:3], v[2:3], 0, v[18:19]
	s_cbranch_scc0 .LBB235_82
; %bb.83:                               ;   in Loop: Header=BB235_80 Depth=1
	s_mov_b32 s12, s11
.LBB235_84:                             ;   in Loop: Header=BB235_80 Depth=1
	s_and_b64 vcc, exec, s[2:3]
	s_cbranch_vccnz .LBB235_79
; %bb.85:                               ;   in Loop: Header=BB235_80 Depth=1
	s_lshl_b32 s12, s12, 2
	s_add_i32 s12, s12, 0
	s_mov_b32 s13, s10
.LBB235_86:                             ;   Parent Loop BB235_80 Depth=1
                                        ; =>  This Inner Loop Header: Depth=2
	v_mov_b32_e32 v4, s12
	ds_read_b32 v4, v4
	v_mov_b32_e32 v5, s9
	s_add_i32 s12, s12, 4
	s_add_i32 s13, s13, -1
	s_cmp_lg_u32 s13, 0
	s_waitcnt lgkmcnt(0)
	v_cmp_gt_i32_e32 vcc, v1, v4
	s_nop 1
	v_cndmask_b32_e64 v4, 0, 1, vcc
	v_lshl_add_u64 v[2:3], v[2:3], 0, v[4:5]
	s_cbranch_scc1 .LBB235_86
	s_branch .LBB235_79
.LBB235_87:
	s_endpgm
	.section	.rodata,"a",@progbits
	.p2align	6, 0x0
	.amdhsa_kernel _ZN9rocsparseL41csrgemm_numeric_fill_block_per_row_kernelILj1024ELj64ELj16384ELj137ELj64Eli21rocsparse_complex_numIdEEEvT5_PKS3_S5_NS_24const_host_device_scalarIT6_EEPKT4_S5_PKS7_SB_S5_SD_S8_SB_S5_SD_SB_S5_PS7_21rocsparse_index_base_SF_SF_SF_bbb
		.amdhsa_group_segment_fixed_size 0
		.amdhsa_private_segment_fixed_size 40
		.amdhsa_kernarg_size 172
		.amdhsa_user_sgpr_count 2
		.amdhsa_user_sgpr_dispatch_ptr 0
		.amdhsa_user_sgpr_queue_ptr 0
		.amdhsa_user_sgpr_kernarg_segment_ptr 1
		.amdhsa_user_sgpr_dispatch_id 0
		.amdhsa_user_sgpr_kernarg_preload_length 0
		.amdhsa_user_sgpr_kernarg_preload_offset 0
		.amdhsa_user_sgpr_private_segment_size 0
		.amdhsa_uses_dynamic_stack 0
		.amdhsa_enable_private_segment 1
		.amdhsa_system_sgpr_workgroup_id_x 1
		.amdhsa_system_sgpr_workgroup_id_y 0
		.amdhsa_system_sgpr_workgroup_id_z 0
		.amdhsa_system_sgpr_workgroup_info 0
		.amdhsa_system_vgpr_workitem_id 0
		.amdhsa_next_free_vgpr 33
		.amdhsa_next_free_sgpr 61
		.amdhsa_accum_offset 36
		.amdhsa_reserve_vcc 1
		.amdhsa_float_round_mode_32 0
		.amdhsa_float_round_mode_16_64 0
		.amdhsa_float_denorm_mode_32 3
		.amdhsa_float_denorm_mode_16_64 3
		.amdhsa_dx10_clamp 1
		.amdhsa_ieee_mode 1
		.amdhsa_fp16_overflow 0
		.amdhsa_tg_split 0
		.amdhsa_exception_fp_ieee_invalid_op 0
		.amdhsa_exception_fp_denorm_src 0
		.amdhsa_exception_fp_ieee_div_zero 0
		.amdhsa_exception_fp_ieee_overflow 0
		.amdhsa_exception_fp_ieee_underflow 0
		.amdhsa_exception_fp_ieee_inexact 0
		.amdhsa_exception_int_div_zero 0
	.end_amdhsa_kernel
	.section	.text._ZN9rocsparseL41csrgemm_numeric_fill_block_per_row_kernelILj1024ELj64ELj16384ELj137ELj64Eli21rocsparse_complex_numIdEEEvT5_PKS3_S5_NS_24const_host_device_scalarIT6_EEPKT4_S5_PKS7_SB_S5_SD_S8_SB_S5_SD_SB_S5_PS7_21rocsparse_index_base_SF_SF_SF_bbb,"axG",@progbits,_ZN9rocsparseL41csrgemm_numeric_fill_block_per_row_kernelILj1024ELj64ELj16384ELj137ELj64Eli21rocsparse_complex_numIdEEEvT5_PKS3_S5_NS_24const_host_device_scalarIT6_EEPKT4_S5_PKS7_SB_S5_SD_S8_SB_S5_SD_SB_S5_PS7_21rocsparse_index_base_SF_SF_SF_bbb,comdat
.Lfunc_end235:
	.size	_ZN9rocsparseL41csrgemm_numeric_fill_block_per_row_kernelILj1024ELj64ELj16384ELj137ELj64Eli21rocsparse_complex_numIdEEEvT5_PKS3_S5_NS_24const_host_device_scalarIT6_EEPKT4_S5_PKS7_SB_S5_SD_S8_SB_S5_SD_SB_S5_PS7_21rocsparse_index_base_SF_SF_SF_bbb, .Lfunc_end235-_ZN9rocsparseL41csrgemm_numeric_fill_block_per_row_kernelILj1024ELj64ELj16384ELj137ELj64Eli21rocsparse_complex_numIdEEEvT5_PKS3_S5_NS_24const_host_device_scalarIT6_EEPKT4_S5_PKS7_SB_S5_SD_S8_SB_S5_SD_SB_S5_PS7_21rocsparse_index_base_SF_SF_SF_bbb
                                        ; -- End function
	.set _ZN9rocsparseL41csrgemm_numeric_fill_block_per_row_kernelILj1024ELj64ELj16384ELj137ELj64Eli21rocsparse_complex_numIdEEEvT5_PKS3_S5_NS_24const_host_device_scalarIT6_EEPKT4_S5_PKS7_SB_S5_SD_S8_SB_S5_SD_SB_S5_PS7_21rocsparse_index_base_SF_SF_SF_bbb.num_vgpr, 33
	.set _ZN9rocsparseL41csrgemm_numeric_fill_block_per_row_kernelILj1024ELj64ELj16384ELj137ELj64Eli21rocsparse_complex_numIdEEEvT5_PKS3_S5_NS_24const_host_device_scalarIT6_EEPKT4_S5_PKS7_SB_S5_SD_S8_SB_S5_SD_SB_S5_PS7_21rocsparse_index_base_SF_SF_SF_bbb.num_agpr, 0
	.set _ZN9rocsparseL41csrgemm_numeric_fill_block_per_row_kernelILj1024ELj64ELj16384ELj137ELj64Eli21rocsparse_complex_numIdEEEvT5_PKS3_S5_NS_24const_host_device_scalarIT6_EEPKT4_S5_PKS7_SB_S5_SD_S8_SB_S5_SD_SB_S5_PS7_21rocsparse_index_base_SF_SF_SF_bbb.numbered_sgpr, 61
	.set _ZN9rocsparseL41csrgemm_numeric_fill_block_per_row_kernelILj1024ELj64ELj16384ELj137ELj64Eli21rocsparse_complex_numIdEEEvT5_PKS3_S5_NS_24const_host_device_scalarIT6_EEPKT4_S5_PKS7_SB_S5_SD_S8_SB_S5_SD_SB_S5_PS7_21rocsparse_index_base_SF_SF_SF_bbb.num_named_barrier, 0
	.set _ZN9rocsparseL41csrgemm_numeric_fill_block_per_row_kernelILj1024ELj64ELj16384ELj137ELj64Eli21rocsparse_complex_numIdEEEvT5_PKS3_S5_NS_24const_host_device_scalarIT6_EEPKT4_S5_PKS7_SB_S5_SD_S8_SB_S5_SD_SB_S5_PS7_21rocsparse_index_base_SF_SF_SF_bbb.private_seg_size, 40
	.set _ZN9rocsparseL41csrgemm_numeric_fill_block_per_row_kernelILj1024ELj64ELj16384ELj137ELj64Eli21rocsparse_complex_numIdEEEvT5_PKS3_S5_NS_24const_host_device_scalarIT6_EEPKT4_S5_PKS7_SB_S5_SD_S8_SB_S5_SD_SB_S5_PS7_21rocsparse_index_base_SF_SF_SF_bbb.uses_vcc, 1
	.set _ZN9rocsparseL41csrgemm_numeric_fill_block_per_row_kernelILj1024ELj64ELj16384ELj137ELj64Eli21rocsparse_complex_numIdEEEvT5_PKS3_S5_NS_24const_host_device_scalarIT6_EEPKT4_S5_PKS7_SB_S5_SD_S8_SB_S5_SD_SB_S5_PS7_21rocsparse_index_base_SF_SF_SF_bbb.uses_flat_scratch, 0
	.set _ZN9rocsparseL41csrgemm_numeric_fill_block_per_row_kernelILj1024ELj64ELj16384ELj137ELj64Eli21rocsparse_complex_numIdEEEvT5_PKS3_S5_NS_24const_host_device_scalarIT6_EEPKT4_S5_PKS7_SB_S5_SD_S8_SB_S5_SD_SB_S5_PS7_21rocsparse_index_base_SF_SF_SF_bbb.has_dyn_sized_stack, 0
	.set _ZN9rocsparseL41csrgemm_numeric_fill_block_per_row_kernelILj1024ELj64ELj16384ELj137ELj64Eli21rocsparse_complex_numIdEEEvT5_PKS3_S5_NS_24const_host_device_scalarIT6_EEPKT4_S5_PKS7_SB_S5_SD_S8_SB_S5_SD_SB_S5_PS7_21rocsparse_index_base_SF_SF_SF_bbb.has_recursion, 0
	.set _ZN9rocsparseL41csrgemm_numeric_fill_block_per_row_kernelILj1024ELj64ELj16384ELj137ELj64Eli21rocsparse_complex_numIdEEEvT5_PKS3_S5_NS_24const_host_device_scalarIT6_EEPKT4_S5_PKS7_SB_S5_SD_S8_SB_S5_SD_SB_S5_PS7_21rocsparse_index_base_SF_SF_SF_bbb.has_indirect_call, 0
	.section	.AMDGPU.csdata,"",@progbits
; Kernel info:
; codeLenInByte = 3508
; TotalNumSgprs: 67
; NumVgprs: 33
; NumAgprs: 0
; TotalNumVgprs: 33
; ScratchSize: 40
; MemoryBound: 0
; FloatMode: 240
; IeeeMode: 1
; LDSByteSize: 0 bytes/workgroup (compile time only)
; SGPRBlocks: 8
; VGPRBlocks: 4
; NumSGPRsForWavesPerEU: 67
; NumVGPRsForWavesPerEU: 33
; AccumOffset: 36
; Occupancy: 8
; WaveLimiterHint : 1
; COMPUTE_PGM_RSRC2:SCRATCH_EN: 1
; COMPUTE_PGM_RSRC2:USER_SGPR: 2
; COMPUTE_PGM_RSRC2:TRAP_HANDLER: 0
; COMPUTE_PGM_RSRC2:TGID_X_EN: 1
; COMPUTE_PGM_RSRC2:TGID_Y_EN: 0
; COMPUTE_PGM_RSRC2:TGID_Z_EN: 0
; COMPUTE_PGM_RSRC2:TIDIG_COMP_CNT: 0
; COMPUTE_PGM_RSRC3_GFX90A:ACCUM_OFFSET: 8
; COMPUTE_PGM_RSRC3_GFX90A:TG_SPLIT: 0
	.section	.text._ZN9rocsparseL41csrgemm_numeric_fill_block_per_row_kernelILj1024ELj64ELj32768ELj137ELj32Eli21rocsparse_complex_numIdEEEvT5_PKS3_S5_NS_24const_host_device_scalarIT6_EEPKT4_S5_PKS7_SB_S5_SD_S8_SB_S5_SD_SB_S5_PS7_21rocsparse_index_base_SF_SF_SF_bbb,"axG",@progbits,_ZN9rocsparseL41csrgemm_numeric_fill_block_per_row_kernelILj1024ELj64ELj32768ELj137ELj32Eli21rocsparse_complex_numIdEEEvT5_PKS3_S5_NS_24const_host_device_scalarIT6_EEPKT4_S5_PKS7_SB_S5_SD_S8_SB_S5_SD_SB_S5_PS7_21rocsparse_index_base_SF_SF_SF_bbb,comdat
	.globl	_ZN9rocsparseL41csrgemm_numeric_fill_block_per_row_kernelILj1024ELj64ELj32768ELj137ELj32Eli21rocsparse_complex_numIdEEEvT5_PKS3_S5_NS_24const_host_device_scalarIT6_EEPKT4_S5_PKS7_SB_S5_SD_S8_SB_S5_SD_SB_S5_PS7_21rocsparse_index_base_SF_SF_SF_bbb ; -- Begin function _ZN9rocsparseL41csrgemm_numeric_fill_block_per_row_kernelILj1024ELj64ELj32768ELj137ELj32Eli21rocsparse_complex_numIdEEEvT5_PKS3_S5_NS_24const_host_device_scalarIT6_EEPKT4_S5_PKS7_SB_S5_SD_S8_SB_S5_SD_SB_S5_PS7_21rocsparse_index_base_SF_SF_SF_bbb
	.p2align	8
	.type	_ZN9rocsparseL41csrgemm_numeric_fill_block_per_row_kernelILj1024ELj64ELj32768ELj137ELj32Eli21rocsparse_complex_numIdEEEvT5_PKS3_S5_NS_24const_host_device_scalarIT6_EEPKT4_S5_PKS7_SB_S5_SD_S8_SB_S5_SD_SB_S5_PS7_21rocsparse_index_base_SF_SF_SF_bbb,@function
_ZN9rocsparseL41csrgemm_numeric_fill_block_per_row_kernelILj1024ELj64ELj32768ELj137ELj32Eli21rocsparse_complex_numIdEEEvT5_PKS3_S5_NS_24const_host_device_scalarIT6_EEPKT4_S5_PKS7_SB_S5_SD_S8_SB_S5_SD_SB_S5_PS7_21rocsparse_index_base_SF_SF_SF_bbb: ; @_ZN9rocsparseL41csrgemm_numeric_fill_block_per_row_kernelILj1024ELj64ELj32768ELj137ELj32Eli21rocsparse_complex_numIdEEEvT5_PKS3_S5_NS_24const_host_device_scalarIT6_EEPKT4_S5_PKS7_SB_S5_SD_S8_SB_S5_SD_SB_S5_PS7_21rocsparse_index_base_SF_SF_SF_bbb
; %bb.0:
	s_load_dword s3, s[0:1], 0xa8
	s_load_dwordx4 s[68:71], s[0:1], 0x98
	s_load_dwordx4 s[8:11], s[0:1], 0x18
	;; [unrolled: 1-line block ×3, first 2 shown]
	v_mov_b64_e32 v[6:7], 0
	s_waitcnt lgkmcnt(0)
	s_bitcmp1_b32 s3, 0
	s_cselect_b64 s[28:29], -1, 0
	s_bitcmp1_b32 s3, 16
	s_cselect_b64 s[30:31], -1, 0
	s_xor_b64 s[4:5], s[30:31], -1
	v_mov_b64_e32 v[2:3], s[8:9]
	v_cndmask_b32_e64 v1, 0, 1, s[4:5]
	scratch_store_dwordx2 off, v[2:3], off offset:16
	v_mov_b64_e32 v[2:3], s[24:25]
	s_bitcmp0_b32 s3, 0
	v_cmp_ne_u32_e64 s[4:5], 1, v1
	v_mov_b64_e32 v[10:11], 0
	v_mov_b64_e32 v[12:13], 0
	scratch_store_dwordx2 off, v[2:3], off offset:24
	s_cbranch_scc1 .LBB236_3
; %bb.1:
	s_mov_b64 s[6:7], src_private_base
	s_and_b64 s[12:13], s[30:31], exec
	s_cselect_b32 s6, s7, s9
	s_cselect_b32 s7, 16, s8
	v_mov_b32_e32 v2, s7
	v_mov_b32_e32 v3, s6
	flat_load_dwordx2 v[10:11], v[2:3]
	s_and_b64 vcc, exec, s[4:5]
	v_mov_b64_e32 v[12:13], s[10:11]
	s_cbranch_vccnz .LBB236_3
; %bb.2:
	v_mov_b64_e32 v[2:3], s[8:9]
	flat_load_dwordx2 v[12:13], v[2:3] offset:8
.LBB236_3:
	s_load_dwordx2 s[6:7], s[0:1], 0x90
	s_load_dwordx8 s[8:15], s[0:1], 0x68
                                        ; implicit-def: $vgpr32 : SGPR spill to VGPR lane
	s_bitcmp1_b32 s3, 8
	v_mov_b64_e32 v[8:9], 0
	s_waitcnt lgkmcnt(0)
	v_writelane_b32 v32, s6, 0
	s_nop 1
	v_writelane_b32 v32, s7, 1
	v_writelane_b32 v32, s8, 2
	s_cselect_b64 s[6:7], -1, 0
	s_bfe_u32 s3, s3, 0x10008
	v_writelane_b32 v32, s9, 3
	v_writelane_b32 v32, s10, 4
	;; [unrolled: 1-line block ×7, first 2 shown]
	s_load_dwordx4 s[16:19], s[0:1], 0x48
	s_load_dwordx4 s[20:23], s[0:1], 0x8
	s_load_dwordx8 s[8:15], s[0:1], 0x28
	s_cmp_eq_u32 s3, 0
	s_cbranch_scc1 .LBB236_6
; %bb.4:
	s_mov_b64 s[34:35], src_private_base
	s_and_b64 s[30:31], s[30:31], exec
	s_cselect_b32 s3, s35, s25
	s_cselect_b32 s30, 24, s24
	v_mov_b32_e32 v2, s30
	v_mov_b32_e32 v3, s3
	flat_load_dwordx2 v[8:9], v[2:3]
	s_and_b64 vcc, exec, s[4:5]
	v_mov_b64_e32 v[6:7], s[26:27]
	s_cbranch_vccnz .LBB236_6
; %bb.5:
	v_mov_b64_e32 v[2:3], s[24:25]
	flat_load_dwordx2 v[6:7], v[2:3] offset:8
.LBB236_6:
	s_load_dword s33, s[0:1], 0x0
	v_lshlrev_b32_e32 v2, 4, v0
	s_mov_b32 s4, 0
	v_or_b32_e32 v1, 0xfffffc00, v0
	v_add_u32_e32 v27, 0, v2
	v_lshl_add_u32 v26, v0, 2, 0
	s_mov_b32 s5, s4
	s_mov_b32 s24, s4
	;; [unrolled: 1-line block ×3, first 2 shown]
	v_add_u32_e32 v14, 0x20008, v27
	s_mov_b64 s[0:1], 0
	s_waitcnt lgkmcnt(0)
	v_mov_b32_e32 v17, s33
	v_mov_b64_e32 v[2:3], s[4:5]
	v_mov_b64_e32 v[4:5], s[24:25]
	s_movk_i32 s3, 0x7bff
	v_mov_b32_e32 v15, v26
	v_mov_b32_e32 v16, v1
.LBB236_7:                              ; =>This Inner Loop Header: Depth=1
	v_add_u32_e32 v16, 0x400, v16
	v_cmp_lt_u32_e32 vcc, s3, v16
	ds_write_b32 v15, v17
	v_add_u32_e32 v18, -8, v14
	v_add_u32_e32 v14, 0x4000, v14
	v_add_u32_e32 v15, 0x1000, v15
	s_or_b64 s[0:1], vcc, s[0:1]
	ds_write2_b64 v18, v[2:3], v[4:5] offset1:1
	s_andn2_b64 exec, exec, s[0:1]
	s_cbranch_execnz .LBB236_7
; %bb.8:
	s_or_b64 exec, exec, s[0:1]
	s_waitcnt lgkmcnt(0)
	s_barrier
	s_load_dword s0, s[20:21], 0x0
	s_mov_b32 s1, 0
	s_waitcnt lgkmcnt(0)
	s_add_i32 s0, s0, s2
	s_lshl_b64 s[0:1], s[0:1], 2
	s_add_u32 s0, s22, s0
	s_addc_u32 s1, s23, s1
	s_load_dword s0, s[0:1], 0x0
	s_and_b64 vcc, exec, s[28:29]
	s_waitcnt lgkmcnt(0)
	v_writelane_b32 v32, s0, 10
	s_nop 1
	v_writelane_b32 v32, s1, 11
	s_cbranch_vccz .LBB236_26
; %bb.9:
	v_readlane_b32 s0, v32, 10
	v_readlane_b32 s1, v32, 11
	s_mov_b32 s2, s0
	s_ashr_i32 s3, s0, 31
	v_writelane_b32 v32, s0, 10
	v_lshrrev_b32_e32 v2, 6, v0
	v_subrev_co_u32_e32 v2, vcc, s68, v2
	v_writelane_b32 v32, s1, 11
	s_lshl_b64 s[0:1], s[2:3], 3
	s_add_u32 s0, s8, s0
	s_addc_u32 s1, s9, s1
	s_load_dwordx4 s[20:23], s[0:1], 0x0
	v_subb_co_u32_e64 v3, s[2:3], 0, 0, vcc
	s_waitcnt lgkmcnt(0)
	s_sub_u32 s0, s22, s68
	s_subb_u32 s1, s23, 0
	v_lshl_add_u64 v[14:15], s[20:21], 0, v[2:3]
	v_cmp_gt_i64_e32 vcc, s[0:1], v[14:15]
	s_and_saveexec_b64 s[2:3], vcc
	s_cbranch_execz .LBB236_25
; %bb.10:
	v_and_b32_e32 v2, 63, v0
	v_subrev_co_u32_e32 v16, vcc, s69, v2
	s_mov_b32 s34, s69
	s_nop 0
	v_subb_co_u32_e64 v17, s[4:5], 0, 0, vcc
	s_mov_b64 s[4:5], 0
	s_movk_i32 s35, 0x89
	s_branch .LBB236_12
.LBB236_11:                             ;   in Loop: Header=BB236_12 Depth=1
	s_or_b64 exec, exec, s[8:9]
	v_lshl_add_u64 v[14:15], v[14:15], 0, 16
	v_cmp_le_i64_e32 vcc, s[0:1], v[14:15]
	s_or_b64 s[4:5], vcc, s[4:5]
	s_andn2_b64 exec, exec, s[4:5]
	s_cbranch_execz .LBB236_25
.LBB236_12:                             ; =>This Loop Header: Depth=1
                                        ;     Child Loop BB236_16 Depth 2
                                        ;       Child Loop BB236_19 Depth 3
	v_lshl_add_u64 v[2:3], v[14:15], 2, s[10:11]
	global_load_dword v2, v[2:3], off
	s_waitcnt vmcnt(0)
	v_subrev_u32_e32 v2, s68, v2
	v_ashrrev_i32_e32 v3, 31, v2
	v_lshl_add_u64 v[2:3], v[2:3], 3, s[14:15]
	global_load_dwordx4 v[2:5], v[2:3], off
	s_waitcnt vmcnt(0)
	v_subrev_co_u32_e32 v18, vcc, s34, v4
	s_nop 1
	v_subbrev_co_u32_e32 v19, vcc, 0, v5, vcc
	v_lshl_add_u64 v[20:21], v[2:3], 0, v[16:17]
	v_cmp_lt_i64_e32 vcc, v[20:21], v[18:19]
	s_and_saveexec_b64 s[8:9], vcc
	s_cbranch_execz .LBB236_11
; %bb.13:                               ;   in Loop: Header=BB236_12 Depth=1
	v_lshl_add_u64 v[2:3], v[14:15], 4, s[12:13]
	global_load_dwordx4 v[2:5], v[2:3], off
	s_mov_b64 s[20:21], 0
	s_waitcnt vmcnt(0)
	v_mul_f64 v[22:23], v[4:5], -v[12:13]
	v_mul_f64 v[24:25], v[10:11], v[4:5]
	v_fmac_f64_e32 v[22:23], v[10:11], v[2:3]
	v_fmac_f64_e32 v[24:25], v[12:13], v[2:3]
	s_branch .LBB236_16
.LBB236_14:                             ;   in Loop: Header=BB236_16 Depth=2
	s_or_b64 exec, exec, s[24:25]
.LBB236_15:                             ;   in Loop: Header=BB236_16 Depth=2
	s_or_b64 exec, exec, s[22:23]
	s_waitcnt vmcnt(0)
	v_mul_f64 v[30:31], v[4:5], -v[24:25]
	v_mul_f64 v[4:5], v[22:23], v[4:5]
	v_fmac_f64_e32 v[30:31], v[22:23], v[2:3]
	v_fmac_f64_e32 v[4:5], v[24:25], v[2:3]
	v_lshl_add_u32 v2, v28, 4, 0
	v_add_u32_e32 v2, 0x20000, v2
	ds_add_f64 v2, v[30:31]
	ds_add_f64 v2, v[4:5] offset:8
	v_lshl_add_u64 v[20:21], v[20:21], 0, 64
	v_cmp_ge_i64_e32 vcc, v[20:21], v[18:19]
	s_or_b64 s[20:21], vcc, s[20:21]
	s_andn2_b64 exec, exec, s[20:21]
	s_cbranch_execz .LBB236_11
.LBB236_16:                             ;   Parent Loop BB236_12 Depth=1
                                        ; =>  This Loop Header: Depth=2
                                        ;       Child Loop BB236_19 Depth 3
	v_lshl_add_u64 v[2:3], v[20:21], 2, s[16:17]
	global_load_dword v28, v[2:3], off
	v_lshl_add_u64 v[2:3], v[20:21], 4, s[18:19]
	global_load_dwordx4 v[2:5], v[2:3], off
	s_waitcnt vmcnt(1)
	v_subrev_u32_e32 v29, s69, v28
	v_mul_lo_u32 v28, v29, s35
	v_and_b32_e32 v28, 0x7fff, v28
	v_lshl_add_u32 v30, v28, 2, 0
	ds_read_b32 v31, v30
	s_waitcnt lgkmcnt(0)
	v_cmp_ne_u32_e32 vcc, v31, v29
	s_and_saveexec_b64 s[22:23], vcc
	s_cbranch_execz .LBB236_15
; %bb.17:                               ;   in Loop: Header=BB236_16 Depth=2
	s_mov_b64 s[24:25], 0
	s_branch .LBB236_19
.LBB236_18:                             ;   in Loop: Header=BB236_19 Depth=3
	s_or_b64 exec, exec, s[30:31]
	s_and_b64 s[26:27], exec, s[28:29]
	s_or_b64 s[24:25], s[26:27], s[24:25]
	s_andn2_b64 exec, exec, s[24:25]
	s_cbranch_execz .LBB236_14
.LBB236_19:                             ;   Parent Loop BB236_12 Depth=1
                                        ;     Parent Loop BB236_16 Depth=2
                                        ; =>    This Inner Loop Header: Depth=3
	v_cmp_ne_u32_e32 vcc, s33, v31
	s_mov_b64 s[26:27], 0
	s_and_saveexec_b64 s[28:29], vcc
	s_xor_b64 s[28:29], exec, s[28:29]
	s_cbranch_execz .LBB236_21
; %bb.20:                               ;   in Loop: Header=BB236_19 Depth=3
	v_add_u32_e32 v28, 1, v28
	s_mov_b64 s[26:27], exec
	v_and_b32_e32 v28, 0x7fff, v28
                                        ; implicit-def: $vgpr30
	s_andn2_saveexec_b64 s[28:29], s[28:29]
	s_cbranch_execz .LBB236_23
	s_branch .LBB236_22
.LBB236_21:                             ;   in Loop: Header=BB236_19 Depth=3
	s_andn2_saveexec_b64 s[28:29], s[28:29]
	s_cbranch_execz .LBB236_23
.LBB236_22:                             ;   in Loop: Header=BB236_19 Depth=3
	v_mov_b32_e32 v31, s33
	ds_cmpst_rtn_b32 v30, v30, v31, v29
	s_andn2_b64 s[26:27], s[26:27], exec
	s_waitcnt lgkmcnt(0)
	v_cmp_ne_u32_e32 vcc, s33, v30
	s_and_b64 s[30:31], vcc, exec
	s_or_b64 s[26:27], s[26:27], s[30:31]
.LBB236_23:                             ;   in Loop: Header=BB236_19 Depth=3
	s_or_b64 exec, exec, s[28:29]
	s_mov_b64 s[28:29], -1
                                        ; implicit-def: $vgpr30
                                        ; implicit-def: $vgpr31
	s_and_saveexec_b64 s[30:31], s[26:27]
	s_cbranch_execz .LBB236_18
; %bb.24:                               ;   in Loop: Header=BB236_19 Depth=3
	v_lshl_add_u32 v30, v28, 2, 0
	ds_read_b32 v31, v30
	s_waitcnt lgkmcnt(0)
	v_cmp_eq_u32_e32 vcc, v31, v29
	s_orn2_b64 s[28:29], vcc, exec
	s_branch .LBB236_18
.LBB236_25:
	s_or_b64 exec, exec, s[2:3]
.LBB236_26:
	s_andn2_b64 vcc, exec, s[6:7]
	s_cbranch_vccnz .LBB236_41
; %bb.27:
	v_readlane_b32 s0, v32, 10
	v_readlane_b32 s1, v32, 11
	s_mov_b32 s2, s0
	s_ashr_i32 s3, s0, 31
	v_writelane_b32 v32, s0, 10
	v_subrev_co_u32_e32 v2, vcc, s71, v0
	s_nop 0
	v_writelane_b32 v32, s1, 11
	s_lshl_b64 s[0:1], s[2:3], 3
	v_readlane_b32 s4, v32, 2
	v_readlane_b32 s5, v32, 3
	s_add_u32 s0, s4, s0
	v_readlane_b32 s6, v32, 4
	v_readlane_b32 s7, v32, 5
	s_addc_u32 s1, s5, s1
	s_load_dwordx4 s[4:7], s[0:1], 0x0
	v_subb_co_u32_e64 v3, s[0:1], 0, 0, vcc
	v_readlane_b32 s8, v32, 6
	v_readlane_b32 s9, v32, 7
	s_waitcnt lgkmcnt(0)
	s_sub_u32 s0, s6, s71
	s_subb_u32 s1, s7, 0
	s_waitcnt vmcnt(0)
	v_lshl_add_u64 v[10:11], s[4:5], 0, v[2:3]
	v_cmp_gt_i64_e32 vcc, s[0:1], v[10:11]
	v_readlane_b32 s10, v32, 8
	v_readlane_b32 s11, v32, 9
	s_and_saveexec_b64 s[2:3], vcc
	s_cbranch_execz .LBB236_40
; %bb.28:
	s_mov_b64 s[4:5], 0
	s_movk_i32 s18, 0x89
	s_mov_b64 s[6:7], 0x400
	s_branch .LBB236_31
.LBB236_29:                             ;   in Loop: Header=BB236_31 Depth=1
	s_or_b64 exec, exec, s[10:11]
.LBB236_30:                             ;   in Loop: Header=BB236_31 Depth=1
	s_or_b64 exec, exec, s[8:9]
	s_waitcnt vmcnt(0)
	v_mul_f64 v[14:15], v[4:5], -v[6:7]
	v_mul_f64 v[4:5], v[8:9], v[4:5]
	v_fmac_f64_e32 v[14:15], v[8:9], v[2:3]
	v_fmac_f64_e32 v[4:5], v[6:7], v[2:3]
	v_lshl_add_u32 v2, v12, 4, 0
	v_add_u32_e32 v2, 0x20000, v2
	ds_add_f64 v2, v[14:15]
	ds_add_f64 v2, v[4:5] offset:8
	v_lshl_add_u64 v[10:11], v[10:11], 0, s[6:7]
	v_cmp_le_i64_e32 vcc, s[0:1], v[10:11]
	s_or_b64 s[4:5], vcc, s[4:5]
	s_andn2_b64 exec, exec, s[4:5]
	s_cbranch_execz .LBB236_40
.LBB236_31:                             ; =>This Loop Header: Depth=1
                                        ;     Child Loop BB236_34 Depth 2
	v_readlane_b32 s8, v32, 2
	v_readlane_b32 s10, v32, 4
	;; [unrolled: 1-line block ×5, first 2 shown]
	v_lshl_add_u64 v[2:3], v[10:11], 2, s[10:11]
	global_load_dword v12, v[2:3], off
	v_lshl_add_u64 v[2:3], v[10:11], 4, s[12:13]
	global_load_dwordx4 v[2:5], v[2:3], off
	v_readlane_b32 s9, v32, 3
	v_readlane_b32 s14, v32, 8
	;; [unrolled: 1-line block ×3, first 2 shown]
	s_waitcnt vmcnt(1)
	v_subrev_u32_e32 v13, s71, v12
	v_mul_lo_u32 v12, v13, s18
	v_and_b32_e32 v12, 0x7fff, v12
	v_lshl_add_u32 v14, v12, 2, 0
	ds_read_b32 v15, v14
	s_waitcnt lgkmcnt(0)
	v_cmp_ne_u32_e32 vcc, v15, v13
	s_and_saveexec_b64 s[8:9], vcc
	s_cbranch_execz .LBB236_30
; %bb.32:                               ;   in Loop: Header=BB236_31 Depth=1
	s_mov_b64 s[10:11], 0
	s_branch .LBB236_34
.LBB236_33:                             ;   in Loop: Header=BB236_34 Depth=2
	s_or_b64 exec, exec, s[16:17]
	s_and_b64 s[12:13], exec, s[14:15]
	s_or_b64 s[10:11], s[12:13], s[10:11]
	s_andn2_b64 exec, exec, s[10:11]
	s_cbranch_execz .LBB236_29
.LBB236_34:                             ;   Parent Loop BB236_31 Depth=1
                                        ; =>  This Inner Loop Header: Depth=2
	v_cmp_ne_u32_e32 vcc, s33, v15
	s_mov_b64 s[12:13], 0
	s_and_saveexec_b64 s[14:15], vcc
	s_xor_b64 s[14:15], exec, s[14:15]
	s_cbranch_execz .LBB236_36
; %bb.35:                               ;   in Loop: Header=BB236_34 Depth=2
	v_add_u32_e32 v12, 1, v12
	s_mov_b64 s[12:13], exec
	v_and_b32_e32 v12, 0x7fff, v12
                                        ; implicit-def: $vgpr14
	s_andn2_saveexec_b64 s[14:15], s[14:15]
	s_cbranch_execz .LBB236_38
	s_branch .LBB236_37
.LBB236_36:                             ;   in Loop: Header=BB236_34 Depth=2
	s_andn2_saveexec_b64 s[14:15], s[14:15]
	s_cbranch_execz .LBB236_38
.LBB236_37:                             ;   in Loop: Header=BB236_34 Depth=2
	v_mov_b32_e32 v15, s33
	ds_cmpst_rtn_b32 v14, v14, v15, v13
	s_andn2_b64 s[12:13], s[12:13], exec
	s_waitcnt lgkmcnt(0)
	v_cmp_ne_u32_e32 vcc, s33, v14
	s_and_b64 s[16:17], vcc, exec
	s_or_b64 s[12:13], s[12:13], s[16:17]
.LBB236_38:                             ;   in Loop: Header=BB236_34 Depth=2
	s_or_b64 exec, exec, s[14:15]
	s_mov_b64 s[14:15], -1
                                        ; implicit-def: $vgpr14
                                        ; implicit-def: $vgpr15
	s_and_saveexec_b64 s[16:17], s[12:13]
	s_cbranch_execz .LBB236_33
; %bb.39:                               ;   in Loop: Header=BB236_34 Depth=2
	v_lshl_add_u32 v14, v12, 2, 0
	ds_read_b32 v15, v14
	s_waitcnt lgkmcnt(0)
	v_cmp_eq_u32_e32 vcc, v15, v13
	s_orn2_b64 s[14:15], vcc, exec
	s_branch .LBB236_33
.LBB236_40:
	s_or_b64 exec, exec, s[2:3]
.LBB236_41:
	s_add_i32 s0, 0, 0xa0000
	v_lshrrev_b32_e32 v4, 3, v0
	v_writelane_b32 v32, s0, 12
	s_add_i32 s60, 0, 0xa0004
	v_mbcnt_lo_u32_b32 v2, -1, 0
	v_and_b32_e32 v4, 0x7c, v4
	v_writelane_b32 v32, s60, 13
	s_add_i32 s60, 0, 0xa0008
	v_mbcnt_hi_u32_b32 v2, -1, v2
	v_add_u32_e32 v4, s0, v4
	s_movk_i32 s0, 0x3ff
	v_writelane_b32 v32, s60, 14
	s_add_i32 s60, 0, 0xa000c
	v_sub_u32_e32 v2, 63, v2
	v_cmp_eq_u32_e32 vcc, s0, v0
	s_movk_i32 s0, 0x5f
	s_movk_i32 s2, 0x7f
	;; [unrolled: 1-line block ×29, first 2 shown]
	v_writelane_b32 v32, s60, 15
	s_add_i32 s60, 0, 0xa0014
	v_lshrrev_b64 v[2:3], v2, -1
	v_cmp_lt_u32_e64 s[0:1], s0, v0
	v_cmp_lt_u32_e64 s[2:3], s2, v0
	;; [unrolled: 1-line block ×29, first 2 shown]
	v_add_u32_e32 v5, 0x20000, v27
	s_waitcnt vmcnt(0)
	v_mov_b32_e32 v6, 0
	s_add_i32 s79, 0, 0xa0010
	v_writelane_b32 v32, s60, 16
	s_add_i32 s82, 0, 0xa0018
	s_add_i32 s83, 0, 0xa001c
	s_add_i32 s84, 0, 0xa0020
	s_add_i32 s85, 0, 0xa0024
	s_add_i32 s86, 0, 0xa0028
	s_add_i32 s87, 0, 0xa002c
	s_add_i32 s88, 0, 0xa0030
	s_add_i32 s89, 0, 0xa0034
	s_add_i32 s90, 0, 0xa0038
	s_add_i32 s91, 0, 0xa003c
	s_add_i32 s92, 0, 0xa0040
	s_add_i32 s93, 0, 0xa0044
	s_add_i32 s94, 0, 0xa0048
	s_add_i32 s95, 0, 0xa004c
	s_add_i32 s96, 0, 0xa0050
	s_add_i32 s97, 0, 0xa0054
	s_add_i32 s98, 0, 0xa0058
	s_add_i32 s99, 0, 0xa005c
	s_add_i32 s74, 0, 0xa0060
	s_add_i32 s72, 0, 0xa0064
	s_add_i32 s73, 0, 0xa0068
	s_add_i32 s66, 0, 0xa006c
	s_add_i32 s67, 0, 0xa0070
	s_add_i32 s71, 0, 0xa0074
	s_add_i32 s75, 0, 0xa0078
	s_add_i32 s78, 0, 0xa007c
	v_cmp_lt_u32_e64 s[60:61], 31, v0
	v_cmp_lt_u32_e64 s[62:63], 63, v0
	s_mov_b64 s[68:69], 0
	s_waitcnt lgkmcnt(0)
	s_barrier
	s_branch .LBB236_43
.LBB236_42:                             ;   in Loop: Header=BB236_43 Depth=1
	s_or_b64 exec, exec, s[64:65]
	v_mov_b32_e32 v7, s78
	s_waitcnt lgkmcnt(0)
	s_barrier
	ds_read_b32 v7, v7
	v_add_u32_e32 v1, 0x400, v1
	s_movk_i32 s64, 0x7bff
	v_cmp_lt_u32_e64 s[64:65], s64, v1
	v_add_u32_e32 v5, 0x4000, v5
	s_waitcnt lgkmcnt(0)
	v_add_u32_e32 v6, v7, v6
	s_or_b64 s[68:69], s[64:65], s[68:69]
	v_add_u32_e32 v26, 0x1000, v26
	s_andn2_b64 exec, exec, s[68:69]
	s_cbranch_execz .LBB236_109
.LBB236_43:                             ; =>This Inner Loop Header: Depth=1
	ds_read2_b64 v[10:13], v5 offset1:1
	ds_read_b32 v8, v26
	s_waitcnt lgkmcnt(1)
	scratch_store_dwordx4 off, v[10:13], off
	s_waitcnt lgkmcnt(0)
	v_cmp_gt_i32_e64 s[64:65], s33, v8
	s_bcnt1_i32_b64 s76, s[64:65]
	s_nop 0
	v_and_b32_e32 v9, s64, v2
	v_and_b32_e32 v7, s65, v3
	v_bcnt_u32_b32 v9, v9, 0
	v_bcnt_u32_b32 v7, v7, v9
	v_mov_b32_e32 v9, s76
	s_barrier
	ds_write_b32 v4, v9
	s_waitcnt lgkmcnt(0)
	s_barrier
	s_and_saveexec_b64 s[76:77], s[60:61]
	s_cbranch_execz .LBB236_76
; %bb.44:                               ;   in Loop: Header=BB236_43 Depth=1
	v_readlane_b32 s80, v32, 12
	s_nop 1
	v_mov_b32_e32 v9, s80
	ds_read_b32 v9, v9
	s_waitcnt lgkmcnt(0)
	v_add_u32_e32 v7, v9, v7
	s_or_b64 exec, exec, s[76:77]
	s_and_saveexec_b64 s[76:77], s[62:63]
	s_cbranch_execnz .LBB236_77
.LBB236_45:                             ;   in Loop: Header=BB236_43 Depth=1
	s_or_b64 exec, exec, s[76:77]
	s_and_saveexec_b64 s[76:77], s[0:1]
	s_cbranch_execz .LBB236_78
.LBB236_46:                             ;   in Loop: Header=BB236_43 Depth=1
	v_readlane_b32 s80, v32, 14
	s_nop 1
	v_mov_b32_e32 v9, s80
	ds_read_b32 v9, v9
	s_waitcnt lgkmcnt(0)
	v_add_u32_e32 v7, v9, v7
	s_or_b64 exec, exec, s[76:77]
	s_and_saveexec_b64 s[76:77], s[2:3]
	s_cbranch_execnz .LBB236_79
.LBB236_47:                             ;   in Loop: Header=BB236_43 Depth=1
	s_or_b64 exec, exec, s[76:77]
	s_and_saveexec_b64 s[76:77], s[4:5]
	s_cbranch_execz .LBB236_80
.LBB236_48:                             ;   in Loop: Header=BB236_43 Depth=1
	v_mov_b32_e32 v9, s79
	ds_read_b32 v9, v9
	s_waitcnt lgkmcnt(0)
	v_add_u32_e32 v7, v9, v7
	s_or_b64 exec, exec, s[76:77]
	s_and_saveexec_b64 s[76:77], s[6:7]
	s_cbranch_execnz .LBB236_81
.LBB236_49:                             ;   in Loop: Header=BB236_43 Depth=1
	s_or_b64 exec, exec, s[76:77]
	s_and_saveexec_b64 s[76:77], s[8:9]
	s_cbranch_execz .LBB236_82
.LBB236_50:                             ;   in Loop: Header=BB236_43 Depth=1
	v_mov_b32_e32 v9, s82
	ds_read_b32 v9, v9
	s_waitcnt lgkmcnt(0)
	v_add_u32_e32 v7, v9, v7
	s_or_b64 exec, exec, s[76:77]
	s_and_saveexec_b64 s[76:77], s[10:11]
	s_cbranch_execnz .LBB236_83
.LBB236_51:                             ;   in Loop: Header=BB236_43 Depth=1
	s_or_b64 exec, exec, s[76:77]
	s_and_saveexec_b64 s[76:77], s[12:13]
	s_cbranch_execz .LBB236_84
.LBB236_52:                             ;   in Loop: Header=BB236_43 Depth=1
	v_mov_b32_e32 v9, s84
	ds_read_b32 v9, v9
	s_waitcnt lgkmcnt(0)
	v_add_u32_e32 v7, v9, v7
	s_or_b64 exec, exec, s[76:77]
	s_and_saveexec_b64 s[76:77], s[14:15]
	s_cbranch_execnz .LBB236_85
.LBB236_53:                             ;   in Loop: Header=BB236_43 Depth=1
	s_or_b64 exec, exec, s[76:77]
	s_and_saveexec_b64 s[76:77], s[16:17]
	s_cbranch_execz .LBB236_86
.LBB236_54:                             ;   in Loop: Header=BB236_43 Depth=1
	v_mov_b32_e32 v9, s86
	ds_read_b32 v9, v9
	s_waitcnt lgkmcnt(0)
	v_add_u32_e32 v7, v9, v7
	s_or_b64 exec, exec, s[76:77]
	s_and_saveexec_b64 s[76:77], s[18:19]
	s_cbranch_execnz .LBB236_87
.LBB236_55:                             ;   in Loop: Header=BB236_43 Depth=1
	s_or_b64 exec, exec, s[76:77]
	s_and_saveexec_b64 s[76:77], s[20:21]
	s_cbranch_execz .LBB236_88
.LBB236_56:                             ;   in Loop: Header=BB236_43 Depth=1
	v_mov_b32_e32 v9, s88
	ds_read_b32 v9, v9
	s_waitcnt lgkmcnt(0)
	v_add_u32_e32 v7, v9, v7
	s_or_b64 exec, exec, s[76:77]
	s_and_saveexec_b64 s[76:77], s[22:23]
	s_cbranch_execnz .LBB236_89
.LBB236_57:                             ;   in Loop: Header=BB236_43 Depth=1
	s_or_b64 exec, exec, s[76:77]
	s_and_saveexec_b64 s[76:77], s[24:25]
	s_cbranch_execz .LBB236_90
.LBB236_58:                             ;   in Loop: Header=BB236_43 Depth=1
	v_mov_b32_e32 v9, s90
	ds_read_b32 v9, v9
	s_waitcnt lgkmcnt(0)
	v_add_u32_e32 v7, v9, v7
	s_or_b64 exec, exec, s[76:77]
	s_and_saveexec_b64 s[76:77], s[26:27]
	s_cbranch_execnz .LBB236_91
.LBB236_59:                             ;   in Loop: Header=BB236_43 Depth=1
	s_or_b64 exec, exec, s[76:77]
	s_and_saveexec_b64 s[76:77], s[28:29]
	s_cbranch_execz .LBB236_92
.LBB236_60:                             ;   in Loop: Header=BB236_43 Depth=1
	v_mov_b32_e32 v9, s92
	ds_read_b32 v9, v9
	s_waitcnt lgkmcnt(0)
	v_add_u32_e32 v7, v9, v7
	s_or_b64 exec, exec, s[76:77]
	s_and_saveexec_b64 s[76:77], s[30:31]
	s_cbranch_execnz .LBB236_93
.LBB236_61:                             ;   in Loop: Header=BB236_43 Depth=1
	s_or_b64 exec, exec, s[76:77]
	s_and_saveexec_b64 s[76:77], s[34:35]
	s_cbranch_execz .LBB236_94
.LBB236_62:                             ;   in Loop: Header=BB236_43 Depth=1
	v_mov_b32_e32 v9, s94
	ds_read_b32 v9, v9
	s_waitcnt lgkmcnt(0)
	v_add_u32_e32 v7, v9, v7
	s_or_b64 exec, exec, s[76:77]
	s_and_saveexec_b64 s[76:77], s[36:37]
	s_cbranch_execnz .LBB236_95
.LBB236_63:                             ;   in Loop: Header=BB236_43 Depth=1
	s_or_b64 exec, exec, s[76:77]
	s_and_saveexec_b64 s[76:77], s[38:39]
	s_cbranch_execz .LBB236_96
.LBB236_64:                             ;   in Loop: Header=BB236_43 Depth=1
	v_mov_b32_e32 v9, s96
	ds_read_b32 v9, v9
	s_waitcnt lgkmcnt(0)
	v_add_u32_e32 v7, v9, v7
	s_or_b64 exec, exec, s[76:77]
	s_and_saveexec_b64 s[76:77], s[40:41]
	s_cbranch_execnz .LBB236_97
.LBB236_65:                             ;   in Loop: Header=BB236_43 Depth=1
	s_or_b64 exec, exec, s[76:77]
	s_and_saveexec_b64 s[76:77], s[42:43]
	s_cbranch_execz .LBB236_98
.LBB236_66:                             ;   in Loop: Header=BB236_43 Depth=1
	v_mov_b32_e32 v9, s98
	ds_read_b32 v9, v9
	s_waitcnt lgkmcnt(0)
	v_add_u32_e32 v7, v9, v7
	s_or_b64 exec, exec, s[76:77]
	s_and_saveexec_b64 s[76:77], s[44:45]
	s_cbranch_execnz .LBB236_99
.LBB236_67:                             ;   in Loop: Header=BB236_43 Depth=1
	s_or_b64 exec, exec, s[76:77]
	s_and_saveexec_b64 s[76:77], s[46:47]
	s_cbranch_execz .LBB236_100
.LBB236_68:                             ;   in Loop: Header=BB236_43 Depth=1
	v_mov_b32_e32 v9, s74
	ds_read_b32 v9, v9
	s_waitcnt lgkmcnt(0)
	v_add_u32_e32 v7, v9, v7
	s_or_b64 exec, exec, s[76:77]
	s_and_saveexec_b64 s[76:77], s[48:49]
	s_cbranch_execnz .LBB236_101
.LBB236_69:                             ;   in Loop: Header=BB236_43 Depth=1
	s_or_b64 exec, exec, s[76:77]
	s_and_saveexec_b64 s[76:77], s[50:51]
	s_cbranch_execz .LBB236_102
.LBB236_70:                             ;   in Loop: Header=BB236_43 Depth=1
	v_mov_b32_e32 v9, s73
	ds_read_b32 v9, v9
	s_waitcnt lgkmcnt(0)
	v_add_u32_e32 v7, v9, v7
	s_or_b64 exec, exec, s[76:77]
	s_and_saveexec_b64 s[76:77], s[52:53]
	s_cbranch_execnz .LBB236_103
.LBB236_71:                             ;   in Loop: Header=BB236_43 Depth=1
	s_or_b64 exec, exec, s[76:77]
	s_and_saveexec_b64 s[76:77], s[54:55]
	s_cbranch_execz .LBB236_104
.LBB236_72:                             ;   in Loop: Header=BB236_43 Depth=1
	v_mov_b32_e32 v9, s67
	ds_read_b32 v9, v9
	s_waitcnt lgkmcnt(0)
	v_add_u32_e32 v7, v9, v7
	s_or_b64 exec, exec, s[76:77]
	s_and_saveexec_b64 s[76:77], s[56:57]
	s_cbranch_execnz .LBB236_105
.LBB236_73:                             ;   in Loop: Header=BB236_43 Depth=1
	s_or_b64 exec, exec, s[76:77]
	s_and_saveexec_b64 s[76:77], s[58:59]
	s_cbranch_execz .LBB236_106
.LBB236_74:                             ;   in Loop: Header=BB236_43 Depth=1
	v_mov_b32_e32 v9, s75
	ds_read_b32 v9, v9
	s_waitcnt lgkmcnt(0)
	v_add_u32_e32 v7, v9, v7
	s_or_b64 exec, exec, s[76:77]
	s_and_saveexec_b64 s[76:77], s[64:65]
	s_cbranch_execnz .LBB236_107
.LBB236_75:                             ;   in Loop: Header=BB236_43 Depth=1
	s_or_b64 exec, exec, s[76:77]
	s_and_saveexec_b64 s[64:65], vcc
	s_cbranch_execz .LBB236_42
	s_branch .LBB236_108
.LBB236_76:                             ;   in Loop: Header=BB236_43 Depth=1
	s_or_b64 exec, exec, s[76:77]
	s_and_saveexec_b64 s[76:77], s[62:63]
	s_cbranch_execz .LBB236_45
.LBB236_77:                             ;   in Loop: Header=BB236_43 Depth=1
	v_readlane_b32 s80, v32, 13
	s_nop 1
	v_mov_b32_e32 v9, s80
	ds_read_b32 v9, v9
	s_waitcnt lgkmcnt(0)
	v_add_u32_e32 v7, v9, v7
	s_or_b64 exec, exec, s[76:77]
	s_and_saveexec_b64 s[76:77], s[0:1]
	s_cbranch_execnz .LBB236_46
.LBB236_78:                             ;   in Loop: Header=BB236_43 Depth=1
	s_or_b64 exec, exec, s[76:77]
	s_and_saveexec_b64 s[76:77], s[2:3]
	s_cbranch_execz .LBB236_47
.LBB236_79:                             ;   in Loop: Header=BB236_43 Depth=1
	v_readlane_b32 s80, v32, 15
	s_nop 1
	v_mov_b32_e32 v9, s80
	ds_read_b32 v9, v9
	s_waitcnt lgkmcnt(0)
	v_add_u32_e32 v7, v9, v7
	s_or_b64 exec, exec, s[76:77]
	s_and_saveexec_b64 s[76:77], s[4:5]
	s_cbranch_execnz .LBB236_48
.LBB236_80:                             ;   in Loop: Header=BB236_43 Depth=1
	s_or_b64 exec, exec, s[76:77]
	s_and_saveexec_b64 s[76:77], s[6:7]
	s_cbranch_execz .LBB236_49
.LBB236_81:                             ;   in Loop: Header=BB236_43 Depth=1
	v_readlane_b32 s80, v32, 16
	s_nop 1
	v_mov_b32_e32 v9, s80
	ds_read_b32 v9, v9
	s_waitcnt lgkmcnt(0)
	v_add_u32_e32 v7, v9, v7
	s_or_b64 exec, exec, s[76:77]
	s_and_saveexec_b64 s[76:77], s[8:9]
	s_cbranch_execnz .LBB236_50
.LBB236_82:                             ;   in Loop: Header=BB236_43 Depth=1
	s_or_b64 exec, exec, s[76:77]
	s_and_saveexec_b64 s[76:77], s[10:11]
	s_cbranch_execz .LBB236_51
.LBB236_83:                             ;   in Loop: Header=BB236_43 Depth=1
	v_mov_b32_e32 v9, s83
	ds_read_b32 v9, v9
	s_waitcnt lgkmcnt(0)
	v_add_u32_e32 v7, v9, v7
	s_or_b64 exec, exec, s[76:77]
	s_and_saveexec_b64 s[76:77], s[12:13]
	s_cbranch_execnz .LBB236_52
.LBB236_84:                             ;   in Loop: Header=BB236_43 Depth=1
	s_or_b64 exec, exec, s[76:77]
	s_and_saveexec_b64 s[76:77], s[14:15]
	s_cbranch_execz .LBB236_53
.LBB236_85:                             ;   in Loop: Header=BB236_43 Depth=1
	v_mov_b32_e32 v9, s85
	ds_read_b32 v9, v9
	s_waitcnt lgkmcnt(0)
	v_add_u32_e32 v7, v9, v7
	s_or_b64 exec, exec, s[76:77]
	s_and_saveexec_b64 s[76:77], s[16:17]
	s_cbranch_execnz .LBB236_54
.LBB236_86:                             ;   in Loop: Header=BB236_43 Depth=1
	s_or_b64 exec, exec, s[76:77]
	s_and_saveexec_b64 s[76:77], s[18:19]
	s_cbranch_execz .LBB236_55
.LBB236_87:                             ;   in Loop: Header=BB236_43 Depth=1
	v_mov_b32_e32 v9, s87
	ds_read_b32 v9, v9
	s_waitcnt lgkmcnt(0)
	v_add_u32_e32 v7, v9, v7
	s_or_b64 exec, exec, s[76:77]
	s_and_saveexec_b64 s[76:77], s[20:21]
	s_cbranch_execnz .LBB236_56
.LBB236_88:                             ;   in Loop: Header=BB236_43 Depth=1
	s_or_b64 exec, exec, s[76:77]
	s_and_saveexec_b64 s[76:77], s[22:23]
	s_cbranch_execz .LBB236_57
.LBB236_89:                             ;   in Loop: Header=BB236_43 Depth=1
	v_mov_b32_e32 v9, s89
	ds_read_b32 v9, v9
	s_waitcnt lgkmcnt(0)
	v_add_u32_e32 v7, v9, v7
	s_or_b64 exec, exec, s[76:77]
	s_and_saveexec_b64 s[76:77], s[24:25]
	s_cbranch_execnz .LBB236_58
.LBB236_90:                             ;   in Loop: Header=BB236_43 Depth=1
	s_or_b64 exec, exec, s[76:77]
	s_and_saveexec_b64 s[76:77], s[26:27]
	s_cbranch_execz .LBB236_59
.LBB236_91:                             ;   in Loop: Header=BB236_43 Depth=1
	v_mov_b32_e32 v9, s91
	ds_read_b32 v9, v9
	s_waitcnt lgkmcnt(0)
	v_add_u32_e32 v7, v9, v7
	s_or_b64 exec, exec, s[76:77]
	s_and_saveexec_b64 s[76:77], s[28:29]
	s_cbranch_execnz .LBB236_60
.LBB236_92:                             ;   in Loop: Header=BB236_43 Depth=1
	s_or_b64 exec, exec, s[76:77]
	s_and_saveexec_b64 s[76:77], s[30:31]
	s_cbranch_execz .LBB236_61
.LBB236_93:                             ;   in Loop: Header=BB236_43 Depth=1
	v_mov_b32_e32 v9, s93
	ds_read_b32 v9, v9
	s_waitcnt lgkmcnt(0)
	v_add_u32_e32 v7, v9, v7
	s_or_b64 exec, exec, s[76:77]
	s_and_saveexec_b64 s[76:77], s[34:35]
	s_cbranch_execnz .LBB236_62
.LBB236_94:                             ;   in Loop: Header=BB236_43 Depth=1
	s_or_b64 exec, exec, s[76:77]
	s_and_saveexec_b64 s[76:77], s[36:37]
	s_cbranch_execz .LBB236_63
.LBB236_95:                             ;   in Loop: Header=BB236_43 Depth=1
	v_mov_b32_e32 v9, s95
	ds_read_b32 v9, v9
	s_waitcnt lgkmcnt(0)
	v_add_u32_e32 v7, v9, v7
	s_or_b64 exec, exec, s[76:77]
	s_and_saveexec_b64 s[76:77], s[38:39]
	s_cbranch_execnz .LBB236_64
.LBB236_96:                             ;   in Loop: Header=BB236_43 Depth=1
	s_or_b64 exec, exec, s[76:77]
	s_and_saveexec_b64 s[76:77], s[40:41]
	s_cbranch_execz .LBB236_65
.LBB236_97:                             ;   in Loop: Header=BB236_43 Depth=1
	v_mov_b32_e32 v9, s97
	ds_read_b32 v9, v9
	s_waitcnt lgkmcnt(0)
	v_add_u32_e32 v7, v9, v7
	s_or_b64 exec, exec, s[76:77]
	s_and_saveexec_b64 s[76:77], s[42:43]
	s_cbranch_execnz .LBB236_66
.LBB236_98:                             ;   in Loop: Header=BB236_43 Depth=1
	s_or_b64 exec, exec, s[76:77]
	s_and_saveexec_b64 s[76:77], s[44:45]
	s_cbranch_execz .LBB236_67
.LBB236_99:                             ;   in Loop: Header=BB236_43 Depth=1
	v_mov_b32_e32 v9, s99
	ds_read_b32 v9, v9
	s_waitcnt lgkmcnt(0)
	v_add_u32_e32 v7, v9, v7
	s_or_b64 exec, exec, s[76:77]
	s_and_saveexec_b64 s[76:77], s[46:47]
	s_cbranch_execnz .LBB236_68
.LBB236_100:                            ;   in Loop: Header=BB236_43 Depth=1
	s_or_b64 exec, exec, s[76:77]
	s_and_saveexec_b64 s[76:77], s[48:49]
	s_cbranch_execz .LBB236_69
.LBB236_101:                            ;   in Loop: Header=BB236_43 Depth=1
	v_mov_b32_e32 v9, s72
	ds_read_b32 v9, v9
	s_waitcnt lgkmcnt(0)
	v_add_u32_e32 v7, v9, v7
	s_or_b64 exec, exec, s[76:77]
	s_and_saveexec_b64 s[76:77], s[50:51]
	s_cbranch_execnz .LBB236_70
.LBB236_102:                            ;   in Loop: Header=BB236_43 Depth=1
	s_or_b64 exec, exec, s[76:77]
	s_and_saveexec_b64 s[76:77], s[52:53]
	s_cbranch_execz .LBB236_71
.LBB236_103:                            ;   in Loop: Header=BB236_43 Depth=1
	v_mov_b32_e32 v9, s66
	ds_read_b32 v9, v9
	s_waitcnt lgkmcnt(0)
	v_add_u32_e32 v7, v9, v7
	s_or_b64 exec, exec, s[76:77]
	s_and_saveexec_b64 s[76:77], s[54:55]
	s_cbranch_execnz .LBB236_72
.LBB236_104:                            ;   in Loop: Header=BB236_43 Depth=1
	s_or_b64 exec, exec, s[76:77]
	s_and_saveexec_b64 s[76:77], s[56:57]
	s_cbranch_execz .LBB236_73
.LBB236_105:                            ;   in Loop: Header=BB236_43 Depth=1
	v_mov_b32_e32 v9, s71
	ds_read_b32 v9, v9
	s_waitcnt lgkmcnt(0)
	v_add_u32_e32 v7, v9, v7
	s_or_b64 exec, exec, s[76:77]
	s_and_saveexec_b64 s[76:77], s[58:59]
	s_cbranch_execnz .LBB236_74
.LBB236_106:                            ;   in Loop: Header=BB236_43 Depth=1
	s_or_b64 exec, exec, s[76:77]
	s_and_saveexec_b64 s[76:77], s[64:65]
	s_cbranch_execz .LBB236_75
.LBB236_107:                            ;   in Loop: Header=BB236_43 Depth=1
	scratch_load_dwordx4 v[10:13], off, off
	v_add3_u32 v9, v6, -1, v7
	v_lshl_add_u32 v14, v9, 2, 0
	v_lshl_add_u32 v9, v9, 4, 0
	v_add_u32_e32 v9, 0x20000, v9
	ds_write_b32 v14, v8
	s_waitcnt vmcnt(0)
	ds_write2_b64 v9, v[10:11], v[12:13] offset1:1
	s_or_b64 exec, exec, s[76:77]
	s_and_saveexec_b64 s[64:65], vcc
	s_cbranch_execz .LBB236_42
.LBB236_108:                            ;   in Loop: Header=BB236_43 Depth=1
	v_mov_b32_e32 v8, s78
	ds_write_b32 v8, v7
	s_branch .LBB236_42
.LBB236_109:
	s_or_b64 exec, exec, s[68:69]
	v_readlane_b32 s0, v32, 10
	v_readlane_b32 s1, v32, 11
	;; [unrolled: 1-line block ×3, first 2 shown]
	s_ashr_i32 s1, s0, 31
	v_readlane_b32 s6, v32, 4
	v_readlane_b32 s7, v32, 5
	;; [unrolled: 1-line block ×4, first 2 shown]
	s_lshl_b64 s[0:1], s[0:1], 3
	s_mov_b64 s[6:7], s[10:11]
	v_readlane_b32 s5, v32, 3
	s_add_u32 s4, s6, s0
	s_addc_u32 s5, s7, s1
	s_load_dwordx4 s[0:3], s[4:5], 0x0
	v_readlane_b32 s8, v32, 6
	v_readlane_b32 s9, v32, 7
	s_waitcnt lgkmcnt(0)
	s_sub_i32 s8, s2, s0
	v_cmp_gt_i32_e32 vcc, s8, v0
	s_and_saveexec_b64 s[4:5], vcc
	s_cbranch_execz .LBB236_119
; %bb.110:
	s_sub_u32 s4, s0, s70
	s_subb_u32 s5, s1, 0
	s_and_b32 s10, s8, 7
	s_sub_i32 s0, s0, s2
	s_cmp_lt_u32 s0, -7
	s_cselect_b64 s[0:1], -1, 0
	s_and_b32 s11, s8, -8
	s_cmp_lg_u32 s10, 0
	v_cndmask_b32_e64 v1, 0, 1, s[0:1]
	s_cselect_b64 s[2:3], -1, 0
	v_cmp_ne_u32_e64 s[0:1], 1, v1
	v_cndmask_b32_e64 v1, 0, 1, s[2:3]
	s_mov_b32 s9, 0
	s_mov_b64 s[6:7], 0
	v_cmp_ne_u32_e64 s[2:3], 1, v1
	s_branch .LBB236_112
.LBB236_111:                            ;   in Loop: Header=BB236_112 Depth=1
	s_waitcnt lgkmcnt(0)
	v_lshl_add_u32 v1, v0, 4, 0
	v_add_u32_e32 v1, 0x20000, v1
	ds_read2_b64 v[4:7], v1 offset1:1
	v_readlane_b32 s12, v32, 0
	v_add_u32_e32 v0, 0x400, v0
	v_readlane_b32 s13, v32, 1
	v_cmp_le_i32_e32 vcc, s8, v0
	s_or_b64 s[6:7], vcc, s[6:7]
	v_lshl_add_u64 v[2:3], v[2:3], 4, s[12:13]
	s_waitcnt lgkmcnt(0)
	global_store_dwordx4 v[2:3], v[4:7], off
	s_andn2_b64 exec, exec, s[6:7]
	s_cbranch_execz .LBB236_119
.LBB236_112:                            ; =>This Loop Header: Depth=1
                                        ;     Child Loop BB236_114 Depth 2
                                        ;     Child Loop BB236_118 Depth 2
	v_lshl_add_u32 v1, v0, 2, 0
	ds_read_b32 v1, v1
	s_and_b64 vcc, exec, s[0:1]
	v_mov_b64_e32 v[2:3], s[4:5]
	s_mov_b32 s12, 0
	s_cbranch_vccnz .LBB236_116
; %bb.113:                              ;   in Loop: Header=BB236_112 Depth=1
	s_mov_b32 s13, 0
	v_mov_b64_e32 v[2:3], s[4:5]
.LBB236_114:                            ;   Parent Loop BB236_112 Depth=1
                                        ; =>  This Inner Loop Header: Depth=2
	v_mov_b32_e32 v4, s13
	ds_read2_b32 v[20:21], v4 offset1:1
	ds_read2_b32 v[22:23], v4 offset0:2 offset1:3
	ds_read2_b32 v[24:25], v4 offset0:4 offset1:5
	;; [unrolled: 1-line block ×3, first 2 shown]
	v_mov_b32_e32 v5, s9
	s_waitcnt lgkmcnt(3)
	v_cmp_gt_i32_e32 vcc, v1, v20
	v_mov_b32_e32 v7, s9
	v_mov_b32_e32 v9, s9
	v_cndmask_b32_e64 v4, 0, 1, vcc
	v_cmp_gt_i32_e32 vcc, v1, v21
	v_lshl_add_u64 v[2:3], v[2:3], 0, v[4:5]
	v_mov_b32_e32 v11, s9
	v_cndmask_b32_e64 v6, 0, 1, vcc
	s_waitcnt lgkmcnt(2)
	v_cmp_gt_i32_e32 vcc, v1, v22
	v_lshl_add_u64 v[2:3], v[2:3], 0, v[6:7]
	v_mov_b32_e32 v13, s9
	v_cndmask_b32_e64 v8, 0, 1, vcc
	v_cmp_gt_i32_e32 vcc, v1, v23
	v_lshl_add_u64 v[2:3], v[2:3], 0, v[8:9]
	v_mov_b32_e32 v15, s9
	v_cndmask_b32_e64 v10, 0, 1, vcc
	s_waitcnt lgkmcnt(1)
	v_cmp_gt_i32_e32 vcc, v1, v24
	v_lshl_add_u64 v[2:3], v[2:3], 0, v[10:11]
	;; [unrolled: 9-line block ×3, first 2 shown]
	s_add_i32 s12, s12, 8
	v_cndmask_b32_e64 v16, 0, 1, vcc
	v_cmp_gt_i32_e32 vcc, v1, v27
	s_add_i32 s13, s13, 32
	v_lshl_add_u64 v[2:3], v[2:3], 0, v[16:17]
	v_cndmask_b32_e64 v18, 0, 1, vcc
	s_cmp_eq_u32 s11, s12
	v_lshl_add_u64 v[2:3], v[2:3], 0, v[18:19]
	s_cbranch_scc0 .LBB236_114
; %bb.115:                              ;   in Loop: Header=BB236_112 Depth=1
	s_mov_b32 s12, s11
.LBB236_116:                            ;   in Loop: Header=BB236_112 Depth=1
	s_and_b64 vcc, exec, s[2:3]
	s_cbranch_vccnz .LBB236_111
; %bb.117:                              ;   in Loop: Header=BB236_112 Depth=1
	s_lshl_b32 s12, s12, 2
	s_add_i32 s12, s12, 0
	s_mov_b32 s13, s10
.LBB236_118:                            ;   Parent Loop BB236_112 Depth=1
                                        ; =>  This Inner Loop Header: Depth=2
	v_mov_b32_e32 v4, s12
	ds_read_b32 v4, v4
	v_mov_b32_e32 v5, s9
	s_add_i32 s12, s12, 4
	s_add_i32 s13, s13, -1
	s_cmp_lg_u32 s13, 0
	s_waitcnt lgkmcnt(0)
	v_cmp_gt_i32_e32 vcc, v1, v4
	s_nop 1
	v_cndmask_b32_e64 v4, 0, 1, vcc
	v_lshl_add_u64 v[2:3], v[2:3], 0, v[4:5]
	s_cbranch_scc1 .LBB236_118
	s_branch .LBB236_111
.LBB236_119:
	s_endpgm
	.section	.rodata,"a",@progbits
	.p2align	6, 0x0
	.amdhsa_kernel _ZN9rocsparseL41csrgemm_numeric_fill_block_per_row_kernelILj1024ELj64ELj32768ELj137ELj32Eli21rocsparse_complex_numIdEEEvT5_PKS3_S5_NS_24const_host_device_scalarIT6_EEPKT4_S5_PKS7_SB_S5_SD_S8_SB_S5_SD_SB_S5_PS7_21rocsparse_index_base_SF_SF_SF_bbb
		.amdhsa_group_segment_fixed_size 0
		.amdhsa_private_segment_fixed_size 40
		.amdhsa_kernarg_size 172
		.amdhsa_user_sgpr_count 2
		.amdhsa_user_sgpr_dispatch_ptr 0
		.amdhsa_user_sgpr_queue_ptr 0
		.amdhsa_user_sgpr_kernarg_segment_ptr 1
		.amdhsa_user_sgpr_dispatch_id 0
		.amdhsa_user_sgpr_kernarg_preload_length 0
		.amdhsa_user_sgpr_kernarg_preload_offset 0
		.amdhsa_user_sgpr_private_segment_size 0
		.amdhsa_uses_dynamic_stack 0
		.amdhsa_enable_private_segment 1
		.amdhsa_system_sgpr_workgroup_id_x 1
		.amdhsa_system_sgpr_workgroup_id_y 0
		.amdhsa_system_sgpr_workgroup_id_z 0
		.amdhsa_system_sgpr_workgroup_info 0
		.amdhsa_system_vgpr_workitem_id 0
		.amdhsa_next_free_vgpr 33
		.amdhsa_next_free_sgpr 100
		.amdhsa_accum_offset 36
		.amdhsa_reserve_vcc 1
		.amdhsa_float_round_mode_32 0
		.amdhsa_float_round_mode_16_64 0
		.amdhsa_float_denorm_mode_32 3
		.amdhsa_float_denorm_mode_16_64 3
		.amdhsa_dx10_clamp 1
		.amdhsa_ieee_mode 1
		.amdhsa_fp16_overflow 0
		.amdhsa_tg_split 0
		.amdhsa_exception_fp_ieee_invalid_op 0
		.amdhsa_exception_fp_denorm_src 0
		.amdhsa_exception_fp_ieee_div_zero 0
		.amdhsa_exception_fp_ieee_overflow 0
		.amdhsa_exception_fp_ieee_underflow 0
		.amdhsa_exception_fp_ieee_inexact 0
		.amdhsa_exception_int_div_zero 0
	.end_amdhsa_kernel
	.section	.text._ZN9rocsparseL41csrgemm_numeric_fill_block_per_row_kernelILj1024ELj64ELj32768ELj137ELj32Eli21rocsparse_complex_numIdEEEvT5_PKS3_S5_NS_24const_host_device_scalarIT6_EEPKT4_S5_PKS7_SB_S5_SD_S8_SB_S5_SD_SB_S5_PS7_21rocsparse_index_base_SF_SF_SF_bbb,"axG",@progbits,_ZN9rocsparseL41csrgemm_numeric_fill_block_per_row_kernelILj1024ELj64ELj32768ELj137ELj32Eli21rocsparse_complex_numIdEEEvT5_PKS3_S5_NS_24const_host_device_scalarIT6_EEPKT4_S5_PKS7_SB_S5_SD_S8_SB_S5_SD_SB_S5_PS7_21rocsparse_index_base_SF_SF_SF_bbb,comdat
.Lfunc_end236:
	.size	_ZN9rocsparseL41csrgemm_numeric_fill_block_per_row_kernelILj1024ELj64ELj32768ELj137ELj32Eli21rocsparse_complex_numIdEEEvT5_PKS3_S5_NS_24const_host_device_scalarIT6_EEPKT4_S5_PKS7_SB_S5_SD_S8_SB_S5_SD_SB_S5_PS7_21rocsparse_index_base_SF_SF_SF_bbb, .Lfunc_end236-_ZN9rocsparseL41csrgemm_numeric_fill_block_per_row_kernelILj1024ELj64ELj32768ELj137ELj32Eli21rocsparse_complex_numIdEEEvT5_PKS3_S5_NS_24const_host_device_scalarIT6_EEPKT4_S5_PKS7_SB_S5_SD_S8_SB_S5_SD_SB_S5_PS7_21rocsparse_index_base_SF_SF_SF_bbb
                                        ; -- End function
	.set _ZN9rocsparseL41csrgemm_numeric_fill_block_per_row_kernelILj1024ELj64ELj32768ELj137ELj32Eli21rocsparse_complex_numIdEEEvT5_PKS3_S5_NS_24const_host_device_scalarIT6_EEPKT4_S5_PKS7_SB_S5_SD_S8_SB_S5_SD_SB_S5_PS7_21rocsparse_index_base_SF_SF_SF_bbb.num_vgpr, 33
	.set _ZN9rocsparseL41csrgemm_numeric_fill_block_per_row_kernelILj1024ELj64ELj32768ELj137ELj32Eli21rocsparse_complex_numIdEEEvT5_PKS3_S5_NS_24const_host_device_scalarIT6_EEPKT4_S5_PKS7_SB_S5_SD_S8_SB_S5_SD_SB_S5_PS7_21rocsparse_index_base_SF_SF_SF_bbb.num_agpr, 0
	.set _ZN9rocsparseL41csrgemm_numeric_fill_block_per_row_kernelILj1024ELj64ELj32768ELj137ELj32Eli21rocsparse_complex_numIdEEEvT5_PKS3_S5_NS_24const_host_device_scalarIT6_EEPKT4_S5_PKS7_SB_S5_SD_S8_SB_S5_SD_SB_S5_PS7_21rocsparse_index_base_SF_SF_SF_bbb.numbered_sgpr, 100
	.set _ZN9rocsparseL41csrgemm_numeric_fill_block_per_row_kernelILj1024ELj64ELj32768ELj137ELj32Eli21rocsparse_complex_numIdEEEvT5_PKS3_S5_NS_24const_host_device_scalarIT6_EEPKT4_S5_PKS7_SB_S5_SD_S8_SB_S5_SD_SB_S5_PS7_21rocsparse_index_base_SF_SF_SF_bbb.num_named_barrier, 0
	.set _ZN9rocsparseL41csrgemm_numeric_fill_block_per_row_kernelILj1024ELj64ELj32768ELj137ELj32Eli21rocsparse_complex_numIdEEEvT5_PKS3_S5_NS_24const_host_device_scalarIT6_EEPKT4_S5_PKS7_SB_S5_SD_S8_SB_S5_SD_SB_S5_PS7_21rocsparse_index_base_SF_SF_SF_bbb.private_seg_size, 40
	.set _ZN9rocsparseL41csrgemm_numeric_fill_block_per_row_kernelILj1024ELj64ELj32768ELj137ELj32Eli21rocsparse_complex_numIdEEEvT5_PKS3_S5_NS_24const_host_device_scalarIT6_EEPKT4_S5_PKS7_SB_S5_SD_S8_SB_S5_SD_SB_S5_PS7_21rocsparse_index_base_SF_SF_SF_bbb.uses_vcc, 1
	.set _ZN9rocsparseL41csrgemm_numeric_fill_block_per_row_kernelILj1024ELj64ELj32768ELj137ELj32Eli21rocsparse_complex_numIdEEEvT5_PKS3_S5_NS_24const_host_device_scalarIT6_EEPKT4_S5_PKS7_SB_S5_SD_S8_SB_S5_SD_SB_S5_PS7_21rocsparse_index_base_SF_SF_SF_bbb.uses_flat_scratch, 0
	.set _ZN9rocsparseL41csrgemm_numeric_fill_block_per_row_kernelILj1024ELj64ELj32768ELj137ELj32Eli21rocsparse_complex_numIdEEEvT5_PKS3_S5_NS_24const_host_device_scalarIT6_EEPKT4_S5_PKS7_SB_S5_SD_S8_SB_S5_SD_SB_S5_PS7_21rocsparse_index_base_SF_SF_SF_bbb.has_dyn_sized_stack, 0
	.set _ZN9rocsparseL41csrgemm_numeric_fill_block_per_row_kernelILj1024ELj64ELj32768ELj137ELj32Eli21rocsparse_complex_numIdEEEvT5_PKS3_S5_NS_24const_host_device_scalarIT6_EEPKT4_S5_PKS7_SB_S5_SD_S8_SB_S5_SD_SB_S5_PS7_21rocsparse_index_base_SF_SF_SF_bbb.has_recursion, 0
	.set _ZN9rocsparseL41csrgemm_numeric_fill_block_per_row_kernelILj1024ELj64ELj32768ELj137ELj32Eli21rocsparse_complex_numIdEEEvT5_PKS3_S5_NS_24const_host_device_scalarIT6_EEPKT4_S5_PKS7_SB_S5_SD_S8_SB_S5_SD_SB_S5_PS7_21rocsparse_index_base_SF_SF_SF_bbb.has_indirect_call, 0
	.section	.AMDGPU.csdata,"",@progbits
; Kernel info:
; codeLenInByte = 5032
; TotalNumSgprs: 106
; NumVgprs: 33
; NumAgprs: 0
; TotalNumVgprs: 33
; ScratchSize: 40
; MemoryBound: 0
; FloatMode: 240
; IeeeMode: 1
; LDSByteSize: 0 bytes/workgroup (compile time only)
; SGPRBlocks: 13
; VGPRBlocks: 4
; NumSGPRsForWavesPerEU: 106
; NumVGPRsForWavesPerEU: 33
; AccumOffset: 36
; Occupancy: 7
; WaveLimiterHint : 1
; COMPUTE_PGM_RSRC2:SCRATCH_EN: 1
; COMPUTE_PGM_RSRC2:USER_SGPR: 2
; COMPUTE_PGM_RSRC2:TRAP_HANDLER: 0
; COMPUTE_PGM_RSRC2:TGID_X_EN: 1
; COMPUTE_PGM_RSRC2:TGID_Y_EN: 0
; COMPUTE_PGM_RSRC2:TGID_Z_EN: 0
; COMPUTE_PGM_RSRC2:TIDIG_COMP_CNT: 0
; COMPUTE_PGM_RSRC3_GFX90A:ACCUM_OFFSET: 8
; COMPUTE_PGM_RSRC3_GFX90A:TG_SPLIT: 0
	.section	.text._ZN9rocsparseL41csrgemm_numeric_fill_block_per_row_kernelILj1024ELj64ELj32768ELj137ELj64Eli21rocsparse_complex_numIdEEEvT5_PKS3_S5_NS_24const_host_device_scalarIT6_EEPKT4_S5_PKS7_SB_S5_SD_S8_SB_S5_SD_SB_S5_PS7_21rocsparse_index_base_SF_SF_SF_bbb,"axG",@progbits,_ZN9rocsparseL41csrgemm_numeric_fill_block_per_row_kernelILj1024ELj64ELj32768ELj137ELj64Eli21rocsparse_complex_numIdEEEvT5_PKS3_S5_NS_24const_host_device_scalarIT6_EEPKT4_S5_PKS7_SB_S5_SD_S8_SB_S5_SD_SB_S5_PS7_21rocsparse_index_base_SF_SF_SF_bbb,comdat
	.globl	_ZN9rocsparseL41csrgemm_numeric_fill_block_per_row_kernelILj1024ELj64ELj32768ELj137ELj64Eli21rocsparse_complex_numIdEEEvT5_PKS3_S5_NS_24const_host_device_scalarIT6_EEPKT4_S5_PKS7_SB_S5_SD_S8_SB_S5_SD_SB_S5_PS7_21rocsparse_index_base_SF_SF_SF_bbb ; -- Begin function _ZN9rocsparseL41csrgemm_numeric_fill_block_per_row_kernelILj1024ELj64ELj32768ELj137ELj64Eli21rocsparse_complex_numIdEEEvT5_PKS3_S5_NS_24const_host_device_scalarIT6_EEPKT4_S5_PKS7_SB_S5_SD_S8_SB_S5_SD_SB_S5_PS7_21rocsparse_index_base_SF_SF_SF_bbb
	.p2align	8
	.type	_ZN9rocsparseL41csrgemm_numeric_fill_block_per_row_kernelILj1024ELj64ELj32768ELj137ELj64Eli21rocsparse_complex_numIdEEEvT5_PKS3_S5_NS_24const_host_device_scalarIT6_EEPKT4_S5_PKS7_SB_S5_SD_S8_SB_S5_SD_SB_S5_PS7_21rocsparse_index_base_SF_SF_SF_bbb,@function
_ZN9rocsparseL41csrgemm_numeric_fill_block_per_row_kernelILj1024ELj64ELj32768ELj137ELj64Eli21rocsparse_complex_numIdEEEvT5_PKS3_S5_NS_24const_host_device_scalarIT6_EEPKT4_S5_PKS7_SB_S5_SD_S8_SB_S5_SD_SB_S5_PS7_21rocsparse_index_base_SF_SF_SF_bbb: ; @_ZN9rocsparseL41csrgemm_numeric_fill_block_per_row_kernelILj1024ELj64ELj32768ELj137ELj64Eli21rocsparse_complex_numIdEEEvT5_PKS3_S5_NS_24const_host_device_scalarIT6_EEPKT4_S5_PKS7_SB_S5_SD_S8_SB_S5_SD_SB_S5_PS7_21rocsparse_index_base_SF_SF_SF_bbb
; %bb.0:
	s_load_dword s3, s[0:1], 0xa8
	s_load_dwordx4 s[44:47], s[0:1], 0x98
	s_load_dwordx4 s[8:11], s[0:1], 0x18
	;; [unrolled: 1-line block ×3, first 2 shown]
	v_mov_b64_e32 v[6:7], 0
	s_waitcnt lgkmcnt(0)
	s_bitcmp1_b32 s3, 0
	s_cselect_b64 s[28:29], -1, 0
	s_bitcmp1_b32 s3, 16
	s_cselect_b64 s[30:31], -1, 0
	s_xor_b64 s[4:5], s[30:31], -1
	v_mov_b64_e32 v[2:3], s[8:9]
	v_cndmask_b32_e64 v1, 0, 1, s[4:5]
	scratch_store_dwordx2 off, v[2:3], off offset:16
	v_mov_b64_e32 v[2:3], s[24:25]
	s_bitcmp0_b32 s3, 0
	v_cmp_ne_u32_e64 s[4:5], 1, v1
	v_mov_b64_e32 v[10:11], 0
	v_mov_b64_e32 v[12:13], 0
	scratch_store_dwordx2 off, v[2:3], off offset:24
	s_cbranch_scc1 .LBB237_3
; %bb.1:
	s_mov_b64 s[6:7], src_private_base
	s_and_b64 s[12:13], s[30:31], exec
	s_cselect_b32 s6, s7, s9
	s_cselect_b32 s7, 16, s8
	v_mov_b32_e32 v2, s7
	v_mov_b32_e32 v3, s6
	flat_load_dwordx2 v[10:11], v[2:3]
	s_and_b64 vcc, exec, s[4:5]
	v_mov_b64_e32 v[12:13], s[10:11]
	s_cbranch_vccnz .LBB237_3
; %bb.2:
	v_mov_b64_e32 v[2:3], s[8:9]
	flat_load_dwordx2 v[12:13], v[2:3] offset:8
.LBB237_3:
	s_load_dwordx2 s[34:35], s[0:1], 0x90
	s_load_dwordx8 s[36:43], s[0:1], 0x68
	s_load_dwordx4 s[16:19], s[0:1], 0x48
	s_load_dwordx4 s[20:23], s[0:1], 0x8
	s_load_dwordx8 s[8:15], s[0:1], 0x28
	s_bitcmp1_b32 s3, 8
	s_cselect_b64 s[6:7], -1, 0
	s_bfe_u32 s3, s3, 0x10008
	s_cmp_eq_u32 s3, 0
	v_mov_b64_e32 v[8:9], 0
	s_cbranch_scc1 .LBB237_6
; %bb.4:
	s_mov_b64 s[48:49], src_private_base
	s_and_b64 s[30:31], s[30:31], exec
	s_cselect_b32 s3, s49, s25
	s_cselect_b32 s30, 24, s24
	v_mov_b32_e32 v2, s30
	v_mov_b32_e32 v3, s3
	flat_load_dwordx2 v[8:9], v[2:3]
	s_and_b64 vcc, exec, s[4:5]
	v_mov_b64_e32 v[6:7], s[26:27]
	s_cbranch_vccnz .LBB237_6
; %bb.5:
	v_mov_b64_e32 v[2:3], s[24:25]
	flat_load_dwordx2 v[6:7], v[2:3] offset:8
.LBB237_6:
	s_load_dword s33, s[0:1], 0x0
	v_lshlrev_b32_e32 v2, 4, v0
	s_mov_b32 s4, 0
	v_or_b32_e32 v1, 0xfffffc00, v0
	v_add_u32_e32 v27, 0, v2
	v_lshl_add_u32 v26, v0, 2, 0
	s_mov_b32 s5, s4
	s_mov_b32 s24, s4
	;; [unrolled: 1-line block ×3, first 2 shown]
	v_add_u32_e32 v14, 0x20008, v27
	s_mov_b64 s[0:1], 0
	s_waitcnt lgkmcnt(0)
	v_mov_b32_e32 v17, s33
	v_mov_b64_e32 v[2:3], s[4:5]
	v_mov_b64_e32 v[4:5], s[24:25]
	s_movk_i32 s3, 0x7bff
	v_mov_b32_e32 v15, v26
	v_mov_b32_e32 v16, v1
.LBB237_7:                              ; =>This Inner Loop Header: Depth=1
	v_add_u32_e32 v16, 0x400, v16
	v_cmp_lt_u32_e32 vcc, s3, v16
	ds_write_b32 v15, v17
	v_add_u32_e32 v18, -8, v14
	v_add_u32_e32 v14, 0x4000, v14
	v_add_u32_e32 v15, 0x1000, v15
	s_or_b64 s[0:1], vcc, s[0:1]
	ds_write2_b64 v18, v[2:3], v[4:5] offset1:1
	s_andn2_b64 exec, exec, s[0:1]
	s_cbranch_execnz .LBB237_7
; %bb.8:
	s_or_b64 exec, exec, s[0:1]
	s_waitcnt lgkmcnt(0)
	s_barrier
	s_load_dword s0, s[20:21], 0x0
	s_mov_b32 s1, 0
	v_lshrrev_b32_e32 v28, 6, v0
	s_waitcnt lgkmcnt(0)
	s_add_i32 s0, s0, s2
	s_lshl_b64 s[0:1], s[0:1], 2
	s_add_u32 s0, s22, s0
	s_addc_u32 s1, s23, s1
	s_load_dword s48, s[0:1], 0x0
	s_and_b64 vcc, exec, s[28:29]
	s_cbranch_vccz .LBB237_26
; %bb.9:
	s_waitcnt lgkmcnt(0)
	s_ashr_i32 s49, s48, 31
	s_lshl_b64 s[0:1], s[48:49], 3
	s_add_u32 s0, s8, s0
	s_addc_u32 s1, s9, s1
	s_load_dwordx4 s[20:23], s[0:1], 0x0
	v_subrev_co_u32_e32 v2, vcc, s44, v28
	s_nop 1
	v_subb_co_u32_e64 v3, s[0:1], 0, 0, vcc
	s_waitcnt lgkmcnt(0)
	s_sub_u32 s0, s22, s44
	s_subb_u32 s1, s23, 0
	v_lshl_add_u64 v[14:15], s[20:21], 0, v[2:3]
	v_cmp_gt_i64_e32 vcc, s[0:1], v[14:15]
	s_and_saveexec_b64 s[2:3], vcc
	s_cbranch_execz .LBB237_25
; %bb.10:
	v_and_b32_e32 v2, 63, v0
	v_subrev_co_u32_e32 v16, vcc, s45, v2
	s_mov_b32 s49, s45
	s_nop 0
	v_subb_co_u32_e64 v17, s[4:5], 0, 0, vcc
	s_mov_b64 s[4:5], 0
	s_movk_i32 s50, 0x89
	s_branch .LBB237_12
.LBB237_11:                             ;   in Loop: Header=BB237_12 Depth=1
	s_or_b64 exec, exec, s[8:9]
	v_lshl_add_u64 v[14:15], v[14:15], 0, 16
	v_cmp_le_i64_e32 vcc, s[0:1], v[14:15]
	s_or_b64 s[4:5], vcc, s[4:5]
	s_andn2_b64 exec, exec, s[4:5]
	s_cbranch_execz .LBB237_25
.LBB237_12:                             ; =>This Loop Header: Depth=1
                                        ;     Child Loop BB237_16 Depth 2
                                        ;       Child Loop BB237_19 Depth 3
	v_lshl_add_u64 v[2:3], v[14:15], 2, s[10:11]
	global_load_dword v2, v[2:3], off
	s_waitcnt vmcnt(0)
	v_subrev_u32_e32 v2, s44, v2
	v_ashrrev_i32_e32 v3, 31, v2
	v_lshl_add_u64 v[2:3], v[2:3], 3, s[14:15]
	global_load_dwordx4 v[2:5], v[2:3], off
	s_waitcnt vmcnt(0)
	v_subrev_co_u32_e32 v18, vcc, s49, v4
	s_nop 1
	v_subbrev_co_u32_e32 v19, vcc, 0, v5, vcc
	v_lshl_add_u64 v[20:21], v[2:3], 0, v[16:17]
	v_cmp_lt_i64_e32 vcc, v[20:21], v[18:19]
	s_and_saveexec_b64 s[8:9], vcc
	s_cbranch_execz .LBB237_11
; %bb.13:                               ;   in Loop: Header=BB237_12 Depth=1
	v_lshl_add_u64 v[2:3], v[14:15], 4, s[12:13]
	global_load_dwordx4 v[2:5], v[2:3], off
	s_mov_b64 s[20:21], 0
	s_waitcnt vmcnt(0)
	v_mul_f64 v[22:23], v[4:5], -v[12:13]
	v_mul_f64 v[24:25], v[10:11], v[4:5]
	v_fmac_f64_e32 v[22:23], v[10:11], v[2:3]
	v_fmac_f64_e32 v[24:25], v[12:13], v[2:3]
	s_branch .LBB237_16
.LBB237_14:                             ;   in Loop: Header=BB237_16 Depth=2
	s_or_b64 exec, exec, s[24:25]
.LBB237_15:                             ;   in Loop: Header=BB237_16 Depth=2
	s_or_b64 exec, exec, s[22:23]
	s_waitcnt vmcnt(0)
	v_mul_f64 v[30:31], v[4:5], -v[24:25]
	v_mul_f64 v[4:5], v[22:23], v[4:5]
	v_fmac_f64_e32 v[30:31], v[22:23], v[2:3]
	v_fmac_f64_e32 v[4:5], v[24:25], v[2:3]
	v_lshl_add_u32 v2, v29, 4, 0
	v_add_u32_e32 v2, 0x20000, v2
	ds_add_f64 v2, v[30:31]
	ds_add_f64 v2, v[4:5] offset:8
	v_lshl_add_u64 v[20:21], v[20:21], 0, 64
	v_cmp_ge_i64_e32 vcc, v[20:21], v[18:19]
	s_or_b64 s[20:21], vcc, s[20:21]
	s_andn2_b64 exec, exec, s[20:21]
	s_cbranch_execz .LBB237_11
.LBB237_16:                             ;   Parent Loop BB237_12 Depth=1
                                        ; =>  This Loop Header: Depth=2
                                        ;       Child Loop BB237_19 Depth 3
	v_lshl_add_u64 v[2:3], v[20:21], 2, s[16:17]
	global_load_dword v29, v[2:3], off
	v_lshl_add_u64 v[2:3], v[20:21], 4, s[18:19]
	global_load_dwordx4 v[2:5], v[2:3], off
	s_waitcnt vmcnt(1)
	v_subrev_u32_e32 v30, s45, v29
	v_mul_lo_u32 v29, v30, s50
	v_and_b32_e32 v29, 0x7fff, v29
	v_lshl_add_u32 v31, v29, 2, 0
	ds_read_b32 v32, v31
	s_waitcnt lgkmcnt(0)
	v_cmp_ne_u32_e32 vcc, v32, v30
	s_and_saveexec_b64 s[22:23], vcc
	s_cbranch_execz .LBB237_15
; %bb.17:                               ;   in Loop: Header=BB237_16 Depth=2
	s_mov_b64 s[24:25], 0
	s_branch .LBB237_19
.LBB237_18:                             ;   in Loop: Header=BB237_19 Depth=3
	s_or_b64 exec, exec, s[30:31]
	s_and_b64 s[26:27], exec, s[28:29]
	s_or_b64 s[24:25], s[26:27], s[24:25]
	s_andn2_b64 exec, exec, s[24:25]
	s_cbranch_execz .LBB237_14
.LBB237_19:                             ;   Parent Loop BB237_12 Depth=1
                                        ;     Parent Loop BB237_16 Depth=2
                                        ; =>    This Inner Loop Header: Depth=3
	v_cmp_ne_u32_e32 vcc, s33, v32
	s_mov_b64 s[26:27], 0
	s_and_saveexec_b64 s[28:29], vcc
	s_xor_b64 s[28:29], exec, s[28:29]
	s_cbranch_execz .LBB237_21
; %bb.20:                               ;   in Loop: Header=BB237_19 Depth=3
	v_add_u32_e32 v29, 1, v29
	s_mov_b64 s[26:27], exec
	v_and_b32_e32 v29, 0x7fff, v29
                                        ; implicit-def: $vgpr31
	s_andn2_saveexec_b64 s[28:29], s[28:29]
	s_cbranch_execz .LBB237_23
	s_branch .LBB237_22
.LBB237_21:                             ;   in Loop: Header=BB237_19 Depth=3
	s_andn2_saveexec_b64 s[28:29], s[28:29]
	s_cbranch_execz .LBB237_23
.LBB237_22:                             ;   in Loop: Header=BB237_19 Depth=3
	v_mov_b32_e32 v32, s33
	ds_cmpst_rtn_b32 v31, v31, v32, v30
	s_andn2_b64 s[26:27], s[26:27], exec
	s_waitcnt lgkmcnt(0)
	v_cmp_ne_u32_e32 vcc, s33, v31
	s_and_b64 s[30:31], vcc, exec
	s_or_b64 s[26:27], s[26:27], s[30:31]
.LBB237_23:                             ;   in Loop: Header=BB237_19 Depth=3
	s_or_b64 exec, exec, s[28:29]
	s_mov_b64 s[28:29], -1
                                        ; implicit-def: $vgpr31
                                        ; implicit-def: $vgpr32
	s_and_saveexec_b64 s[30:31], s[26:27]
	s_cbranch_execz .LBB237_18
; %bb.24:                               ;   in Loop: Header=BB237_19 Depth=3
	v_lshl_add_u32 v31, v29, 2, 0
	ds_read_b32 v32, v31
	s_waitcnt lgkmcnt(0)
	v_cmp_eq_u32_e32 vcc, v32, v30
	s_orn2_b64 s[28:29], vcc, exec
	s_branch .LBB237_18
.LBB237_25:
	s_or_b64 exec, exec, s[2:3]
.LBB237_26:
	s_andn2_b64 vcc, exec, s[6:7]
	s_cbranch_vccnz .LBB237_41
; %bb.27:
	s_waitcnt lgkmcnt(0)
	s_ashr_i32 s49, s48, 31
	s_lshl_b64 s[0:1], s[48:49], 3
	s_add_u32 s0, s36, s0
	s_addc_u32 s1, s37, s1
	s_load_dwordx4 s[4:7], s[0:1], 0x0
	v_subrev_co_u32_e32 v2, vcc, s47, v0
	s_nop 1
	v_subb_co_u32_e64 v3, s[0:1], 0, 0, vcc
	s_waitcnt lgkmcnt(0)
	s_sub_u32 s0, s6, s47
	s_subb_u32 s1, s7, 0
	s_waitcnt vmcnt(0)
	v_lshl_add_u64 v[10:11], s[4:5], 0, v[2:3]
	v_cmp_gt_i64_e32 vcc, s[0:1], v[10:11]
	s_and_saveexec_b64 s[2:3], vcc
	s_cbranch_execz .LBB237_40
; %bb.28:
	s_mov_b64 s[4:5], 0
	s_movk_i32 s18, 0x89
	s_mov_b64 s[6:7], 0x400
	s_branch .LBB237_31
.LBB237_29:                             ;   in Loop: Header=BB237_31 Depth=1
	s_or_b64 exec, exec, s[10:11]
.LBB237_30:                             ;   in Loop: Header=BB237_31 Depth=1
	s_or_b64 exec, exec, s[8:9]
	s_waitcnt vmcnt(0)
	v_mul_f64 v[14:15], v[4:5], -v[6:7]
	v_mul_f64 v[4:5], v[8:9], v[4:5]
	v_fmac_f64_e32 v[14:15], v[8:9], v[2:3]
	v_fmac_f64_e32 v[4:5], v[6:7], v[2:3]
	v_lshl_add_u32 v2, v12, 4, 0
	v_add_u32_e32 v2, 0x20000, v2
	ds_add_f64 v2, v[14:15]
	ds_add_f64 v2, v[4:5] offset:8
	v_lshl_add_u64 v[10:11], v[10:11], 0, s[6:7]
	v_cmp_le_i64_e32 vcc, s[0:1], v[10:11]
	s_or_b64 s[4:5], vcc, s[4:5]
	s_andn2_b64 exec, exec, s[4:5]
	s_cbranch_execz .LBB237_40
.LBB237_31:                             ; =>This Loop Header: Depth=1
                                        ;     Child Loop BB237_34 Depth 2
	v_lshl_add_u64 v[2:3], v[10:11], 2, s[38:39]
	global_load_dword v12, v[2:3], off
	v_lshl_add_u64 v[2:3], v[10:11], 4, s[40:41]
	global_load_dwordx4 v[2:5], v[2:3], off
	s_waitcnt vmcnt(1)
	v_subrev_u32_e32 v13, s47, v12
	v_mul_lo_u32 v12, v13, s18
	v_and_b32_e32 v12, 0x7fff, v12
	v_lshl_add_u32 v14, v12, 2, 0
	ds_read_b32 v15, v14
	s_waitcnt lgkmcnt(0)
	v_cmp_ne_u32_e32 vcc, v15, v13
	s_and_saveexec_b64 s[8:9], vcc
	s_cbranch_execz .LBB237_30
; %bb.32:                               ;   in Loop: Header=BB237_31 Depth=1
	s_mov_b64 s[10:11], 0
	s_branch .LBB237_34
.LBB237_33:                             ;   in Loop: Header=BB237_34 Depth=2
	s_or_b64 exec, exec, s[16:17]
	s_and_b64 s[12:13], exec, s[14:15]
	s_or_b64 s[10:11], s[12:13], s[10:11]
	s_andn2_b64 exec, exec, s[10:11]
	s_cbranch_execz .LBB237_29
.LBB237_34:                             ;   Parent Loop BB237_31 Depth=1
                                        ; =>  This Inner Loop Header: Depth=2
	v_cmp_ne_u32_e32 vcc, s33, v15
	s_mov_b64 s[12:13], 0
	s_and_saveexec_b64 s[14:15], vcc
	s_xor_b64 s[14:15], exec, s[14:15]
	s_cbranch_execz .LBB237_36
; %bb.35:                               ;   in Loop: Header=BB237_34 Depth=2
	v_add_u32_e32 v12, 1, v12
	s_mov_b64 s[12:13], exec
	v_and_b32_e32 v12, 0x7fff, v12
                                        ; implicit-def: $vgpr14
	s_andn2_saveexec_b64 s[14:15], s[14:15]
	s_cbranch_execz .LBB237_38
	s_branch .LBB237_37
.LBB237_36:                             ;   in Loop: Header=BB237_34 Depth=2
	s_andn2_saveexec_b64 s[14:15], s[14:15]
	s_cbranch_execz .LBB237_38
.LBB237_37:                             ;   in Loop: Header=BB237_34 Depth=2
	v_mov_b32_e32 v15, s33
	ds_cmpst_rtn_b32 v14, v14, v15, v13
	s_andn2_b64 s[12:13], s[12:13], exec
	s_waitcnt lgkmcnt(0)
	v_cmp_ne_u32_e32 vcc, s33, v14
	s_and_b64 s[16:17], vcc, exec
	s_or_b64 s[12:13], s[12:13], s[16:17]
.LBB237_38:                             ;   in Loop: Header=BB237_34 Depth=2
	s_or_b64 exec, exec, s[14:15]
	s_mov_b64 s[14:15], -1
                                        ; implicit-def: $vgpr14
                                        ; implicit-def: $vgpr15
	s_and_saveexec_b64 s[16:17], s[12:13]
	s_cbranch_execz .LBB237_33
; %bb.39:                               ;   in Loop: Header=BB237_34 Depth=2
	v_lshl_add_u32 v14, v12, 2, 0
	ds_read_b32 v15, v14
	s_waitcnt lgkmcnt(0)
	v_cmp_eq_u32_e32 vcc, v15, v13
	s_orn2_b64 s[14:15], vcc, exec
	s_branch .LBB237_33
.LBB237_40:
	s_or_b64 exec, exec, s[2:3]
.LBB237_41:
	v_mbcnt_lo_u32_b32 v2, -1, 0
	v_mbcnt_hi_u32_b32 v2, -1, v2
	v_sub_u32_e32 v2, 63, v2
	s_add_i32 s40, 0, 0xa0000
	s_movk_i32 s0, 0x3ff
	s_movk_i32 s2, 0x7f
	;; [unrolled: 1-line block ×15, first 2 shown]
	s_add_i32 s59, 0, 0xa003c
	v_lshrrev_b64 v[2:3], v2, -1
	v_lshl_add_u32 v4, v28, 2, s40
	v_cmp_eq_u32_e32 vcc, s0, v0
	v_cmp_lt_u32_e64 s[0:1], 63, v0
	v_cmp_lt_u32_e64 s[2:3], s2, v0
	;; [unrolled: 1-line block ×15, first 2 shown]
	v_add_u32_e32 v5, 0x20000, v27
	s_mov_b64 s[36:37], 0
	s_waitcnt vmcnt(0)
	v_mov_b32_e32 v6, 0
	s_add_i32 s41, 0, 0xa0004
	s_add_i32 s44, 0, 0xa0008
	s_add_i32 s45, 0, 0xa000c
	s_add_i32 s47, 0, 0xa0010
	s_add_i32 s49, 0, 0xa0014
	s_add_i32 s50, 0, 0xa0018
	s_add_i32 s51, 0, 0xa001c
	s_add_i32 s52, 0, 0xa0020
	s_add_i32 s53, 0, 0xa0024
	s_add_i32 s54, 0, 0xa0028
	s_add_i32 s55, 0, 0xa002c
	s_add_i32 s56, 0, 0xa0030
	s_add_i32 s57, 0, 0xa0034
	s_add_i32 s58, 0, 0xa0038
	v_mov_b32_e32 v7, s59
	s_movk_i32 s60, 0x7bff
	s_waitcnt lgkmcnt(0)
	s_barrier
	s_branch .LBB237_43
.LBB237_42:                             ;   in Loop: Header=BB237_43 Depth=1
	s_or_b64 exec, exec, s[30:31]
	s_waitcnt lgkmcnt(0)
	s_barrier
	ds_read_b32 v8, v7
	v_add_u32_e32 v1, 0x400, v1
	v_cmp_lt_u32_e64 s[30:31], s60, v1
	v_add_u32_e32 v5, 0x4000, v5
	s_or_b64 s[36:37], s[30:31], s[36:37]
	s_waitcnt lgkmcnt(0)
	v_add_u32_e32 v6, v8, v6
	v_add_u32_e32 v26, 0x1000, v26
	s_andn2_b64 exec, exec, s[36:37]
	s_cbranch_execz .LBB237_77
.LBB237_43:                             ; =>This Inner Loop Header: Depth=1
	ds_read2_b64 v[10:13], v5 offset1:1
	ds_read_b32 v9, v26
	s_waitcnt lgkmcnt(1)
	scratch_store_dwordx4 off, v[10:13], off
	s_waitcnt lgkmcnt(0)
	v_cmp_gt_i32_e64 s[30:31], s33, v9
	s_bcnt1_i32_b64 s38, s[30:31]
	s_nop 0
	v_and_b32_e32 v10, s30, v2
	v_and_b32_e32 v8, s31, v3
	v_bcnt_u32_b32 v10, v10, 0
	v_bcnt_u32_b32 v8, v8, v10
	v_mov_b32_e32 v10, s38
	s_barrier
	ds_write_b32 v4, v10
	s_waitcnt lgkmcnt(0)
	s_barrier
	s_and_saveexec_b64 s[38:39], s[0:1]
	s_cbranch_execz .LBB237_60
; %bb.44:                               ;   in Loop: Header=BB237_43 Depth=1
	v_mov_b32_e32 v10, s40
	ds_read_b32 v10, v10
	s_waitcnt lgkmcnt(0)
	v_add_u32_e32 v8, v10, v8
	s_or_b64 exec, exec, s[38:39]
	s_and_saveexec_b64 s[38:39], s[2:3]
	s_cbranch_execnz .LBB237_61
.LBB237_45:                             ;   in Loop: Header=BB237_43 Depth=1
	s_or_b64 exec, exec, s[38:39]
	s_and_saveexec_b64 s[38:39], s[4:5]
	s_cbranch_execz .LBB237_62
.LBB237_46:                             ;   in Loop: Header=BB237_43 Depth=1
	v_mov_b32_e32 v10, s44
	ds_read_b32 v10, v10
	s_waitcnt lgkmcnt(0)
	v_add_u32_e32 v8, v10, v8
	s_or_b64 exec, exec, s[38:39]
	s_and_saveexec_b64 s[38:39], s[6:7]
	s_cbranch_execnz .LBB237_63
.LBB237_47:                             ;   in Loop: Header=BB237_43 Depth=1
	s_or_b64 exec, exec, s[38:39]
	s_and_saveexec_b64 s[38:39], s[8:9]
	s_cbranch_execz .LBB237_64
.LBB237_48:                             ;   in Loop: Header=BB237_43 Depth=1
	v_mov_b32_e32 v10, s47
	ds_read_b32 v10, v10
	s_waitcnt lgkmcnt(0)
	v_add_u32_e32 v8, v10, v8
	s_or_b64 exec, exec, s[38:39]
	s_and_saveexec_b64 s[38:39], s[10:11]
	s_cbranch_execnz .LBB237_65
.LBB237_49:                             ;   in Loop: Header=BB237_43 Depth=1
	s_or_b64 exec, exec, s[38:39]
	s_and_saveexec_b64 s[38:39], s[12:13]
	s_cbranch_execz .LBB237_66
.LBB237_50:                             ;   in Loop: Header=BB237_43 Depth=1
	v_mov_b32_e32 v10, s50
	ds_read_b32 v10, v10
	s_waitcnt lgkmcnt(0)
	v_add_u32_e32 v8, v10, v8
	s_or_b64 exec, exec, s[38:39]
	s_and_saveexec_b64 s[38:39], s[14:15]
	s_cbranch_execnz .LBB237_67
.LBB237_51:                             ;   in Loop: Header=BB237_43 Depth=1
	s_or_b64 exec, exec, s[38:39]
	s_and_saveexec_b64 s[38:39], s[16:17]
	s_cbranch_execz .LBB237_68
.LBB237_52:                             ;   in Loop: Header=BB237_43 Depth=1
	v_mov_b32_e32 v10, s52
	ds_read_b32 v10, v10
	s_waitcnt lgkmcnt(0)
	v_add_u32_e32 v8, v10, v8
	s_or_b64 exec, exec, s[38:39]
	s_and_saveexec_b64 s[38:39], s[18:19]
	s_cbranch_execnz .LBB237_69
.LBB237_53:                             ;   in Loop: Header=BB237_43 Depth=1
	s_or_b64 exec, exec, s[38:39]
	s_and_saveexec_b64 s[38:39], s[20:21]
	s_cbranch_execz .LBB237_70
.LBB237_54:                             ;   in Loop: Header=BB237_43 Depth=1
	v_mov_b32_e32 v10, s54
	ds_read_b32 v10, v10
	s_waitcnt lgkmcnt(0)
	v_add_u32_e32 v8, v10, v8
	s_or_b64 exec, exec, s[38:39]
	s_and_saveexec_b64 s[38:39], s[22:23]
	s_cbranch_execnz .LBB237_71
.LBB237_55:                             ;   in Loop: Header=BB237_43 Depth=1
	s_or_b64 exec, exec, s[38:39]
	s_and_saveexec_b64 s[38:39], s[24:25]
	s_cbranch_execz .LBB237_72
.LBB237_56:                             ;   in Loop: Header=BB237_43 Depth=1
	v_mov_b32_e32 v10, s56
	ds_read_b32 v10, v10
	s_waitcnt lgkmcnt(0)
	v_add_u32_e32 v8, v10, v8
	s_or_b64 exec, exec, s[38:39]
	s_and_saveexec_b64 s[38:39], s[26:27]
	s_cbranch_execnz .LBB237_73
.LBB237_57:                             ;   in Loop: Header=BB237_43 Depth=1
	s_or_b64 exec, exec, s[38:39]
	s_and_saveexec_b64 s[38:39], s[28:29]
	s_cbranch_execz .LBB237_74
.LBB237_58:                             ;   in Loop: Header=BB237_43 Depth=1
	v_mov_b32_e32 v10, s58
	ds_read_b32 v10, v10
	s_waitcnt lgkmcnt(0)
	v_add_u32_e32 v8, v10, v8
	s_or_b64 exec, exec, s[38:39]
	s_and_saveexec_b64 s[38:39], s[30:31]
	s_cbranch_execnz .LBB237_75
.LBB237_59:                             ;   in Loop: Header=BB237_43 Depth=1
	s_or_b64 exec, exec, s[38:39]
	s_and_saveexec_b64 s[30:31], vcc
	s_cbranch_execz .LBB237_42
	s_branch .LBB237_76
.LBB237_60:                             ;   in Loop: Header=BB237_43 Depth=1
	s_or_b64 exec, exec, s[38:39]
	s_and_saveexec_b64 s[38:39], s[2:3]
	s_cbranch_execz .LBB237_45
.LBB237_61:                             ;   in Loop: Header=BB237_43 Depth=1
	v_mov_b32_e32 v10, s41
	ds_read_b32 v10, v10
	s_waitcnt lgkmcnt(0)
	v_add_u32_e32 v8, v10, v8
	s_or_b64 exec, exec, s[38:39]
	s_and_saveexec_b64 s[38:39], s[4:5]
	s_cbranch_execnz .LBB237_46
.LBB237_62:                             ;   in Loop: Header=BB237_43 Depth=1
	s_or_b64 exec, exec, s[38:39]
	s_and_saveexec_b64 s[38:39], s[6:7]
	s_cbranch_execz .LBB237_47
.LBB237_63:                             ;   in Loop: Header=BB237_43 Depth=1
	v_mov_b32_e32 v10, s45
	ds_read_b32 v10, v10
	s_waitcnt lgkmcnt(0)
	v_add_u32_e32 v8, v10, v8
	s_or_b64 exec, exec, s[38:39]
	s_and_saveexec_b64 s[38:39], s[8:9]
	s_cbranch_execnz .LBB237_48
.LBB237_64:                             ;   in Loop: Header=BB237_43 Depth=1
	s_or_b64 exec, exec, s[38:39]
	s_and_saveexec_b64 s[38:39], s[10:11]
	s_cbranch_execz .LBB237_49
.LBB237_65:                             ;   in Loop: Header=BB237_43 Depth=1
	v_mov_b32_e32 v10, s49
	ds_read_b32 v10, v10
	s_waitcnt lgkmcnt(0)
	v_add_u32_e32 v8, v10, v8
	s_or_b64 exec, exec, s[38:39]
	s_and_saveexec_b64 s[38:39], s[12:13]
	s_cbranch_execnz .LBB237_50
.LBB237_66:                             ;   in Loop: Header=BB237_43 Depth=1
	s_or_b64 exec, exec, s[38:39]
	s_and_saveexec_b64 s[38:39], s[14:15]
	s_cbranch_execz .LBB237_51
.LBB237_67:                             ;   in Loop: Header=BB237_43 Depth=1
	v_mov_b32_e32 v10, s51
	ds_read_b32 v10, v10
	s_waitcnt lgkmcnt(0)
	v_add_u32_e32 v8, v10, v8
	s_or_b64 exec, exec, s[38:39]
	s_and_saveexec_b64 s[38:39], s[16:17]
	s_cbranch_execnz .LBB237_52
.LBB237_68:                             ;   in Loop: Header=BB237_43 Depth=1
	s_or_b64 exec, exec, s[38:39]
	s_and_saveexec_b64 s[38:39], s[18:19]
	s_cbranch_execz .LBB237_53
.LBB237_69:                             ;   in Loop: Header=BB237_43 Depth=1
	v_mov_b32_e32 v10, s53
	ds_read_b32 v10, v10
	s_waitcnt lgkmcnt(0)
	v_add_u32_e32 v8, v10, v8
	s_or_b64 exec, exec, s[38:39]
	s_and_saveexec_b64 s[38:39], s[20:21]
	s_cbranch_execnz .LBB237_54
.LBB237_70:                             ;   in Loop: Header=BB237_43 Depth=1
	s_or_b64 exec, exec, s[38:39]
	s_and_saveexec_b64 s[38:39], s[22:23]
	s_cbranch_execz .LBB237_55
.LBB237_71:                             ;   in Loop: Header=BB237_43 Depth=1
	v_mov_b32_e32 v10, s55
	ds_read_b32 v10, v10
	s_waitcnt lgkmcnt(0)
	v_add_u32_e32 v8, v10, v8
	s_or_b64 exec, exec, s[38:39]
	s_and_saveexec_b64 s[38:39], s[24:25]
	s_cbranch_execnz .LBB237_56
.LBB237_72:                             ;   in Loop: Header=BB237_43 Depth=1
	s_or_b64 exec, exec, s[38:39]
	s_and_saveexec_b64 s[38:39], s[26:27]
	s_cbranch_execz .LBB237_57
.LBB237_73:                             ;   in Loop: Header=BB237_43 Depth=1
	v_mov_b32_e32 v10, s57
	ds_read_b32 v10, v10
	s_waitcnt lgkmcnt(0)
	v_add_u32_e32 v8, v10, v8
	s_or_b64 exec, exec, s[38:39]
	s_and_saveexec_b64 s[38:39], s[28:29]
	s_cbranch_execnz .LBB237_58
.LBB237_74:                             ;   in Loop: Header=BB237_43 Depth=1
	s_or_b64 exec, exec, s[38:39]
	s_and_saveexec_b64 s[38:39], s[30:31]
	s_cbranch_execz .LBB237_59
.LBB237_75:                             ;   in Loop: Header=BB237_43 Depth=1
	scratch_load_dwordx4 v[10:13], off, off
	v_add3_u32 v14, v6, -1, v8
	v_lshl_add_u32 v15, v14, 2, 0
	v_lshl_add_u32 v14, v14, 4, 0
	v_add_u32_e32 v14, 0x20000, v14
	ds_write_b32 v15, v9
	s_waitcnt vmcnt(0)
	ds_write2_b64 v14, v[10:11], v[12:13] offset1:1
	s_or_b64 exec, exec, s[38:39]
	s_and_saveexec_b64 s[30:31], vcc
	s_cbranch_execz .LBB237_42
.LBB237_76:                             ;   in Loop: Header=BB237_43 Depth=1
	v_mov_b32_e32 v9, s59
	ds_write_b32 v9, v8
	s_branch .LBB237_42
.LBB237_77:
	s_or_b64 exec, exec, s[36:37]
	s_ashr_i32 s49, s48, 31
	s_lshl_b64 s[0:1], s[48:49], 3
	s_add_u32 s4, s42, s0
	s_addc_u32 s5, s43, s1
	s_load_dwordx4 s[0:3], s[4:5], 0x0
	s_waitcnt lgkmcnt(0)
	s_sub_i32 s8, s2, s0
	v_cmp_gt_i32_e32 vcc, s8, v0
	s_and_saveexec_b64 s[4:5], vcc
	s_cbranch_execz .LBB237_87
; %bb.78:
	s_sub_u32 s4, s0, s46
	s_subb_u32 s5, s1, 0
	s_and_b32 s10, s8, 7
	s_sub_i32 s0, s0, s2
	s_cmp_lt_u32 s0, -7
	s_cselect_b64 s[0:1], -1, 0
	s_and_b32 s11, s8, -8
	s_cmp_lg_u32 s10, 0
	v_cndmask_b32_e64 v1, 0, 1, s[0:1]
	s_cselect_b64 s[2:3], -1, 0
	v_cmp_ne_u32_e64 s[0:1], 1, v1
	v_cndmask_b32_e64 v1, 0, 1, s[2:3]
	s_mov_b32 s9, 0
	s_mov_b64 s[6:7], 0
	v_cmp_ne_u32_e64 s[2:3], 1, v1
	s_branch .LBB237_80
.LBB237_79:                             ;   in Loop: Header=BB237_80 Depth=1
	s_waitcnt lgkmcnt(0)
	v_lshl_add_u32 v1, v0, 4, 0
	v_add_u32_e32 v1, 0x20000, v1
	ds_read2_b64 v[4:7], v1 offset1:1
	v_add_u32_e32 v0, 0x400, v0
	v_cmp_le_i32_e32 vcc, s8, v0
	v_lshl_add_u64 v[2:3], v[2:3], 4, s[34:35]
	s_or_b64 s[6:7], vcc, s[6:7]
	s_waitcnt lgkmcnt(0)
	global_store_dwordx4 v[2:3], v[4:7], off
	s_andn2_b64 exec, exec, s[6:7]
	s_cbranch_execz .LBB237_87
.LBB237_80:                             ; =>This Loop Header: Depth=1
                                        ;     Child Loop BB237_82 Depth 2
                                        ;     Child Loop BB237_86 Depth 2
	v_lshl_add_u32 v1, v0, 2, 0
	ds_read_b32 v1, v1
	s_and_b64 vcc, exec, s[0:1]
	v_mov_b64_e32 v[2:3], s[4:5]
	s_mov_b32 s12, 0
	s_cbranch_vccnz .LBB237_84
; %bb.81:                               ;   in Loop: Header=BB237_80 Depth=1
	s_mov_b32 s13, 0
	v_mov_b64_e32 v[2:3], s[4:5]
.LBB237_82:                             ;   Parent Loop BB237_80 Depth=1
                                        ; =>  This Inner Loop Header: Depth=2
	v_mov_b32_e32 v4, s13
	ds_read2_b32 v[20:21], v4 offset1:1
	ds_read2_b32 v[22:23], v4 offset0:2 offset1:3
	ds_read2_b32 v[24:25], v4 offset0:4 offset1:5
	;; [unrolled: 1-line block ×3, first 2 shown]
	v_mov_b32_e32 v5, s9
	s_waitcnt lgkmcnt(3)
	v_cmp_gt_i32_e32 vcc, v1, v20
	v_mov_b32_e32 v7, s9
	v_mov_b32_e32 v9, s9
	v_cndmask_b32_e64 v4, 0, 1, vcc
	v_cmp_gt_i32_e32 vcc, v1, v21
	v_lshl_add_u64 v[2:3], v[2:3], 0, v[4:5]
	v_mov_b32_e32 v11, s9
	v_cndmask_b32_e64 v6, 0, 1, vcc
	s_waitcnt lgkmcnt(2)
	v_cmp_gt_i32_e32 vcc, v1, v22
	v_lshl_add_u64 v[2:3], v[2:3], 0, v[6:7]
	v_mov_b32_e32 v13, s9
	v_cndmask_b32_e64 v8, 0, 1, vcc
	v_cmp_gt_i32_e32 vcc, v1, v23
	v_lshl_add_u64 v[2:3], v[2:3], 0, v[8:9]
	v_mov_b32_e32 v15, s9
	v_cndmask_b32_e64 v10, 0, 1, vcc
	s_waitcnt lgkmcnt(1)
	v_cmp_gt_i32_e32 vcc, v1, v24
	v_lshl_add_u64 v[2:3], v[2:3], 0, v[10:11]
	;; [unrolled: 9-line block ×3, first 2 shown]
	s_add_i32 s12, s12, 8
	v_cndmask_b32_e64 v16, 0, 1, vcc
	v_cmp_gt_i32_e32 vcc, v1, v27
	s_add_i32 s13, s13, 32
	v_lshl_add_u64 v[2:3], v[2:3], 0, v[16:17]
	v_cndmask_b32_e64 v18, 0, 1, vcc
	s_cmp_eq_u32 s11, s12
	v_lshl_add_u64 v[2:3], v[2:3], 0, v[18:19]
	s_cbranch_scc0 .LBB237_82
; %bb.83:                               ;   in Loop: Header=BB237_80 Depth=1
	s_mov_b32 s12, s11
.LBB237_84:                             ;   in Loop: Header=BB237_80 Depth=1
	s_and_b64 vcc, exec, s[2:3]
	s_cbranch_vccnz .LBB237_79
; %bb.85:                               ;   in Loop: Header=BB237_80 Depth=1
	s_lshl_b32 s12, s12, 2
	s_add_i32 s12, s12, 0
	s_mov_b32 s13, s10
.LBB237_86:                             ;   Parent Loop BB237_80 Depth=1
                                        ; =>  This Inner Loop Header: Depth=2
	v_mov_b32_e32 v4, s12
	ds_read_b32 v4, v4
	v_mov_b32_e32 v5, s9
	s_add_i32 s12, s12, 4
	s_add_i32 s13, s13, -1
	s_cmp_lg_u32 s13, 0
	s_waitcnt lgkmcnt(0)
	v_cmp_gt_i32_e32 vcc, v1, v4
	s_nop 1
	v_cndmask_b32_e64 v4, 0, 1, vcc
	v_lshl_add_u64 v[2:3], v[2:3], 0, v[4:5]
	s_cbranch_scc1 .LBB237_86
	s_branch .LBB237_79
.LBB237_87:
	s_endpgm
	.section	.rodata,"a",@progbits
	.p2align	6, 0x0
	.amdhsa_kernel _ZN9rocsparseL41csrgemm_numeric_fill_block_per_row_kernelILj1024ELj64ELj32768ELj137ELj64Eli21rocsparse_complex_numIdEEEvT5_PKS3_S5_NS_24const_host_device_scalarIT6_EEPKT4_S5_PKS7_SB_S5_SD_S8_SB_S5_SD_SB_S5_PS7_21rocsparse_index_base_SF_SF_SF_bbb
		.amdhsa_group_segment_fixed_size 0
		.amdhsa_private_segment_fixed_size 40
		.amdhsa_kernarg_size 172
		.amdhsa_user_sgpr_count 2
		.amdhsa_user_sgpr_dispatch_ptr 0
		.amdhsa_user_sgpr_queue_ptr 0
		.amdhsa_user_sgpr_kernarg_segment_ptr 1
		.amdhsa_user_sgpr_dispatch_id 0
		.amdhsa_user_sgpr_kernarg_preload_length 0
		.amdhsa_user_sgpr_kernarg_preload_offset 0
		.amdhsa_user_sgpr_private_segment_size 0
		.amdhsa_uses_dynamic_stack 0
		.amdhsa_enable_private_segment 1
		.amdhsa_system_sgpr_workgroup_id_x 1
		.amdhsa_system_sgpr_workgroup_id_y 0
		.amdhsa_system_sgpr_workgroup_id_z 0
		.amdhsa_system_sgpr_workgroup_info 0
		.amdhsa_system_vgpr_workitem_id 0
		.amdhsa_next_free_vgpr 33
		.amdhsa_next_free_sgpr 61
		.amdhsa_accum_offset 36
		.amdhsa_reserve_vcc 1
		.amdhsa_float_round_mode_32 0
		.amdhsa_float_round_mode_16_64 0
		.amdhsa_float_denorm_mode_32 3
		.amdhsa_float_denorm_mode_16_64 3
		.amdhsa_dx10_clamp 1
		.amdhsa_ieee_mode 1
		.amdhsa_fp16_overflow 0
		.amdhsa_tg_split 0
		.amdhsa_exception_fp_ieee_invalid_op 0
		.amdhsa_exception_fp_denorm_src 0
		.amdhsa_exception_fp_ieee_div_zero 0
		.amdhsa_exception_fp_ieee_overflow 0
		.amdhsa_exception_fp_ieee_underflow 0
		.amdhsa_exception_fp_ieee_inexact 0
		.amdhsa_exception_int_div_zero 0
	.end_amdhsa_kernel
	.section	.text._ZN9rocsparseL41csrgemm_numeric_fill_block_per_row_kernelILj1024ELj64ELj32768ELj137ELj64Eli21rocsparse_complex_numIdEEEvT5_PKS3_S5_NS_24const_host_device_scalarIT6_EEPKT4_S5_PKS7_SB_S5_SD_S8_SB_S5_SD_SB_S5_PS7_21rocsparse_index_base_SF_SF_SF_bbb,"axG",@progbits,_ZN9rocsparseL41csrgemm_numeric_fill_block_per_row_kernelILj1024ELj64ELj32768ELj137ELj64Eli21rocsparse_complex_numIdEEEvT5_PKS3_S5_NS_24const_host_device_scalarIT6_EEPKT4_S5_PKS7_SB_S5_SD_S8_SB_S5_SD_SB_S5_PS7_21rocsparse_index_base_SF_SF_SF_bbb,comdat
.Lfunc_end237:
	.size	_ZN9rocsparseL41csrgemm_numeric_fill_block_per_row_kernelILj1024ELj64ELj32768ELj137ELj64Eli21rocsparse_complex_numIdEEEvT5_PKS3_S5_NS_24const_host_device_scalarIT6_EEPKT4_S5_PKS7_SB_S5_SD_S8_SB_S5_SD_SB_S5_PS7_21rocsparse_index_base_SF_SF_SF_bbb, .Lfunc_end237-_ZN9rocsparseL41csrgemm_numeric_fill_block_per_row_kernelILj1024ELj64ELj32768ELj137ELj64Eli21rocsparse_complex_numIdEEEvT5_PKS3_S5_NS_24const_host_device_scalarIT6_EEPKT4_S5_PKS7_SB_S5_SD_S8_SB_S5_SD_SB_S5_PS7_21rocsparse_index_base_SF_SF_SF_bbb
                                        ; -- End function
	.set _ZN9rocsparseL41csrgemm_numeric_fill_block_per_row_kernelILj1024ELj64ELj32768ELj137ELj64Eli21rocsparse_complex_numIdEEEvT5_PKS3_S5_NS_24const_host_device_scalarIT6_EEPKT4_S5_PKS7_SB_S5_SD_S8_SB_S5_SD_SB_S5_PS7_21rocsparse_index_base_SF_SF_SF_bbb.num_vgpr, 33
	.set _ZN9rocsparseL41csrgemm_numeric_fill_block_per_row_kernelILj1024ELj64ELj32768ELj137ELj64Eli21rocsparse_complex_numIdEEEvT5_PKS3_S5_NS_24const_host_device_scalarIT6_EEPKT4_S5_PKS7_SB_S5_SD_S8_SB_S5_SD_SB_S5_PS7_21rocsparse_index_base_SF_SF_SF_bbb.num_agpr, 0
	.set _ZN9rocsparseL41csrgemm_numeric_fill_block_per_row_kernelILj1024ELj64ELj32768ELj137ELj64Eli21rocsparse_complex_numIdEEEvT5_PKS3_S5_NS_24const_host_device_scalarIT6_EEPKT4_S5_PKS7_SB_S5_SD_S8_SB_S5_SD_SB_S5_PS7_21rocsparse_index_base_SF_SF_SF_bbb.numbered_sgpr, 61
	.set _ZN9rocsparseL41csrgemm_numeric_fill_block_per_row_kernelILj1024ELj64ELj32768ELj137ELj64Eli21rocsparse_complex_numIdEEEvT5_PKS3_S5_NS_24const_host_device_scalarIT6_EEPKT4_S5_PKS7_SB_S5_SD_S8_SB_S5_SD_SB_S5_PS7_21rocsparse_index_base_SF_SF_SF_bbb.num_named_barrier, 0
	.set _ZN9rocsparseL41csrgemm_numeric_fill_block_per_row_kernelILj1024ELj64ELj32768ELj137ELj64Eli21rocsparse_complex_numIdEEEvT5_PKS3_S5_NS_24const_host_device_scalarIT6_EEPKT4_S5_PKS7_SB_S5_SD_S8_SB_S5_SD_SB_S5_PS7_21rocsparse_index_base_SF_SF_SF_bbb.private_seg_size, 40
	.set _ZN9rocsparseL41csrgemm_numeric_fill_block_per_row_kernelILj1024ELj64ELj32768ELj137ELj64Eli21rocsparse_complex_numIdEEEvT5_PKS3_S5_NS_24const_host_device_scalarIT6_EEPKT4_S5_PKS7_SB_S5_SD_S8_SB_S5_SD_SB_S5_PS7_21rocsparse_index_base_SF_SF_SF_bbb.uses_vcc, 1
	.set _ZN9rocsparseL41csrgemm_numeric_fill_block_per_row_kernelILj1024ELj64ELj32768ELj137ELj64Eli21rocsparse_complex_numIdEEEvT5_PKS3_S5_NS_24const_host_device_scalarIT6_EEPKT4_S5_PKS7_SB_S5_SD_S8_SB_S5_SD_SB_S5_PS7_21rocsparse_index_base_SF_SF_SF_bbb.uses_flat_scratch, 0
	.set _ZN9rocsparseL41csrgemm_numeric_fill_block_per_row_kernelILj1024ELj64ELj32768ELj137ELj64Eli21rocsparse_complex_numIdEEEvT5_PKS3_S5_NS_24const_host_device_scalarIT6_EEPKT4_S5_PKS7_SB_S5_SD_S8_SB_S5_SD_SB_S5_PS7_21rocsparse_index_base_SF_SF_SF_bbb.has_dyn_sized_stack, 0
	.set _ZN9rocsparseL41csrgemm_numeric_fill_block_per_row_kernelILj1024ELj64ELj32768ELj137ELj64Eli21rocsparse_complex_numIdEEEvT5_PKS3_S5_NS_24const_host_device_scalarIT6_EEPKT4_S5_PKS7_SB_S5_SD_S8_SB_S5_SD_SB_S5_PS7_21rocsparse_index_base_SF_SF_SF_bbb.has_recursion, 0
	.set _ZN9rocsparseL41csrgemm_numeric_fill_block_per_row_kernelILj1024ELj64ELj32768ELj137ELj64Eli21rocsparse_complex_numIdEEEvT5_PKS3_S5_NS_24const_host_device_scalarIT6_EEPKT4_S5_PKS7_SB_S5_SD_S8_SB_S5_SD_SB_S5_PS7_21rocsparse_index_base_SF_SF_SF_bbb.has_indirect_call, 0
	.section	.AMDGPU.csdata,"",@progbits
; Kernel info:
; codeLenInByte = 3504
; TotalNumSgprs: 67
; NumVgprs: 33
; NumAgprs: 0
; TotalNumVgprs: 33
; ScratchSize: 40
; MemoryBound: 0
; FloatMode: 240
; IeeeMode: 1
; LDSByteSize: 0 bytes/workgroup (compile time only)
; SGPRBlocks: 8
; VGPRBlocks: 4
; NumSGPRsForWavesPerEU: 67
; NumVGPRsForWavesPerEU: 33
; AccumOffset: 36
; Occupancy: 8
; WaveLimiterHint : 1
; COMPUTE_PGM_RSRC2:SCRATCH_EN: 1
; COMPUTE_PGM_RSRC2:USER_SGPR: 2
; COMPUTE_PGM_RSRC2:TRAP_HANDLER: 0
; COMPUTE_PGM_RSRC2:TGID_X_EN: 1
; COMPUTE_PGM_RSRC2:TGID_Y_EN: 0
; COMPUTE_PGM_RSRC2:TGID_Z_EN: 0
; COMPUTE_PGM_RSRC2:TIDIG_COMP_CNT: 0
; COMPUTE_PGM_RSRC3_GFX90A:ACCUM_OFFSET: 8
; COMPUTE_PGM_RSRC3_GFX90A:TG_SPLIT: 0
	.section	.text._ZN9rocsparseL51csrgemm_numeric_fill_block_per_row_multipass_kernelILj512ELj16ELj2048ELj32Eli21rocsparse_complex_numIdEEEvT4_PKS3_S5_NS_24const_host_device_scalarIT5_EEPKT3_S5_PKS7_SB_S5_SD_S8_SB_S5_SD_SB_S5_PS7_PS9_21rocsparse_index_base_SG_SG_SG_bbb,"axG",@progbits,_ZN9rocsparseL51csrgemm_numeric_fill_block_per_row_multipass_kernelILj512ELj16ELj2048ELj32Eli21rocsparse_complex_numIdEEEvT4_PKS3_S5_NS_24const_host_device_scalarIT5_EEPKT3_S5_PKS7_SB_S5_SD_S8_SB_S5_SD_SB_S5_PS7_PS9_21rocsparse_index_base_SG_SG_SG_bbb,comdat
	.globl	_ZN9rocsparseL51csrgemm_numeric_fill_block_per_row_multipass_kernelILj512ELj16ELj2048ELj32Eli21rocsparse_complex_numIdEEEvT4_PKS3_S5_NS_24const_host_device_scalarIT5_EEPKT3_S5_PKS7_SB_S5_SD_S8_SB_S5_SD_SB_S5_PS7_PS9_21rocsparse_index_base_SG_SG_SG_bbb ; -- Begin function _ZN9rocsparseL51csrgemm_numeric_fill_block_per_row_multipass_kernelILj512ELj16ELj2048ELj32Eli21rocsparse_complex_numIdEEEvT4_PKS3_S5_NS_24const_host_device_scalarIT5_EEPKT3_S5_PKS7_SB_S5_SD_S8_SB_S5_SD_SB_S5_PS7_PS9_21rocsparse_index_base_SG_SG_SG_bbb
	.p2align	8
	.type	_ZN9rocsparseL51csrgemm_numeric_fill_block_per_row_multipass_kernelILj512ELj16ELj2048ELj32Eli21rocsparse_complex_numIdEEEvT4_PKS3_S5_NS_24const_host_device_scalarIT5_EEPKT3_S5_PKS7_SB_S5_SD_S8_SB_S5_SD_SB_S5_PS7_PS9_21rocsparse_index_base_SG_SG_SG_bbb,@function
_ZN9rocsparseL51csrgemm_numeric_fill_block_per_row_multipass_kernelILj512ELj16ELj2048ELj32Eli21rocsparse_complex_numIdEEEvT4_PKS3_S5_NS_24const_host_device_scalarIT5_EEPKT3_S5_PKS7_SB_S5_SD_S8_SB_S5_SD_SB_S5_PS7_PS9_21rocsparse_index_base_SG_SG_SG_bbb: ; @_ZN9rocsparseL51csrgemm_numeric_fill_block_per_row_multipass_kernelILj512ELj16ELj2048ELj32Eli21rocsparse_complex_numIdEEEvT4_PKS3_S5_NS_24const_host_device_scalarIT5_EEPKT3_S5_PKS7_SB_S5_SD_S8_SB_S5_SD_SB_S5_PS7_PS9_21rocsparse_index_base_SG_SG_SG_bbb
; %bb.0:
	s_load_dword s3, s[0:1], 0xb0
	s_load_dwordx8 s[4:11], s[0:1], 0x8
	s_load_dwordx4 s[56:59], s[0:1], 0xa0
	s_load_dwordx4 s[12:15], s[0:1], 0x58
	v_mov_b64_e32 v[6:7], 0
	v_mov_b64_e32 v[4:5], 0
	s_waitcnt lgkmcnt(0)
	s_bitcmp1_b32 s3, 0
	s_cselect_b64 s[16:17], -1, 0
	s_bitcmp1_b32 s3, 16
	s_cselect_b64 s[20:21], -1, 0
	s_xor_b64 s[18:19], s[20:21], -1
	v_mov_b64_e32 v[2:3], s[8:9]
	scratch_store_dwordx2 off, v[2:3], off offset:16
	v_mov_b64_e32 v[2:3], s[12:13]
	s_bitcmp0_b32 s3, 0
	v_mov_b64_e32 v[8:9], 0
	scratch_store_dwordx2 off, v[2:3], off offset:24
	s_cbranch_scc1 .LBB238_3
; %bb.1:
	s_mov_b64 s[22:23], src_private_base
	s_and_b64 s[24:25], s[20:21], exec
	s_cselect_b32 s22, s23, s9
	s_cselect_b32 s23, 16, s8
	v_mov_b32_e32 v2, s23
	v_mov_b32_e32 v3, s22
	flat_load_dwordx2 v[4:5], v[2:3]
	s_andn2_b64 vcc, exec, s[18:19]
	v_mov_b64_e32 v[8:9], s[10:11]
	s_cbranch_vccnz .LBB238_3
; %bb.2:
	v_mov_b64_e32 v[2:3], s[8:9]
	flat_load_dwordx2 v[8:9], v[2:3] offset:8
.LBB238_3:
	s_load_dwordx2 s[8:9], s[0:1], 0x28
	s_bitcmp1_b32 s3, 8
	s_cselect_b64 s[42:43], -1, 0
	s_bfe_u32 s3, s3, 0x10008
	s_cmp_eq_u32 s3, 0
	v_mov_b64_e32 v[10:11], 0
	s_cbranch_scc1 .LBB238_6
; %bb.4:
	s_mov_b64 s[10:11], src_private_base
	s_and_b64 s[20:21], s[20:21], exec
	s_cselect_b32 s3, s11, s13
	s_cselect_b32 s10, 24, s12
	v_mov_b32_e32 v2, s10
	v_mov_b32_e32 v3, s3
	flat_load_dwordx2 v[10:11], v[2:3]
	s_andn2_b64 vcc, exec, s[18:19]
	v_mov_b64_e32 v[6:7], s[14:15]
	s_cbranch_vccnz .LBB238_6
; %bb.5:
	v_mov_b64_e32 v[2:3], s[12:13]
	flat_load_dwordx2 v[6:7], v[2:3] offset:8
.LBB238_6:
	s_load_dword s4, s[4:5], 0x0
	s_mov_b32 s3, 0
	v_cndmask_b32_e64 v1, 0, 1, s[16:17]
	s_mov_b64 s[64:65], 0
	s_waitcnt lgkmcnt(0)
	s_add_i32 s2, s4, s2
	s_lshl_b64 s[2:3], s[2:3], 2
	s_add_u32 s2, s6, s2
	s_addc_u32 s3, s7, s3
	s_load_dword s6, s[2:3], 0x0
	v_cmp_ne_u32_e64 s[2:3], 1, v1
	s_andn2_b64 vcc, exec, s[16:17]
	s_mov_b64 s[4:5], 0
	s_cbranch_vccz .LBB238_9
; %bb.7:
	s_and_b64 vcc, exec, s[2:3]
	s_cbranch_vccz .LBB238_10
.LBB238_8:
	s_load_dword s33, s[0:1], 0x0
	s_waitcnt lgkmcnt(0)
	s_cmp_lt_i32 s33, 1
	s_cbranch_scc0 .LBB238_11
	s_branch .LBB238_64
.LBB238_9:
	s_waitcnt lgkmcnt(0)
	s_ashr_i32 s7, s6, 31
	s_lshl_b64 s[4:5], s[6:7], 3
	s_add_u32 s4, s8, s4
	s_addc_u32 s5, s9, s5
	s_load_dwordx2 s[4:5], s[4:5], 0x0
	s_waitcnt lgkmcnt(0)
	s_sub_u32 s4, s4, s56
	s_subb_u32 s5, s5, 0
	s_and_b64 vcc, exec, s[2:3]
	s_cbranch_vccnz .LBB238_8
.LBB238_10:
	s_waitcnt lgkmcnt(0)
	s_ashr_i32 s7, s6, 31
	s_lshl_b64 s[2:3], s[6:7], 3
	s_add_u32 s2, s8, s2
	s_addc_u32 s3, s9, s3
	s_load_dwordx2 s[2:3], s[2:3], 0x8
	s_waitcnt lgkmcnt(0)
	s_sub_u32 s64, s2, s56
	s_subb_u32 s65, s3, 0
	s_load_dword s33, s[0:1], 0x0
	s_waitcnt lgkmcnt(0)
	s_cmp_lt_i32 s33, 1
	s_cbranch_scc1 .LBB238_64
.LBB238_11:
	s_load_dwordx8 s[44:51], s[0:1], 0x68
	s_load_dwordx4 s[60:63], s[0:1], 0x90
	s_load_dwordx2 s[38:39], s[0:1], 0x50
	s_ashr_i32 s7, s6, 31
	s_lshl_b64 s[6:7], s[6:7], 3
	s_waitcnt lgkmcnt(0)
	s_add_u32 s2, s50, s6
	s_addc_u32 s3, s51, s7
	s_load_dwordx2 s[2:3], s[2:3], 0x0
	v_lshrrev_b32_e32 v12, 4, v0
	v_mov_b32_e32 v13, 0
	v_lshl_add_u64 v[14:15], s[4:5], 0, v[12:13]
	v_cmp_gt_i64_e32 vcc, s[64:65], v[14:15]
	s_waitcnt lgkmcnt(0)
	s_sub_u32 s50, s2, s58
	s_subb_u32 s51, s3, 0
	s_add_u32 s44, s44, s6
	s_addc_u32 s45, s45, s7
	s_and_b64 s[66:67], s[16:17], vcc
	s_add_u32 s68, s38, 8
	s_addc_u32 s69, s39, 0
	v_and_b32_e32 v1, 15, v0
	s_add_u32 s70, s48, 8
	v_mov_b32_e32 v12, v1
	v_cmp_eq_u32_e64 s[2:3], 15, v1
	v_mbcnt_lo_u32_b32 v1, -1, 0
	s_addc_u32 s71, s49, 0
	v_mov_b64_e32 v[20:21], s[50:51]
	s_load_dwordx8 s[48:55], s[0:1], 0x30
	v_subrev_co_u32_e64 v16, s[4:5], s59, v0
	v_mbcnt_hi_u32_b32 v1, -1, v1
	s_nop 0
	v_subb_co_u32_e64 v17, s[4:5], 0, 0, s[4:5]
	v_sub_u32_e32 v1, 63, v1
	v_lshrrev_b64 v[18:19], v1, -1
	v_lshrrev_b32_e32 v1, 3, v0
	s_movk_i32 s4, 0x1ff
	s_movk_i32 s10, 0x60
	;; [unrolled: 1-line block ×14, first 2 shown]
	v_cmp_eq_u32_e64 s[40:41], 0, v0
	s_mov_b32 s58, s57
	s_mov_b32 s96, s59
	v_and_b32_e32 v38, 60, v1
	v_cmp_eq_u32_e64 s[4:5], s4, v0
	v_cmp_gt_u32_e64 s[6:7], 32, v0
	v_cmp_gt_u32_e64 s[8:9], 64, v0
	;; [unrolled: 1-line block ×15, first 2 shown]
	v_or_b32_e32 v39, 0xfffffe00, v0
	v_lshlrev_b32_e32 v40, 4, v0
	v_mov_b32_e32 v42, 0x800
	v_mov_b32_e32 v46, v13
	;; [unrolled: 1-line block ×5, first 2 shown]
	s_movk_i32 s97, 0x5ff
	v_mov_b32_e32 v50, s33
	v_mov_b32_e32 v41, 1
	s_mov_b64 s[72:73], 0x100
	s_mov_b64 s[74:75], 0x200
	;; [unrolled: 1-line block ×4, first 2 shown]
	v_mov_b32_e32 v43, v13
	s_branch .LBB238_13
.LBB238_12:                             ;   in Loop: Header=BB238_13 Depth=1
	s_or_b64 exec, exec, s[0:1]
	ds_read_b32 v43, v13 offset:34816
	s_waitcnt lgkmcnt(0)
	s_barrier
	v_cmp_le_i32_e32 vcc, s33, v43
	v_add_u32_e32 v42, 0x800, v43
	s_cbranch_vccnz .LBB238_64
.LBB238_13:                             ; =>This Loop Header: Depth=1
                                        ;     Child Loop BB238_14 Depth 2
                                        ;     Child Loop BB238_20 Depth 2
                                        ;       Child Loop BB238_26 Depth 3
                                        ;     Child Loop BB238_43 Depth 2
                                        ;     Child Loop BB238_55 Depth 2
	;; [unrolled: 1-line block ×3, first 2 shown]
	s_mov_b64 s[0:1], 0
	v_mov_b32_e32 v0, v40
	v_mov_b32_e32 v1, v39
.LBB238_14:                             ;   Parent Loop BB238_13 Depth=1
                                        ; =>  This Inner Loop Header: Depth=2
	ds_write_b8 v1, v13 offset:33280
	ds_write_b128 v0, v[46:49]
	v_add_u32_e32 v1, 0x200, v1
	v_cmp_lt_u32_e32 vcc, s97, v1
	s_or_b64 s[0:1], vcc, s[0:1]
	v_add_u32_e32 v0, 0x2000, v0
	s_andn2_b64 exec, exec, s[0:1]
	s_cbranch_execnz .LBB238_14
; %bb.15:                               ;   in Loop: Header=BB238_13 Depth=1
	s_or_b64 exec, exec, s[0:1]
	s_and_saveexec_b64 s[0:1], s[40:41]
; %bb.16:                               ;   in Loop: Header=BB238_13 Depth=1
	ds_write_b32 v13, v50 offset:34816
; %bb.17:                               ;   in Loop: Header=BB238_13 Depth=1
	s_or_b64 exec, exec, s[0:1]
	v_mov_b32_e32 v44, s33
	s_waitcnt lgkmcnt(0)
	s_barrier
	s_and_saveexec_b64 s[80:81], s[66:67]
	s_cbranch_execz .LBB238_39
; %bb.18:                               ;   in Loop: Header=BB238_13 Depth=1
	s_mov_b64 s[82:83], 0
	v_cmp_ne_u32_e64 s[38:39], 0, v43
	v_mov_b32_e32 v44, s33
	v_mov_b64_e32 v[22:23], v[14:15]
	s_branch .LBB238_20
.LBB238_19:                             ;   in Loop: Header=BB238_20 Depth=2
	s_or_b64 exec, exec, s[0:1]
	v_lshl_add_u64 v[22:23], v[22:23], 0, 32
	v_cmp_le_i64_e32 vcc, s[64:65], v[22:23]
	s_or_b64 s[82:83], vcc, s[82:83]
	s_andn2_b64 exec, exec, s[82:83]
	s_cbranch_execz .LBB238_38
.LBB238_20:                             ;   Parent Loop BB238_13 Depth=1
                                        ; =>  This Loop Header: Depth=2
                                        ;       Child Loop BB238_26 Depth 3
	v_lshl_add_u64 v[0:1], v[22:23], 2, s[48:49]
	global_load_dword v26, v[0:1], off
	v_lshl_add_u64 v[0:1], v[22:23], 4, s[50:51]
	global_load_dwordx4 v[0:3], v[0:1], off
	s_and_b64 vcc, exec, s[38:39]
	v_lshl_add_u64 v[24:25], v[22:23], 3, s[62:63]
	s_waitcnt vmcnt(0)
	v_subrev_u32_e32 v26, s56, v26
	v_ashrrev_i32_e32 v27, 31, v26
	s_cbranch_vccz .LBB238_37
; %bb.21:                               ;   in Loop: Header=BB238_20 Depth=2
	global_load_dwordx2 v[30:31], v[24:25], off
	s_cbranch_execnz .LBB238_23
.LBB238_22:                             ;   in Loop: Header=BB238_20 Depth=2
	v_lshl_add_u64 v[28:29], v[26:27], 3, s[52:53]
	global_load_dwordx2 v[28:29], v[28:29], off
	s_waitcnt vmcnt(0)
	v_subrev_co_u32_e32 v30, vcc, s58, v28
	s_nop 1
	v_subbrev_co_u32_e32 v31, vcc, 0, v29, vcc
.LBB238_23:                             ;   in Loop: Header=BB238_20 Depth=2
	v_lshl_add_u64 v[26:27], v[26:27], 3, s[52:53]
	global_load_dwordx2 v[26:27], v[26:27], off offset:8
	s_waitcnt vmcnt(0)
	v_subrev_co_u32_e32 v28, vcc, s58, v26
	s_nop 1
	v_subbrev_co_u32_e32 v29, vcc, 0, v27, vcc
	v_lshl_add_u64 v[26:27], v[30:31], 0, v[12:13]
	v_cmp_lt_i64_e32 vcc, v[26:27], v[28:29]
	s_and_saveexec_b64 s[84:85], vcc
	s_cbranch_execz .LBB238_35
; %bb.24:                               ;   in Loop: Header=BB238_20 Depth=2
	v_mul_f64 v[30:31], v[2:3], -v[8:9]
	v_mul_f64 v[2:3], v[4:5], v[2:3]
	v_fmac_f64_e32 v[30:31], v[4:5], v[0:1]
	v_fmac_f64_e32 v[2:3], v[8:9], v[0:1]
	v_lshl_add_u64 v[0:1], v[26:27], 2, s[54:55]
	v_lshl_add_u64 v[32:33], v[26:27], 4, s[68:69]
	s_mov_b64 s[88:89], 0
	v_mov_b64_e32 v[36:37], v[26:27]
                                        ; implicit-def: $sgpr86_sgpr87
                                        ; implicit-def: $sgpr90_sgpr91
	s_branch .LBB238_26
.LBB238_25:                             ;   in Loop: Header=BB238_26 Depth=3
	s_or_b64 exec, exec, s[94:95]
	s_and_b64 s[0:1], exec, s[92:93]
	s_or_b64 s[88:89], s[0:1], s[88:89]
	s_andn2_b64 s[0:1], s[86:87], exec
	s_and_b64 s[86:87], s[90:91], exec
	s_or_b64 s[86:87], s[0:1], s[86:87]
	s_andn2_b64 exec, exec, s[88:89]
	s_cbranch_execz .LBB238_32
.LBB238_26:                             ;   Parent Loop BB238_13 Depth=1
                                        ;     Parent Loop BB238_20 Depth=2
                                        ; =>    This Inner Loop Header: Depth=3
	global_load_dword v45, v[0:1], off
	v_mov_b64_e32 v[34:35], v[36:37]
	s_waitcnt vmcnt(0)
	v_subrev_u32_e32 v45, s57, v45
	v_cmp_lt_i32_e32 vcc, v45, v43
	v_cmp_ge_i32_e64 s[0:1], v45, v42
	s_or_b64 s[92:93], vcc, s[0:1]
	s_mov_b64 s[0:1], 0
	s_and_saveexec_b64 s[94:95], s[92:93]
	s_xor_b64 s[92:93], exec, s[94:95]
; %bb.27:                               ;   in Loop: Header=BB238_26 Depth=3
	v_cmp_lt_i32_e32 vcc, v45, v42
	s_and_b64 s[0:1], vcc, exec
; %bb.28:                               ;   in Loop: Header=BB238_26 Depth=3
	s_andn2_saveexec_b64 s[92:93], s[92:93]
	s_cbranch_execz .LBB238_30
; %bb.29:                               ;   in Loop: Header=BB238_26 Depth=3
	global_load_dwordx4 v[52:55], v[32:33], off offset:-8
	v_sub_u32_e32 v36, v45, v43
	ds_write_b8 v36, v41 offset:32768
	v_lshlrev_b32_e32 v51, 4, v36
	s_or_b64 s[0:1], s[0:1], exec
	s_waitcnt vmcnt(0)
	v_mul_f64 v[36:37], v[54:55], -v[2:3]
	v_mul_f64 v[54:55], v[30:31], v[54:55]
	v_fmac_f64_e32 v[36:37], v[30:31], v[52:53]
	v_fmac_f64_e32 v[54:55], v[2:3], v[52:53]
	ds_add_f64 v51, v[36:37]
	ds_add_f64 v51, v[54:55] offset:8
.LBB238_30:                             ;   in Loop: Header=BB238_26 Depth=3
	s_or_b64 exec, exec, s[92:93]
	s_mov_b64 s[92:93], -1
	s_or_b64 s[90:91], s[90:91], exec
                                        ; implicit-def: $vgpr36_vgpr37
	s_and_saveexec_b64 s[94:95], s[0:1]
	s_cbranch_execz .LBB238_25
; %bb.31:                               ;   in Loop: Header=BB238_26 Depth=3
	v_lshl_add_u64 v[36:37], v[34:35], 0, 16
	v_cmp_ge_i64_e32 vcc, v[36:37], v[28:29]
	v_lshl_add_u64 v[0:1], v[0:1], 0, 64
	v_lshl_add_u64 v[32:33], v[32:33], 0, s[72:73]
	s_andn2_b64 s[90:91], s[90:91], exec
	s_orn2_b64 s[92:93], vcc, exec
	s_branch .LBB238_25
.LBB238_32:                             ;   in Loop: Header=BB238_20 Depth=2
	s_or_b64 exec, exec, s[88:89]
	s_and_saveexec_b64 s[0:1], s[86:87]
	s_xor_b64 s[0:1], exec, s[0:1]
; %bb.33:                               ;   in Loop: Header=BB238_20 Depth=2
	v_min_i32_e32 v44, v45, v44
	v_mov_b64_e32 v[26:27], v[34:35]
; %bb.34:                               ;   in Loop: Header=BB238_20 Depth=2
	s_or_b64 exec, exec, s[0:1]
.LBB238_35:                             ;   in Loop: Header=BB238_20 Depth=2
	s_or_b64 exec, exec, s[84:85]
	v_mov_b32_dpp v0, v26 row_shr:1 row_mask:0xf bank_mask:0xf
	v_mov_b32_dpp v1, v27 row_shr:1 row_mask:0xf bank_mask:0xf
	v_cmp_lt_i64_e32 vcc, v[0:1], v[26:27]
	s_nop 1
	v_cndmask_b32_e32 v1, v27, v1, vcc
	v_cndmask_b32_e32 v0, v26, v0, vcc
	s_nop 0
	v_mov_b32_dpp v3, v1 row_shr:2 row_mask:0xf bank_mask:0xf
	v_mov_b32_dpp v2, v0 row_shr:2 row_mask:0xf bank_mask:0xf
	v_cmp_lt_i64_e32 vcc, v[2:3], v[0:1]
	s_nop 1
	v_cndmask_b32_e32 v1, v1, v3, vcc
	v_cndmask_b32_e32 v0, v0, v2, vcc
	s_nop 0
	;; [unrolled: 7-line block ×3, first 2 shown]
	v_mov_b32_dpp v26, v1 row_shr:8 row_mask:0xf bank_mask:0xc
	v_mov_b32_dpp v2, v0 row_shr:8 row_mask:0xf bank_mask:0xc
	s_and_saveexec_b64 s[0:1], s[2:3]
	s_cbranch_execz .LBB238_19
; %bb.36:                               ;   in Loop: Header=BB238_20 Depth=2
	v_mov_b32_e32 v3, v26
	v_cmp_lt_i64_e32 vcc, v[2:3], v[0:1]
	s_nop 1
	v_cndmask_b32_e32 v1, v1, v26, vcc
	v_cndmask_b32_e32 v0, v0, v2, vcc
	global_store_dwordx2 v[24:25], v[0:1], off
	s_branch .LBB238_19
.LBB238_37:                             ;   in Loop: Header=BB238_20 Depth=2
                                        ; implicit-def: $vgpr30_vgpr31
	s_branch .LBB238_22
.LBB238_38:                             ;   in Loop: Header=BB238_13 Depth=1
	s_or_b64 exec, exec, s[82:83]
.LBB238_39:                             ;   in Loop: Header=BB238_13 Depth=1
	s_or_b64 exec, exec, s[80:81]
	s_andn2_b64 vcc, exec, s[42:43]
	s_cbranch_vccnz .LBB238_53
; %bb.40:                               ;   in Loop: Header=BB238_13 Depth=1
	s_load_dwordx4 s[84:87], s[44:45], 0x0
	s_waitcnt lgkmcnt(0)
	s_sub_u32 s80, s86, s96
	s_subb_u32 s81, s87, 0
	v_lshl_add_u64 v[0:1], s[84:85], 0, v[16:17]
	v_cmp_gt_i64_e32 vcc, s[80:81], v[0:1]
	s_and_saveexec_b64 s[38:39], vcc
	s_cbranch_execz .LBB238_52
; %bb.41:                               ;   in Loop: Header=BB238_13 Depth=1
	v_lshl_add_u64 v[2:3], v[0:1], 2, s[46:47]
	v_lshl_add_u64 v[22:23], v[0:1], 4, s[70:71]
	s_mov_b64 s[82:83], 0
                                        ; implicit-def: $sgpr84_sgpr85
                                        ; implicit-def: $sgpr86_sgpr87
	s_branch .LBB238_43
.LBB238_42:                             ;   in Loop: Header=BB238_43 Depth=2
	s_or_b64 exec, exec, s[90:91]
	s_and_b64 s[0:1], exec, s[88:89]
	s_or_b64 s[82:83], s[0:1], s[82:83]
	s_andn2_b64 s[0:1], s[84:85], exec
	s_and_b64 s[84:85], s[86:87], exec
	s_or_b64 s[84:85], s[0:1], s[84:85]
	s_andn2_b64 exec, exec, s[82:83]
	s_cbranch_execz .LBB238_49
.LBB238_43:                             ;   Parent Loop BB238_13 Depth=1
                                        ; =>  This Inner Loop Header: Depth=2
	global_load_dword v24, v[2:3], off
	s_waitcnt vmcnt(0)
	v_subrev_u32_e32 v24, s59, v24
	v_cmp_lt_i32_e32 vcc, v24, v43
	v_cmp_ge_i32_e64 s[0:1], v24, v42
	s_or_b64 s[88:89], vcc, s[0:1]
	s_mov_b64 s[0:1], 0
	s_and_saveexec_b64 s[90:91], s[88:89]
	s_xor_b64 s[88:89], exec, s[90:91]
; %bb.44:                               ;   in Loop: Header=BB238_43 Depth=2
	v_cmp_lt_i32_e32 vcc, v24, v42
	s_and_b64 s[0:1], vcc, exec
; %bb.45:                               ;   in Loop: Header=BB238_43 Depth=2
	s_andn2_saveexec_b64 s[88:89], s[88:89]
	s_cbranch_execz .LBB238_47
; %bb.46:                               ;   in Loop: Header=BB238_43 Depth=2
	global_load_dwordx4 v[26:29], v[22:23], off offset:-8
	v_sub_u32_e32 v25, v24, v43
	ds_write_b8 v25, v41 offset:32768
	v_lshlrev_b32_e32 v25, 4, v25
	s_or_b64 s[0:1], s[0:1], exec
	s_waitcnt vmcnt(0)
	v_mul_f64 v[30:31], v[28:29], -v[6:7]
	v_mul_f64 v[28:29], v[10:11], v[28:29]
	v_fmac_f64_e32 v[30:31], v[10:11], v[26:27]
	v_fmac_f64_e32 v[28:29], v[6:7], v[26:27]
	ds_add_f64 v25, v[30:31]
	ds_add_f64 v25, v[28:29] offset:8
.LBB238_47:                             ;   in Loop: Header=BB238_43 Depth=2
	s_or_b64 exec, exec, s[88:89]
	s_mov_b64 s[88:89], -1
	s_or_b64 s[86:87], s[86:87], exec
	s_and_saveexec_b64 s[90:91], s[0:1]
	s_cbranch_execz .LBB238_42
; %bb.48:                               ;   in Loop: Header=BB238_43 Depth=2
	v_lshl_add_u64 v[0:1], v[0:1], 0, s[74:75]
	v_cmp_le_i64_e32 vcc, s[80:81], v[0:1]
	v_lshl_add_u64 v[2:3], v[2:3], 0, s[76:77]
	v_lshl_add_u64 v[22:23], v[22:23], 0, s[78:79]
	s_andn2_b64 s[86:87], s[86:87], exec
	s_orn2_b64 s[88:89], vcc, exec
	s_branch .LBB238_42
.LBB238_49:                             ;   in Loop: Header=BB238_13 Depth=1
	s_or_b64 exec, exec, s[82:83]
	s_and_saveexec_b64 s[0:1], s[84:85]
	s_xor_b64 s[0:1], exec, s[0:1]
; %bb.50:                               ;   in Loop: Header=BB238_13 Depth=1
	v_min_i32_e32 v44, v24, v44
; %bb.51:                               ;   in Loop: Header=BB238_13 Depth=1
	s_or_b64 exec, exec, s[0:1]
.LBB238_52:                             ;   in Loop: Header=BB238_13 Depth=1
	s_or_b64 exec, exec, s[38:39]
.LBB238_53:                             ;   in Loop: Header=BB238_13 Depth=1
	v_mov_b32_dpp v0, v44 row_shr:1 row_mask:0xf bank_mask:0xf
	v_min_i32_e32 v0, v0, v44
	s_nop 1
	v_mov_b32_dpp v1, v0 row_shr:2 row_mask:0xf bank_mask:0xf
	v_min_i32_e32 v0, v1, v0
	s_nop 1
	;; [unrolled: 3-line block ×3, first 2 shown]
	v_mov_b32_dpp v1, v0 row_shr:8 row_mask:0xf bank_mask:0xc
	s_and_saveexec_b64 s[0:1], s[2:3]
	s_cbranch_execz .LBB238_58
; %bb.54:                               ;   in Loop: Header=BB238_13 Depth=1
	s_mov_b64 s[38:39], exec
	v_min_i32_e32 v0, v1, v0
	s_brev_b32 s80, -2
.LBB238_55:                             ;   Parent Loop BB238_13 Depth=1
                                        ; =>  This Inner Loop Header: Depth=2
	s_ff1_i32_b64 s81, s[38:39]
	v_readlane_b32 s84, v0, s81
	s_lshl_b64 s[82:83], 1, s81
	s_min_i32 s80, s80, s84
	s_andn2_b64 s[38:39], s[38:39], s[82:83]
	s_cmp_lg_u64 s[38:39], 0
	s_cbranch_scc1 .LBB238_55
; %bb.56:                               ;   in Loop: Header=BB238_13 Depth=1
	v_mbcnt_lo_u32_b32 v0, exec_lo, 0
	v_mbcnt_hi_u32_b32 v0, exec_hi, v0
	v_cmp_eq_u32_e32 vcc, 0, v0
	s_and_saveexec_b64 s[38:39], vcc
	s_xor_b64 s[38:39], exec, s[38:39]
; %bb.57:                               ;   in Loop: Header=BB238_13 Depth=1
	v_mov_b32_e32 v0, s80
	ds_min_i32 v13, v0 offset:34816
.LBB238_58:                             ;   in Loop: Header=BB238_13 Depth=1
	s_or_b64 exec, exec, s[0:1]
	s_mov_b64 s[0:1], 0
	v_mov_b32_e32 v2, v40
	v_mov_b32_e32 v3, v39
	s_waitcnt lgkmcnt(0)
	s_barrier
	s_branch .LBB238_60
.LBB238_59:                             ;   in Loop: Header=BB238_60 Depth=2
	s_or_b64 exec, exec, s[38:39]
	s_waitcnt lgkmcnt(0)
	s_barrier
	ds_read_b32 v0, v13 offset:60
	v_add_u32_e32 v3, 0x200, v3
	v_cmp_lt_u32_e32 vcc, s97, v3
	s_or_b64 s[0:1], vcc, s[0:1]
	v_add_u32_e32 v2, 0x2000, v2
	s_waitcnt lgkmcnt(0)
	v_ashrrev_i32_e32 v1, 31, v0
	v_lshl_add_u64 v[20:21], v[20:21], 0, v[0:1]
	s_andn2_b64 exec, exec, s[0:1]
	s_cbranch_execz .LBB238_12
.LBB238_60:                             ;   Parent Loop BB238_13 Depth=1
                                        ; =>  This Inner Loop Header: Depth=2
	ds_read2_b64 v[22:25], v2 offset1:1
	ds_read_u8 v1, v3 offset:33280
	s_waitcnt lgkmcnt(0)
	scratch_store_dwordx4 off, v[22:25], off
	v_cmp_ne_u16_e32 vcc, 0, v1
	s_bcnt1_i32_b64 s38, vcc
	s_nop 0
	v_and_b32_e32 v22, vcc_lo, v18
	v_bcnt_u32_b32 v26, v22, 0
	v_mov_b32_e32 v22, s38
	s_barrier
	ds_write_b32 v38, v22
	s_waitcnt lgkmcnt(0)
	s_barrier
	ds_read_b128 v[22:25], v13
	v_and_b32_e32 v0, vcc_hi, v19
	v_bcnt_u32_b32 v0, v0, v26
	ds_read_b128 v[26:29], v13 offset:16
	ds_read_b128 v[30:33], v13 offset:32
	ds_read_b96 v[34:36], v13 offset:48
	v_and_b32_e32 v1, 1, v1
	s_waitcnt lgkmcnt(0)
	v_cndmask_b32_e64 v22, v22, 0, s[6:7]
	v_add_u32_e32 v0, v22, v0
	v_cndmask_b32_e64 v22, v23, 0, s[8:9]
	v_cndmask_b32_e64 v23, v24, 0, s[10:11]
	v_add3_u32 v0, v0, v22, v23
	v_cndmask_b32_e64 v22, v25, 0, s[12:13]
	v_cndmask_b32_e64 v23, v26, 0, s[14:15]
	v_add3_u32 v0, v0, v22, v23
	;; [unrolled: 3-line block ×7, first 2 shown]
	v_cmp_eq_u32_e32 vcc, 1, v1
	s_and_saveexec_b64 s[38:39], vcc
	s_cbranch_execz .LBB238_62
; %bb.61:                               ;   in Loop: Header=BB238_60 Depth=2
	scratch_load_dwordx4 v[22:25], off, off
	v_lshl_add_u64 v[26:27], v[20:21], 4, s[60:61]
	v_ashrrev_i32_e32 v1, 31, v0
	v_lshl_add_u64 v[26:27], v[0:1], 4, v[26:27]
	s_waitcnt vmcnt(0)
	global_store_dwordx4 v[26:27], v[22:25], off offset:-16
.LBB238_62:                             ;   in Loop: Header=BB238_60 Depth=2
	s_or_b64 exec, exec, s[38:39]
	s_and_saveexec_b64 s[38:39], s[4:5]
	s_cbranch_execz .LBB238_59
; %bb.63:                               ;   in Loop: Header=BB238_60 Depth=2
	ds_write_b32 v13, v0 offset:60
	s_branch .LBB238_59
.LBB238_64:
	s_endpgm
	.section	.rodata,"a",@progbits
	.p2align	6, 0x0
	.amdhsa_kernel _ZN9rocsparseL51csrgemm_numeric_fill_block_per_row_multipass_kernelILj512ELj16ELj2048ELj32Eli21rocsparse_complex_numIdEEEvT4_PKS3_S5_NS_24const_host_device_scalarIT5_EEPKT3_S5_PKS7_SB_S5_SD_S8_SB_S5_SD_SB_S5_PS7_PS9_21rocsparse_index_base_SG_SG_SG_bbb
		.amdhsa_group_segment_fixed_size 34824
		.amdhsa_private_segment_fixed_size 40
		.amdhsa_kernarg_size 180
		.amdhsa_user_sgpr_count 2
		.amdhsa_user_sgpr_dispatch_ptr 0
		.amdhsa_user_sgpr_queue_ptr 0
		.amdhsa_user_sgpr_kernarg_segment_ptr 1
		.amdhsa_user_sgpr_dispatch_id 0
		.amdhsa_user_sgpr_kernarg_preload_length 0
		.amdhsa_user_sgpr_kernarg_preload_offset 0
		.amdhsa_user_sgpr_private_segment_size 0
		.amdhsa_uses_dynamic_stack 0
		.amdhsa_enable_private_segment 1
		.amdhsa_system_sgpr_workgroup_id_x 1
		.amdhsa_system_sgpr_workgroup_id_y 0
		.amdhsa_system_sgpr_workgroup_id_z 0
		.amdhsa_system_sgpr_workgroup_info 0
		.amdhsa_system_vgpr_workitem_id 0
		.amdhsa_next_free_vgpr 56
		.amdhsa_next_free_sgpr 98
		.amdhsa_accum_offset 56
		.amdhsa_reserve_vcc 1
		.amdhsa_float_round_mode_32 0
		.amdhsa_float_round_mode_16_64 0
		.amdhsa_float_denorm_mode_32 3
		.amdhsa_float_denorm_mode_16_64 3
		.amdhsa_dx10_clamp 1
		.amdhsa_ieee_mode 1
		.amdhsa_fp16_overflow 0
		.amdhsa_tg_split 0
		.amdhsa_exception_fp_ieee_invalid_op 0
		.amdhsa_exception_fp_denorm_src 0
		.amdhsa_exception_fp_ieee_div_zero 0
		.amdhsa_exception_fp_ieee_overflow 0
		.amdhsa_exception_fp_ieee_underflow 0
		.amdhsa_exception_fp_ieee_inexact 0
		.amdhsa_exception_int_div_zero 0
	.end_amdhsa_kernel
	.section	.text._ZN9rocsparseL51csrgemm_numeric_fill_block_per_row_multipass_kernelILj512ELj16ELj2048ELj32Eli21rocsparse_complex_numIdEEEvT4_PKS3_S5_NS_24const_host_device_scalarIT5_EEPKT3_S5_PKS7_SB_S5_SD_S8_SB_S5_SD_SB_S5_PS7_PS9_21rocsparse_index_base_SG_SG_SG_bbb,"axG",@progbits,_ZN9rocsparseL51csrgemm_numeric_fill_block_per_row_multipass_kernelILj512ELj16ELj2048ELj32Eli21rocsparse_complex_numIdEEEvT4_PKS3_S5_NS_24const_host_device_scalarIT5_EEPKT3_S5_PKS7_SB_S5_SD_S8_SB_S5_SD_SB_S5_PS7_PS9_21rocsparse_index_base_SG_SG_SG_bbb,comdat
.Lfunc_end238:
	.size	_ZN9rocsparseL51csrgemm_numeric_fill_block_per_row_multipass_kernelILj512ELj16ELj2048ELj32Eli21rocsparse_complex_numIdEEEvT4_PKS3_S5_NS_24const_host_device_scalarIT5_EEPKT3_S5_PKS7_SB_S5_SD_S8_SB_S5_SD_SB_S5_PS7_PS9_21rocsparse_index_base_SG_SG_SG_bbb, .Lfunc_end238-_ZN9rocsparseL51csrgemm_numeric_fill_block_per_row_multipass_kernelILj512ELj16ELj2048ELj32Eli21rocsparse_complex_numIdEEEvT4_PKS3_S5_NS_24const_host_device_scalarIT5_EEPKT3_S5_PKS7_SB_S5_SD_S8_SB_S5_SD_SB_S5_PS7_PS9_21rocsparse_index_base_SG_SG_SG_bbb
                                        ; -- End function
	.set _ZN9rocsparseL51csrgemm_numeric_fill_block_per_row_multipass_kernelILj512ELj16ELj2048ELj32Eli21rocsparse_complex_numIdEEEvT4_PKS3_S5_NS_24const_host_device_scalarIT5_EEPKT3_S5_PKS7_SB_S5_SD_S8_SB_S5_SD_SB_S5_PS7_PS9_21rocsparse_index_base_SG_SG_SG_bbb.num_vgpr, 56
	.set _ZN9rocsparseL51csrgemm_numeric_fill_block_per_row_multipass_kernelILj512ELj16ELj2048ELj32Eli21rocsparse_complex_numIdEEEvT4_PKS3_S5_NS_24const_host_device_scalarIT5_EEPKT3_S5_PKS7_SB_S5_SD_S8_SB_S5_SD_SB_S5_PS7_PS9_21rocsparse_index_base_SG_SG_SG_bbb.num_agpr, 0
	.set _ZN9rocsparseL51csrgemm_numeric_fill_block_per_row_multipass_kernelILj512ELj16ELj2048ELj32Eli21rocsparse_complex_numIdEEEvT4_PKS3_S5_NS_24const_host_device_scalarIT5_EEPKT3_S5_PKS7_SB_S5_SD_S8_SB_S5_SD_SB_S5_PS7_PS9_21rocsparse_index_base_SG_SG_SG_bbb.numbered_sgpr, 98
	.set _ZN9rocsparseL51csrgemm_numeric_fill_block_per_row_multipass_kernelILj512ELj16ELj2048ELj32Eli21rocsparse_complex_numIdEEEvT4_PKS3_S5_NS_24const_host_device_scalarIT5_EEPKT3_S5_PKS7_SB_S5_SD_S8_SB_S5_SD_SB_S5_PS7_PS9_21rocsparse_index_base_SG_SG_SG_bbb.num_named_barrier, 0
	.set _ZN9rocsparseL51csrgemm_numeric_fill_block_per_row_multipass_kernelILj512ELj16ELj2048ELj32Eli21rocsparse_complex_numIdEEEvT4_PKS3_S5_NS_24const_host_device_scalarIT5_EEPKT3_S5_PKS7_SB_S5_SD_S8_SB_S5_SD_SB_S5_PS7_PS9_21rocsparse_index_base_SG_SG_SG_bbb.private_seg_size, 40
	.set _ZN9rocsparseL51csrgemm_numeric_fill_block_per_row_multipass_kernelILj512ELj16ELj2048ELj32Eli21rocsparse_complex_numIdEEEvT4_PKS3_S5_NS_24const_host_device_scalarIT5_EEPKT3_S5_PKS7_SB_S5_SD_S8_SB_S5_SD_SB_S5_PS7_PS9_21rocsparse_index_base_SG_SG_SG_bbb.uses_vcc, 1
	.set _ZN9rocsparseL51csrgemm_numeric_fill_block_per_row_multipass_kernelILj512ELj16ELj2048ELj32Eli21rocsparse_complex_numIdEEEvT4_PKS3_S5_NS_24const_host_device_scalarIT5_EEPKT3_S5_PKS7_SB_S5_SD_S8_SB_S5_SD_SB_S5_PS7_PS9_21rocsparse_index_base_SG_SG_SG_bbb.uses_flat_scratch, 0
	.set _ZN9rocsparseL51csrgemm_numeric_fill_block_per_row_multipass_kernelILj512ELj16ELj2048ELj32Eli21rocsparse_complex_numIdEEEvT4_PKS3_S5_NS_24const_host_device_scalarIT5_EEPKT3_S5_PKS7_SB_S5_SD_S8_SB_S5_SD_SB_S5_PS7_PS9_21rocsparse_index_base_SG_SG_SG_bbb.has_dyn_sized_stack, 0
	.set _ZN9rocsparseL51csrgemm_numeric_fill_block_per_row_multipass_kernelILj512ELj16ELj2048ELj32Eli21rocsparse_complex_numIdEEEvT4_PKS3_S5_NS_24const_host_device_scalarIT5_EEPKT3_S5_PKS7_SB_S5_SD_S8_SB_S5_SD_SB_S5_PS7_PS9_21rocsparse_index_base_SG_SG_SG_bbb.has_recursion, 0
	.set _ZN9rocsparseL51csrgemm_numeric_fill_block_per_row_multipass_kernelILj512ELj16ELj2048ELj32Eli21rocsparse_complex_numIdEEEvT4_PKS3_S5_NS_24const_host_device_scalarIT5_EEPKT3_S5_PKS7_SB_S5_SD_S8_SB_S5_SD_SB_S5_PS7_PS9_21rocsparse_index_base_SG_SG_SG_bbb.has_indirect_call, 0
	.section	.AMDGPU.csdata,"",@progbits
; Kernel info:
; codeLenInByte = 2724
; TotalNumSgprs: 104
; NumVgprs: 56
; NumAgprs: 0
; TotalNumVgprs: 56
; ScratchSize: 40
; MemoryBound: 0
; FloatMode: 240
; IeeeMode: 1
; LDSByteSize: 34824 bytes/workgroup (compile time only)
; SGPRBlocks: 12
; VGPRBlocks: 6
; NumSGPRsForWavesPerEU: 104
; NumVGPRsForWavesPerEU: 56
; AccumOffset: 56
; Occupancy: 7
; WaveLimiterHint : 1
; COMPUTE_PGM_RSRC2:SCRATCH_EN: 1
; COMPUTE_PGM_RSRC2:USER_SGPR: 2
; COMPUTE_PGM_RSRC2:TRAP_HANDLER: 0
; COMPUTE_PGM_RSRC2:TGID_X_EN: 1
; COMPUTE_PGM_RSRC2:TGID_Y_EN: 0
; COMPUTE_PGM_RSRC2:TGID_Z_EN: 0
; COMPUTE_PGM_RSRC2:TIDIG_COMP_CNT: 0
; COMPUTE_PGM_RSRC3_GFX90A:ACCUM_OFFSET: 13
; COMPUTE_PGM_RSRC3_GFX90A:TG_SPLIT: 0
	.section	.text._ZN9rocsparseL51csrgemm_numeric_fill_block_per_row_multipass_kernelILj512ELj16ELj2048ELj64Eli21rocsparse_complex_numIdEEEvT4_PKS3_S5_NS_24const_host_device_scalarIT5_EEPKT3_S5_PKS7_SB_S5_SD_S8_SB_S5_SD_SB_S5_PS7_PS9_21rocsparse_index_base_SG_SG_SG_bbb,"axG",@progbits,_ZN9rocsparseL51csrgemm_numeric_fill_block_per_row_multipass_kernelILj512ELj16ELj2048ELj64Eli21rocsparse_complex_numIdEEEvT4_PKS3_S5_NS_24const_host_device_scalarIT5_EEPKT3_S5_PKS7_SB_S5_SD_S8_SB_S5_SD_SB_S5_PS7_PS9_21rocsparse_index_base_SG_SG_SG_bbb,comdat
	.globl	_ZN9rocsparseL51csrgemm_numeric_fill_block_per_row_multipass_kernelILj512ELj16ELj2048ELj64Eli21rocsparse_complex_numIdEEEvT4_PKS3_S5_NS_24const_host_device_scalarIT5_EEPKT3_S5_PKS7_SB_S5_SD_S8_SB_S5_SD_SB_S5_PS7_PS9_21rocsparse_index_base_SG_SG_SG_bbb ; -- Begin function _ZN9rocsparseL51csrgemm_numeric_fill_block_per_row_multipass_kernelILj512ELj16ELj2048ELj64Eli21rocsparse_complex_numIdEEEvT4_PKS3_S5_NS_24const_host_device_scalarIT5_EEPKT3_S5_PKS7_SB_S5_SD_S8_SB_S5_SD_SB_S5_PS7_PS9_21rocsparse_index_base_SG_SG_SG_bbb
	.p2align	8
	.type	_ZN9rocsparseL51csrgemm_numeric_fill_block_per_row_multipass_kernelILj512ELj16ELj2048ELj64Eli21rocsparse_complex_numIdEEEvT4_PKS3_S5_NS_24const_host_device_scalarIT5_EEPKT3_S5_PKS7_SB_S5_SD_S8_SB_S5_SD_SB_S5_PS7_PS9_21rocsparse_index_base_SG_SG_SG_bbb,@function
_ZN9rocsparseL51csrgemm_numeric_fill_block_per_row_multipass_kernelILj512ELj16ELj2048ELj64Eli21rocsparse_complex_numIdEEEvT4_PKS3_S5_NS_24const_host_device_scalarIT5_EEPKT3_S5_PKS7_SB_S5_SD_S8_SB_S5_SD_SB_S5_PS7_PS9_21rocsparse_index_base_SG_SG_SG_bbb: ; @_ZN9rocsparseL51csrgemm_numeric_fill_block_per_row_multipass_kernelILj512ELj16ELj2048ELj64Eli21rocsparse_complex_numIdEEEvT4_PKS3_S5_NS_24const_host_device_scalarIT5_EEPKT3_S5_PKS7_SB_S5_SD_S8_SB_S5_SD_SB_S5_PS7_PS9_21rocsparse_index_base_SG_SG_SG_bbb
; %bb.0:
	s_load_dword s3, s[0:1], 0xb0
	s_load_dwordx8 s[4:11], s[0:1], 0x8
	s_load_dwordx4 s[44:47], s[0:1], 0xa0
	s_load_dwordx4 s[12:15], s[0:1], 0x58
	v_mov_b64_e32 v[6:7], 0
	v_mov_b64_e32 v[4:5], 0
	s_waitcnt lgkmcnt(0)
	s_bitcmp1_b32 s3, 0
	s_cselect_b64 s[16:17], -1, 0
	s_bitcmp1_b32 s3, 16
	s_cselect_b64 s[20:21], -1, 0
	s_xor_b64 s[18:19], s[20:21], -1
	v_mov_b64_e32 v[2:3], s[8:9]
	scratch_store_dwordx2 off, v[2:3], off offset:16
	v_mov_b64_e32 v[2:3], s[12:13]
	s_bitcmp0_b32 s3, 0
	v_mov_b64_e32 v[8:9], 0
	scratch_store_dwordx2 off, v[2:3], off offset:24
	s_cbranch_scc1 .LBB239_3
; %bb.1:
	s_mov_b64 s[22:23], src_private_base
	s_and_b64 s[24:25], s[20:21], exec
	s_cselect_b32 s22, s23, s9
	s_cselect_b32 s23, 16, s8
	v_mov_b32_e32 v2, s23
	v_mov_b32_e32 v3, s22
	flat_load_dwordx2 v[4:5], v[2:3]
	s_andn2_b64 vcc, exec, s[18:19]
	v_mov_b64_e32 v[8:9], s[10:11]
	s_cbranch_vccnz .LBB239_3
; %bb.2:
	v_mov_b64_e32 v[2:3], s[8:9]
	flat_load_dwordx2 v[8:9], v[2:3] offset:8
.LBB239_3:
	s_load_dwordx2 s[8:9], s[0:1], 0x28
	s_bitcmp1_b32 s3, 8
	s_cselect_b64 s[34:35], -1, 0
	s_bfe_u32 s3, s3, 0x10008
	s_cmp_eq_u32 s3, 0
	v_mov_b64_e32 v[10:11], 0
	s_cbranch_scc1 .LBB239_6
; %bb.4:
	s_mov_b64 s[10:11], src_private_base
	s_and_b64 s[20:21], s[20:21], exec
	s_cselect_b32 s3, s11, s13
	s_cselect_b32 s10, 24, s12
	v_mov_b32_e32 v2, s10
	v_mov_b32_e32 v3, s3
	flat_load_dwordx2 v[10:11], v[2:3]
	s_andn2_b64 vcc, exec, s[18:19]
	v_mov_b64_e32 v[6:7], s[14:15]
	s_cbranch_vccnz .LBB239_6
; %bb.5:
	v_mov_b64_e32 v[2:3], s[12:13]
	flat_load_dwordx2 v[6:7], v[2:3] offset:8
.LBB239_6:
	s_load_dword s4, s[4:5], 0x0
	s_mov_b32 s3, 0
	v_cndmask_b32_e64 v1, 0, 1, s[16:17]
	s_mov_b64 s[52:53], 0
	s_waitcnt lgkmcnt(0)
	s_add_i32 s2, s4, s2
	s_lshl_b64 s[2:3], s[2:3], 2
	s_add_u32 s2, s6, s2
	s_addc_u32 s3, s7, s3
	s_load_dword s6, s[2:3], 0x0
	v_cmp_ne_u32_e64 s[2:3], 1, v1
	s_andn2_b64 vcc, exec, s[16:17]
	s_mov_b64 s[4:5], 0
	s_cbranch_vccz .LBB239_9
; %bb.7:
	s_and_b64 vcc, exec, s[2:3]
	s_cbranch_vccz .LBB239_10
.LBB239_8:
	s_load_dword s33, s[0:1], 0x0
	s_waitcnt lgkmcnt(0)
	s_cmp_lt_i32 s33, 1
	s_cbranch_scc0 .LBB239_11
	s_branch .LBB239_64
.LBB239_9:
	s_waitcnt lgkmcnt(0)
	s_ashr_i32 s7, s6, 31
	s_lshl_b64 s[4:5], s[6:7], 3
	s_add_u32 s4, s8, s4
	s_addc_u32 s5, s9, s5
	s_load_dwordx2 s[4:5], s[4:5], 0x0
	s_waitcnt lgkmcnt(0)
	s_sub_u32 s4, s4, s44
	s_subb_u32 s5, s5, 0
	s_and_b64 vcc, exec, s[2:3]
	s_cbranch_vccnz .LBB239_8
.LBB239_10:
	s_waitcnt lgkmcnt(0)
	s_ashr_i32 s7, s6, 31
	s_lshl_b64 s[2:3], s[6:7], 3
	s_add_u32 s2, s8, s2
	s_addc_u32 s3, s9, s3
	s_load_dwordx2 s[2:3], s[2:3], 0x8
	s_waitcnt lgkmcnt(0)
	s_sub_u32 s52, s2, s44
	s_subb_u32 s53, s3, 0
	s_load_dword s33, s[0:1], 0x0
	s_waitcnt lgkmcnt(0)
	s_cmp_lt_i32 s33, 1
	s_cbranch_scc1 .LBB239_64
.LBB239_11:
	s_load_dwordx8 s[24:31], s[0:1], 0x68
	s_load_dwordx4 s[48:51], s[0:1], 0x90
	s_load_dwordx2 s[20:21], s[0:1], 0x50
	s_ashr_i32 s7, s6, 31
	s_lshl_b64 s[6:7], s[6:7], 3
	s_waitcnt lgkmcnt(0)
	s_add_u32 s2, s30, s6
	s_addc_u32 s3, s31, s7
	s_load_dwordx2 s[8:9], s[2:3], 0x0
	s_load_dwordx8 s[36:43], s[0:1], 0x30
	v_mov_b32_e32 v13, 0
	v_lshrrev_b32_e32 v2, 4, v0
	v_mov_b32_e32 v3, v13
	s_waitcnt lgkmcnt(0)
	s_sub_u32 s22, s8, s46
	s_subb_u32 s23, s9, 0
	v_lshl_add_u64 v[14:15], s[4:5], 0, v[2:3]
	v_cmp_gt_i64_e32 vcc, s[52:53], v[14:15]
	s_add_u32 s24, s24, s6
	s_addc_u32 s25, s25, s7
	s_and_b64 s[30:31], s[16:17], vcc
	v_subrev_co_u32_e64 v16, s[4:5], s47, v0
	v_mbcnt_lo_u32_b32 v1, -1, 0
	s_add_u32 s54, s20, 8
	v_subb_co_u32_e64 v17, s[4:5], 0, 0, s[4:5]
	v_mbcnt_hi_u32_b32 v1, -1, v1
	s_addc_u32 s55, s21, 0
	v_and_b32_e32 v12, 15, v0
	v_sub_u32_e32 v1, 63, v1
	s_movk_i32 s4, 0x1ff
	s_movk_i32 s8, 0x80
	;; [unrolled: 1-line block ×7, first 2 shown]
	s_add_u32 s28, s28, 8
	v_cmp_eq_u32_e64 s[0:1], 0, v0
	s_mov_b32 s46, s45
	v_cmp_eq_u32_e64 s[2:3], 15, v12
	s_mov_b32 s80, s47
	v_lshrrev_b64 v[18:19], v1, -1
	v_and_b32_e32 v38, 28, v2
	v_cmp_eq_u32_e64 s[4:5], s4, v0
	v_cmp_gt_u32_e64 s[6:7], 64, v0
	v_cmp_gt_u32_e64 s[8:9], s8, v0
	;; [unrolled: 1-line block ×7, first 2 shown]
	v_or_b32_e32 v39, 0xfffffe00, v0
	v_lshlrev_b32_e32 v40, 4, v0
	s_addc_u32 s29, s29, 0
	v_mov_b32_e32 v42, 0x800
	v_mov_b64_e32 v[20:21], s[22:23]
	v_mov_b32_e32 v46, v13
	v_mov_b32_e32 v47, v13
	v_mov_b32_e32 v48, v13
	v_mov_b32_e32 v49, v13
	s_movk_i32 s81, 0x5ff
	v_mov_b32_e32 v50, s33
	v_mov_b32_e32 v41, 1
	s_mov_b64 s[56:57], 0x100
	s_mov_b64 s[58:59], 0x200
	;; [unrolled: 1-line block ×4, first 2 shown]
	v_mov_b32_e32 v43, v13
	s_branch .LBB239_13
.LBB239_12:                             ;   in Loop: Header=BB239_13 Depth=1
	s_or_b64 exec, exec, s[20:21]
	ds_read_b32 v43, v13 offset:34816
	s_waitcnt lgkmcnt(0)
	s_barrier
	v_cmp_le_i32_e32 vcc, s33, v43
	v_add_u32_e32 v42, 0x800, v43
	s_cbranch_vccnz .LBB239_64
.LBB239_13:                             ; =>This Loop Header: Depth=1
                                        ;     Child Loop BB239_14 Depth 2
                                        ;     Child Loop BB239_20 Depth 2
                                        ;       Child Loop BB239_26 Depth 3
                                        ;     Child Loop BB239_43 Depth 2
                                        ;     Child Loop BB239_55 Depth 2
	;; [unrolled: 1-line block ×3, first 2 shown]
	s_mov_b64 s[20:21], 0
	v_mov_b32_e32 v0, v40
	v_mov_b32_e32 v1, v39
.LBB239_14:                             ;   Parent Loop BB239_13 Depth=1
                                        ; =>  This Inner Loop Header: Depth=2
	ds_write_b8 v1, v13 offset:33280
	ds_write_b128 v0, v[46:49]
	v_add_u32_e32 v1, 0x200, v1
	v_cmp_lt_u32_e32 vcc, s81, v1
	s_or_b64 s[20:21], vcc, s[20:21]
	v_add_u32_e32 v0, 0x2000, v0
	s_andn2_b64 exec, exec, s[20:21]
	s_cbranch_execnz .LBB239_14
; %bb.15:                               ;   in Loop: Header=BB239_13 Depth=1
	s_or_b64 exec, exec, s[20:21]
	s_and_saveexec_b64 s[20:21], s[0:1]
; %bb.16:                               ;   in Loop: Header=BB239_13 Depth=1
	ds_write_b32 v13, v50 offset:34816
; %bb.17:                               ;   in Loop: Header=BB239_13 Depth=1
	s_or_b64 exec, exec, s[20:21]
	v_mov_b32_e32 v44, s33
	s_waitcnt lgkmcnt(0)
	s_barrier
	s_and_saveexec_b64 s[64:65], s[30:31]
	s_cbranch_execz .LBB239_39
; %bb.18:                               ;   in Loop: Header=BB239_13 Depth=1
	s_mov_b64 s[66:67], 0
	v_cmp_ne_u32_e64 s[20:21], 0, v43
	v_mov_b32_e32 v44, s33
	v_mov_b64_e32 v[22:23], v[14:15]
	s_branch .LBB239_20
.LBB239_19:                             ;   in Loop: Header=BB239_20 Depth=2
	s_or_b64 exec, exec, s[22:23]
	v_lshl_add_u64 v[22:23], v[22:23], 0, 32
	v_cmp_le_i64_e32 vcc, s[52:53], v[22:23]
	s_or_b64 s[66:67], vcc, s[66:67]
	s_andn2_b64 exec, exec, s[66:67]
	s_cbranch_execz .LBB239_38
.LBB239_20:                             ;   Parent Loop BB239_13 Depth=1
                                        ; =>  This Loop Header: Depth=2
                                        ;       Child Loop BB239_26 Depth 3
	v_lshl_add_u64 v[0:1], v[22:23], 2, s[36:37]
	global_load_dword v26, v[0:1], off
	v_lshl_add_u64 v[0:1], v[22:23], 4, s[38:39]
	global_load_dwordx4 v[0:3], v[0:1], off
	s_and_b64 vcc, exec, s[20:21]
	v_lshl_add_u64 v[24:25], v[22:23], 3, s[50:51]
	s_waitcnt vmcnt(0)
	v_subrev_u32_e32 v26, s44, v26
	v_ashrrev_i32_e32 v27, 31, v26
	s_cbranch_vccz .LBB239_37
; %bb.21:                               ;   in Loop: Header=BB239_20 Depth=2
	global_load_dwordx2 v[30:31], v[24:25], off
	s_cbranch_execnz .LBB239_23
.LBB239_22:                             ;   in Loop: Header=BB239_20 Depth=2
	v_lshl_add_u64 v[28:29], v[26:27], 3, s[40:41]
	global_load_dwordx2 v[28:29], v[28:29], off
	s_waitcnt vmcnt(0)
	v_subrev_co_u32_e32 v30, vcc, s46, v28
	s_nop 1
	v_subbrev_co_u32_e32 v31, vcc, 0, v29, vcc
.LBB239_23:                             ;   in Loop: Header=BB239_20 Depth=2
	v_lshl_add_u64 v[26:27], v[26:27], 3, s[40:41]
	global_load_dwordx2 v[26:27], v[26:27], off offset:8
	s_waitcnt vmcnt(0)
	v_subrev_co_u32_e32 v28, vcc, s46, v26
	s_nop 1
	v_subbrev_co_u32_e32 v29, vcc, 0, v27, vcc
	v_lshl_add_u64 v[26:27], v[30:31], 0, v[12:13]
	v_cmp_lt_i64_e32 vcc, v[26:27], v[28:29]
	s_and_saveexec_b64 s[68:69], vcc
	s_cbranch_execz .LBB239_35
; %bb.24:                               ;   in Loop: Header=BB239_20 Depth=2
	v_mul_f64 v[30:31], v[2:3], -v[8:9]
	v_mul_f64 v[2:3], v[4:5], v[2:3]
	v_fmac_f64_e32 v[30:31], v[4:5], v[0:1]
	v_fmac_f64_e32 v[2:3], v[8:9], v[0:1]
	v_lshl_add_u64 v[0:1], v[26:27], 2, s[42:43]
	v_lshl_add_u64 v[32:33], v[26:27], 4, s[54:55]
	s_mov_b64 s[72:73], 0
	v_mov_b64_e32 v[36:37], v[26:27]
                                        ; implicit-def: $sgpr70_sgpr71
                                        ; implicit-def: $sgpr74_sgpr75
	s_branch .LBB239_26
.LBB239_25:                             ;   in Loop: Header=BB239_26 Depth=3
	s_or_b64 exec, exec, s[78:79]
	s_and_b64 s[22:23], exec, s[76:77]
	s_or_b64 s[72:73], s[22:23], s[72:73]
	s_andn2_b64 s[22:23], s[70:71], exec
	s_and_b64 s[70:71], s[74:75], exec
	s_or_b64 s[70:71], s[22:23], s[70:71]
	s_andn2_b64 exec, exec, s[72:73]
	s_cbranch_execz .LBB239_32
.LBB239_26:                             ;   Parent Loop BB239_13 Depth=1
                                        ;     Parent Loop BB239_20 Depth=2
                                        ; =>    This Inner Loop Header: Depth=3
	global_load_dword v45, v[0:1], off
	v_mov_b64_e32 v[34:35], v[36:37]
	s_waitcnt vmcnt(0)
	v_subrev_u32_e32 v45, s45, v45
	v_cmp_lt_i32_e32 vcc, v45, v43
	v_cmp_ge_i32_e64 s[22:23], v45, v42
	s_or_b64 s[76:77], vcc, s[22:23]
	s_mov_b64 s[22:23], 0
	s_and_saveexec_b64 s[78:79], s[76:77]
	s_xor_b64 s[76:77], exec, s[78:79]
; %bb.27:                               ;   in Loop: Header=BB239_26 Depth=3
	v_cmp_lt_i32_e32 vcc, v45, v42
	s_and_b64 s[22:23], vcc, exec
; %bb.28:                               ;   in Loop: Header=BB239_26 Depth=3
	s_andn2_saveexec_b64 s[76:77], s[76:77]
	s_cbranch_execz .LBB239_30
; %bb.29:                               ;   in Loop: Header=BB239_26 Depth=3
	global_load_dwordx4 v[52:55], v[32:33], off offset:-8
	v_sub_u32_e32 v36, v45, v43
	ds_write_b8 v36, v41 offset:32768
	v_lshlrev_b32_e32 v51, 4, v36
	s_or_b64 s[22:23], s[22:23], exec
	s_waitcnt vmcnt(0)
	v_mul_f64 v[36:37], v[54:55], -v[2:3]
	v_mul_f64 v[54:55], v[30:31], v[54:55]
	v_fmac_f64_e32 v[36:37], v[30:31], v[52:53]
	v_fmac_f64_e32 v[54:55], v[2:3], v[52:53]
	ds_add_f64 v51, v[36:37]
	ds_add_f64 v51, v[54:55] offset:8
.LBB239_30:                             ;   in Loop: Header=BB239_26 Depth=3
	s_or_b64 exec, exec, s[76:77]
	s_mov_b64 s[76:77], -1
	s_or_b64 s[74:75], s[74:75], exec
                                        ; implicit-def: $vgpr36_vgpr37
	s_and_saveexec_b64 s[78:79], s[22:23]
	s_cbranch_execz .LBB239_25
; %bb.31:                               ;   in Loop: Header=BB239_26 Depth=3
	v_lshl_add_u64 v[36:37], v[34:35], 0, 16
	v_cmp_ge_i64_e32 vcc, v[36:37], v[28:29]
	v_lshl_add_u64 v[0:1], v[0:1], 0, 64
	v_lshl_add_u64 v[32:33], v[32:33], 0, s[56:57]
	s_andn2_b64 s[74:75], s[74:75], exec
	s_orn2_b64 s[76:77], vcc, exec
	s_branch .LBB239_25
.LBB239_32:                             ;   in Loop: Header=BB239_20 Depth=2
	s_or_b64 exec, exec, s[72:73]
	s_and_saveexec_b64 s[22:23], s[70:71]
	s_xor_b64 s[22:23], exec, s[22:23]
; %bb.33:                               ;   in Loop: Header=BB239_20 Depth=2
	v_min_i32_e32 v44, v45, v44
	v_mov_b64_e32 v[26:27], v[34:35]
; %bb.34:                               ;   in Loop: Header=BB239_20 Depth=2
	s_or_b64 exec, exec, s[22:23]
.LBB239_35:                             ;   in Loop: Header=BB239_20 Depth=2
	s_or_b64 exec, exec, s[68:69]
	v_mov_b32_dpp v0, v26 row_shr:1 row_mask:0xf bank_mask:0xf
	v_mov_b32_dpp v1, v27 row_shr:1 row_mask:0xf bank_mask:0xf
	v_cmp_lt_i64_e32 vcc, v[0:1], v[26:27]
	s_nop 1
	v_cndmask_b32_e32 v1, v27, v1, vcc
	v_cndmask_b32_e32 v0, v26, v0, vcc
	s_nop 0
	v_mov_b32_dpp v3, v1 row_shr:2 row_mask:0xf bank_mask:0xf
	v_mov_b32_dpp v2, v0 row_shr:2 row_mask:0xf bank_mask:0xf
	v_cmp_lt_i64_e32 vcc, v[2:3], v[0:1]
	s_nop 1
	v_cndmask_b32_e32 v1, v1, v3, vcc
	v_cndmask_b32_e32 v0, v0, v2, vcc
	s_nop 0
	;; [unrolled: 7-line block ×3, first 2 shown]
	v_mov_b32_dpp v26, v1 row_shr:8 row_mask:0xf bank_mask:0xc
	v_mov_b32_dpp v2, v0 row_shr:8 row_mask:0xf bank_mask:0xc
	s_and_saveexec_b64 s[22:23], s[2:3]
	s_cbranch_execz .LBB239_19
; %bb.36:                               ;   in Loop: Header=BB239_20 Depth=2
	v_mov_b32_e32 v3, v26
	v_cmp_lt_i64_e32 vcc, v[2:3], v[0:1]
	s_nop 1
	v_cndmask_b32_e32 v1, v1, v26, vcc
	v_cndmask_b32_e32 v0, v0, v2, vcc
	global_store_dwordx2 v[24:25], v[0:1], off
	s_branch .LBB239_19
.LBB239_37:                             ;   in Loop: Header=BB239_20 Depth=2
                                        ; implicit-def: $vgpr30_vgpr31
	s_branch .LBB239_22
.LBB239_38:                             ;   in Loop: Header=BB239_13 Depth=1
	s_or_b64 exec, exec, s[66:67]
.LBB239_39:                             ;   in Loop: Header=BB239_13 Depth=1
	s_or_b64 exec, exec, s[64:65]
	s_andn2_b64 vcc, exec, s[34:35]
	s_cbranch_vccnz .LBB239_53
; %bb.40:                               ;   in Loop: Header=BB239_13 Depth=1
	s_load_dwordx4 s[20:23], s[24:25], 0x0
	s_waitcnt lgkmcnt(0)
	s_sub_u32 s64, s22, s80
	s_subb_u32 s65, s23, 0
	v_lshl_add_u64 v[0:1], s[20:21], 0, v[16:17]
	v_cmp_gt_i64_e32 vcc, s[64:65], v[0:1]
	s_and_saveexec_b64 s[22:23], vcc
	s_cbranch_execz .LBB239_52
; %bb.41:                               ;   in Loop: Header=BB239_13 Depth=1
	v_lshl_add_u64 v[2:3], v[0:1], 2, s[26:27]
	v_lshl_add_u64 v[22:23], v[0:1], 4, s[28:29]
	s_mov_b64 s[66:67], 0
                                        ; implicit-def: $sgpr68_sgpr69
                                        ; implicit-def: $sgpr70_sgpr71
	s_branch .LBB239_43
.LBB239_42:                             ;   in Loop: Header=BB239_43 Depth=2
	s_or_b64 exec, exec, s[74:75]
	s_and_b64 s[20:21], exec, s[72:73]
	s_or_b64 s[66:67], s[20:21], s[66:67]
	s_andn2_b64 s[20:21], s[68:69], exec
	s_and_b64 s[68:69], s[70:71], exec
	s_or_b64 s[68:69], s[20:21], s[68:69]
	s_andn2_b64 exec, exec, s[66:67]
	s_cbranch_execz .LBB239_49
.LBB239_43:                             ;   Parent Loop BB239_13 Depth=1
                                        ; =>  This Inner Loop Header: Depth=2
	global_load_dword v24, v[2:3], off
	s_waitcnt vmcnt(0)
	v_subrev_u32_e32 v24, s47, v24
	v_cmp_lt_i32_e32 vcc, v24, v43
	v_cmp_ge_i32_e64 s[20:21], v24, v42
	s_or_b64 s[72:73], vcc, s[20:21]
	s_mov_b64 s[20:21], 0
	s_and_saveexec_b64 s[74:75], s[72:73]
	s_xor_b64 s[72:73], exec, s[74:75]
; %bb.44:                               ;   in Loop: Header=BB239_43 Depth=2
	v_cmp_lt_i32_e32 vcc, v24, v42
	s_and_b64 s[20:21], vcc, exec
; %bb.45:                               ;   in Loop: Header=BB239_43 Depth=2
	s_andn2_saveexec_b64 s[72:73], s[72:73]
	s_cbranch_execz .LBB239_47
; %bb.46:                               ;   in Loop: Header=BB239_43 Depth=2
	global_load_dwordx4 v[26:29], v[22:23], off offset:-8
	v_sub_u32_e32 v25, v24, v43
	ds_write_b8 v25, v41 offset:32768
	v_lshlrev_b32_e32 v25, 4, v25
	s_or_b64 s[20:21], s[20:21], exec
	s_waitcnt vmcnt(0)
	v_mul_f64 v[30:31], v[28:29], -v[6:7]
	v_mul_f64 v[28:29], v[10:11], v[28:29]
	v_fmac_f64_e32 v[30:31], v[10:11], v[26:27]
	v_fmac_f64_e32 v[28:29], v[6:7], v[26:27]
	ds_add_f64 v25, v[30:31]
	ds_add_f64 v25, v[28:29] offset:8
.LBB239_47:                             ;   in Loop: Header=BB239_43 Depth=2
	s_or_b64 exec, exec, s[72:73]
	s_mov_b64 s[72:73], -1
	s_or_b64 s[70:71], s[70:71], exec
	s_and_saveexec_b64 s[74:75], s[20:21]
	s_cbranch_execz .LBB239_42
; %bb.48:                               ;   in Loop: Header=BB239_43 Depth=2
	v_lshl_add_u64 v[0:1], v[0:1], 0, s[58:59]
	v_cmp_le_i64_e32 vcc, s[64:65], v[0:1]
	v_lshl_add_u64 v[2:3], v[2:3], 0, s[60:61]
	v_lshl_add_u64 v[22:23], v[22:23], 0, s[62:63]
	s_andn2_b64 s[70:71], s[70:71], exec
	s_orn2_b64 s[72:73], vcc, exec
	s_branch .LBB239_42
.LBB239_49:                             ;   in Loop: Header=BB239_13 Depth=1
	s_or_b64 exec, exec, s[66:67]
	s_and_saveexec_b64 s[20:21], s[68:69]
	s_xor_b64 s[20:21], exec, s[20:21]
; %bb.50:                               ;   in Loop: Header=BB239_13 Depth=1
	v_min_i32_e32 v44, v24, v44
; %bb.51:                               ;   in Loop: Header=BB239_13 Depth=1
	s_or_b64 exec, exec, s[20:21]
.LBB239_52:                             ;   in Loop: Header=BB239_13 Depth=1
	s_or_b64 exec, exec, s[22:23]
.LBB239_53:                             ;   in Loop: Header=BB239_13 Depth=1
	v_mov_b32_dpp v0, v44 row_shr:1 row_mask:0xf bank_mask:0xf
	v_min_i32_e32 v0, v0, v44
	s_nop 1
	v_mov_b32_dpp v1, v0 row_shr:2 row_mask:0xf bank_mask:0xf
	v_min_i32_e32 v0, v1, v0
	s_nop 1
	;; [unrolled: 3-line block ×3, first 2 shown]
	v_mov_b32_dpp v1, v0 row_shr:8 row_mask:0xf bank_mask:0xc
	s_and_saveexec_b64 s[20:21], s[2:3]
	s_cbranch_execz .LBB239_58
; %bb.54:                               ;   in Loop: Header=BB239_13 Depth=1
	s_mov_b64 s[22:23], exec
	v_min_i32_e32 v0, v1, v0
	s_brev_b32 s64, -2
.LBB239_55:                             ;   Parent Loop BB239_13 Depth=1
                                        ; =>  This Inner Loop Header: Depth=2
	s_ff1_i32_b64 s65, s[22:23]
	v_readlane_b32 s68, v0, s65
	s_lshl_b64 s[66:67], 1, s65
	s_min_i32 s64, s64, s68
	s_andn2_b64 s[22:23], s[22:23], s[66:67]
	s_cmp_lg_u64 s[22:23], 0
	s_cbranch_scc1 .LBB239_55
; %bb.56:                               ;   in Loop: Header=BB239_13 Depth=1
	v_mbcnt_lo_u32_b32 v0, exec_lo, 0
	v_mbcnt_hi_u32_b32 v0, exec_hi, v0
	v_cmp_eq_u32_e32 vcc, 0, v0
	s_and_saveexec_b64 s[22:23], vcc
	s_xor_b64 s[22:23], exec, s[22:23]
; %bb.57:                               ;   in Loop: Header=BB239_13 Depth=1
	v_mov_b32_e32 v0, s64
	ds_min_i32 v13, v0 offset:34816
.LBB239_58:                             ;   in Loop: Header=BB239_13 Depth=1
	s_or_b64 exec, exec, s[20:21]
	s_mov_b64 s[20:21], 0
	v_mov_b32_e32 v2, v40
	v_mov_b32_e32 v3, v39
	s_waitcnt lgkmcnt(0)
	s_barrier
	s_branch .LBB239_60
.LBB239_59:                             ;   in Loop: Header=BB239_60 Depth=2
	s_or_b64 exec, exec, s[22:23]
	s_waitcnt lgkmcnt(0)
	s_barrier
	ds_read_b32 v0, v13 offset:28
	v_add_u32_e32 v3, 0x200, v3
	v_cmp_lt_u32_e32 vcc, s81, v3
	s_or_b64 s[20:21], vcc, s[20:21]
	v_add_u32_e32 v2, 0x2000, v2
	s_waitcnt lgkmcnt(0)
	v_ashrrev_i32_e32 v1, 31, v0
	v_lshl_add_u64 v[20:21], v[20:21], 0, v[0:1]
	s_andn2_b64 exec, exec, s[20:21]
	s_cbranch_execz .LBB239_12
.LBB239_60:                             ;   Parent Loop BB239_13 Depth=1
                                        ; =>  This Inner Loop Header: Depth=2
	ds_read2_b64 v[22:25], v2 offset1:1
	ds_read_u8 v1, v3 offset:33280
	s_waitcnt lgkmcnt(0)
	scratch_store_dwordx4 off, v[22:25], off
	v_cmp_ne_u16_e32 vcc, 0, v1
	s_bcnt1_i32_b64 s22, vcc
	v_mov_b32_e32 v22, s22
	s_barrier
	ds_write_b32 v38, v22
	s_waitcnt lgkmcnt(0)
	s_barrier
	ds_read_b128 v[22:25], v13
	v_and_b32_e32 v26, vcc_lo, v18
	v_and_b32_e32 v0, vcc_hi, v19
	v_bcnt_u32_b32 v26, v26, 0
	v_bcnt_u32_b32 v0, v0, v26
	ds_read_b96 v[26:28], v13 offset:16
	s_waitcnt lgkmcnt(0)
	v_cndmask_b32_e64 v22, v22, 0, s[6:7]
	v_add_u32_e32 v0, v22, v0
	v_cndmask_b32_e64 v22, v23, 0, s[8:9]
	v_cndmask_b32_e64 v23, v24, 0, s[10:11]
	v_add3_u32 v0, v0, v22, v23
	v_cndmask_b32_e64 v22, v25, 0, s[12:13]
	v_cndmask_b32_e64 v23, v26, 0, s[14:15]
	v_add3_u32 v0, v0, v22, v23
	v_cndmask_b32_e64 v22, v27, 0, s[16:17]
	v_cndmask_b32_e64 v23, v28, 0, s[18:19]
	v_and_b32_e32 v1, 1, v1
	v_add3_u32 v0, v0, v22, v23
	v_cmp_eq_u32_e32 vcc, 1, v1
	s_and_saveexec_b64 s[22:23], vcc
	s_cbranch_execz .LBB239_62
; %bb.61:                               ;   in Loop: Header=BB239_60 Depth=2
	scratch_load_dwordx4 v[22:25], off, off
	v_lshl_add_u64 v[26:27], v[20:21], 4, s[48:49]
	v_ashrrev_i32_e32 v1, 31, v0
	v_lshl_add_u64 v[26:27], v[0:1], 4, v[26:27]
	s_waitcnt vmcnt(0)
	global_store_dwordx4 v[26:27], v[22:25], off offset:-16
.LBB239_62:                             ;   in Loop: Header=BB239_60 Depth=2
	s_or_b64 exec, exec, s[22:23]
	s_and_saveexec_b64 s[22:23], s[4:5]
	s_cbranch_execz .LBB239_59
; %bb.63:                               ;   in Loop: Header=BB239_60 Depth=2
	ds_write_b32 v13, v0 offset:28
	s_branch .LBB239_59
.LBB239_64:
	s_endpgm
	.section	.rodata,"a",@progbits
	.p2align	6, 0x0
	.amdhsa_kernel _ZN9rocsparseL51csrgemm_numeric_fill_block_per_row_multipass_kernelILj512ELj16ELj2048ELj64Eli21rocsparse_complex_numIdEEEvT4_PKS3_S5_NS_24const_host_device_scalarIT5_EEPKT3_S5_PKS7_SB_S5_SD_S8_SB_S5_SD_SB_S5_PS7_PS9_21rocsparse_index_base_SG_SG_SG_bbb
		.amdhsa_group_segment_fixed_size 34824
		.amdhsa_private_segment_fixed_size 40
		.amdhsa_kernarg_size 180
		.amdhsa_user_sgpr_count 2
		.amdhsa_user_sgpr_dispatch_ptr 0
		.amdhsa_user_sgpr_queue_ptr 0
		.amdhsa_user_sgpr_kernarg_segment_ptr 1
		.amdhsa_user_sgpr_dispatch_id 0
		.amdhsa_user_sgpr_kernarg_preload_length 0
		.amdhsa_user_sgpr_kernarg_preload_offset 0
		.amdhsa_user_sgpr_private_segment_size 0
		.amdhsa_uses_dynamic_stack 0
		.amdhsa_enable_private_segment 1
		.amdhsa_system_sgpr_workgroup_id_x 1
		.amdhsa_system_sgpr_workgroup_id_y 0
		.amdhsa_system_sgpr_workgroup_id_z 0
		.amdhsa_system_sgpr_workgroup_info 0
		.amdhsa_system_vgpr_workitem_id 0
		.amdhsa_next_free_vgpr 56
		.amdhsa_next_free_sgpr 82
		.amdhsa_accum_offset 56
		.amdhsa_reserve_vcc 1
		.amdhsa_float_round_mode_32 0
		.amdhsa_float_round_mode_16_64 0
		.amdhsa_float_denorm_mode_32 3
		.amdhsa_float_denorm_mode_16_64 3
		.amdhsa_dx10_clamp 1
		.amdhsa_ieee_mode 1
		.amdhsa_fp16_overflow 0
		.amdhsa_tg_split 0
		.amdhsa_exception_fp_ieee_invalid_op 0
		.amdhsa_exception_fp_denorm_src 0
		.amdhsa_exception_fp_ieee_div_zero 0
		.amdhsa_exception_fp_ieee_overflow 0
		.amdhsa_exception_fp_ieee_underflow 0
		.amdhsa_exception_fp_ieee_inexact 0
		.amdhsa_exception_int_div_zero 0
	.end_amdhsa_kernel
	.section	.text._ZN9rocsparseL51csrgemm_numeric_fill_block_per_row_multipass_kernelILj512ELj16ELj2048ELj64Eli21rocsparse_complex_numIdEEEvT4_PKS3_S5_NS_24const_host_device_scalarIT5_EEPKT3_S5_PKS7_SB_S5_SD_S8_SB_S5_SD_SB_S5_PS7_PS9_21rocsparse_index_base_SG_SG_SG_bbb,"axG",@progbits,_ZN9rocsparseL51csrgemm_numeric_fill_block_per_row_multipass_kernelILj512ELj16ELj2048ELj64Eli21rocsparse_complex_numIdEEEvT4_PKS3_S5_NS_24const_host_device_scalarIT5_EEPKT3_S5_PKS7_SB_S5_SD_S8_SB_S5_SD_SB_S5_PS7_PS9_21rocsparse_index_base_SG_SG_SG_bbb,comdat
.Lfunc_end239:
	.size	_ZN9rocsparseL51csrgemm_numeric_fill_block_per_row_multipass_kernelILj512ELj16ELj2048ELj64Eli21rocsparse_complex_numIdEEEvT4_PKS3_S5_NS_24const_host_device_scalarIT5_EEPKT3_S5_PKS7_SB_S5_SD_S8_SB_S5_SD_SB_S5_PS7_PS9_21rocsparse_index_base_SG_SG_SG_bbb, .Lfunc_end239-_ZN9rocsparseL51csrgemm_numeric_fill_block_per_row_multipass_kernelILj512ELj16ELj2048ELj64Eli21rocsparse_complex_numIdEEEvT4_PKS3_S5_NS_24const_host_device_scalarIT5_EEPKT3_S5_PKS7_SB_S5_SD_S8_SB_S5_SD_SB_S5_PS7_PS9_21rocsparse_index_base_SG_SG_SG_bbb
                                        ; -- End function
	.set _ZN9rocsparseL51csrgemm_numeric_fill_block_per_row_multipass_kernelILj512ELj16ELj2048ELj64Eli21rocsparse_complex_numIdEEEvT4_PKS3_S5_NS_24const_host_device_scalarIT5_EEPKT3_S5_PKS7_SB_S5_SD_S8_SB_S5_SD_SB_S5_PS7_PS9_21rocsparse_index_base_SG_SG_SG_bbb.num_vgpr, 56
	.set _ZN9rocsparseL51csrgemm_numeric_fill_block_per_row_multipass_kernelILj512ELj16ELj2048ELj64Eli21rocsparse_complex_numIdEEEvT4_PKS3_S5_NS_24const_host_device_scalarIT5_EEPKT3_S5_PKS7_SB_S5_SD_S8_SB_S5_SD_SB_S5_PS7_PS9_21rocsparse_index_base_SG_SG_SG_bbb.num_agpr, 0
	.set _ZN9rocsparseL51csrgemm_numeric_fill_block_per_row_multipass_kernelILj512ELj16ELj2048ELj64Eli21rocsparse_complex_numIdEEEvT4_PKS3_S5_NS_24const_host_device_scalarIT5_EEPKT3_S5_PKS7_SB_S5_SD_S8_SB_S5_SD_SB_S5_PS7_PS9_21rocsparse_index_base_SG_SG_SG_bbb.numbered_sgpr, 82
	.set _ZN9rocsparseL51csrgemm_numeric_fill_block_per_row_multipass_kernelILj512ELj16ELj2048ELj64Eli21rocsparse_complex_numIdEEEvT4_PKS3_S5_NS_24const_host_device_scalarIT5_EEPKT3_S5_PKS7_SB_S5_SD_S8_SB_S5_SD_SB_S5_PS7_PS9_21rocsparse_index_base_SG_SG_SG_bbb.num_named_barrier, 0
	.set _ZN9rocsparseL51csrgemm_numeric_fill_block_per_row_multipass_kernelILj512ELj16ELj2048ELj64Eli21rocsparse_complex_numIdEEEvT4_PKS3_S5_NS_24const_host_device_scalarIT5_EEPKT3_S5_PKS7_SB_S5_SD_S8_SB_S5_SD_SB_S5_PS7_PS9_21rocsparse_index_base_SG_SG_SG_bbb.private_seg_size, 40
	.set _ZN9rocsparseL51csrgemm_numeric_fill_block_per_row_multipass_kernelILj512ELj16ELj2048ELj64Eli21rocsparse_complex_numIdEEEvT4_PKS3_S5_NS_24const_host_device_scalarIT5_EEPKT3_S5_PKS7_SB_S5_SD_S8_SB_S5_SD_SB_S5_PS7_PS9_21rocsparse_index_base_SG_SG_SG_bbb.uses_vcc, 1
	.set _ZN9rocsparseL51csrgemm_numeric_fill_block_per_row_multipass_kernelILj512ELj16ELj2048ELj64Eli21rocsparse_complex_numIdEEEvT4_PKS3_S5_NS_24const_host_device_scalarIT5_EEPKT3_S5_PKS7_SB_S5_SD_S8_SB_S5_SD_SB_S5_PS7_PS9_21rocsparse_index_base_SG_SG_SG_bbb.uses_flat_scratch, 0
	.set _ZN9rocsparseL51csrgemm_numeric_fill_block_per_row_multipass_kernelILj512ELj16ELj2048ELj64Eli21rocsparse_complex_numIdEEEvT4_PKS3_S5_NS_24const_host_device_scalarIT5_EEPKT3_S5_PKS7_SB_S5_SD_S8_SB_S5_SD_SB_S5_PS7_PS9_21rocsparse_index_base_SG_SG_SG_bbb.has_dyn_sized_stack, 0
	.set _ZN9rocsparseL51csrgemm_numeric_fill_block_per_row_multipass_kernelILj512ELj16ELj2048ELj64Eli21rocsparse_complex_numIdEEEvT4_PKS3_S5_NS_24const_host_device_scalarIT5_EEPKT3_S5_PKS7_SB_S5_SD_S8_SB_S5_SD_SB_S5_PS7_PS9_21rocsparse_index_base_SG_SG_SG_bbb.has_recursion, 0
	.set _ZN9rocsparseL51csrgemm_numeric_fill_block_per_row_multipass_kernelILj512ELj16ELj2048ELj64Eli21rocsparse_complex_numIdEEEvT4_PKS3_S5_NS_24const_host_device_scalarIT5_EEPKT3_S5_PKS7_SB_S5_SD_S8_SB_S5_SD_SB_S5_PS7_PS9_21rocsparse_index_base_SG_SG_SG_bbb.has_indirect_call, 0
	.section	.AMDGPU.csdata,"",@progbits
; Kernel info:
; codeLenInByte = 2508
; TotalNumSgprs: 88
; NumVgprs: 56
; NumAgprs: 0
; TotalNumVgprs: 56
; ScratchSize: 40
; MemoryBound: 0
; FloatMode: 240
; IeeeMode: 1
; LDSByteSize: 34824 bytes/workgroup (compile time only)
; SGPRBlocks: 10
; VGPRBlocks: 6
; NumSGPRsForWavesPerEU: 88
; NumVGPRsForWavesPerEU: 56
; AccumOffset: 56
; Occupancy: 8
; WaveLimiterHint : 1
; COMPUTE_PGM_RSRC2:SCRATCH_EN: 1
; COMPUTE_PGM_RSRC2:USER_SGPR: 2
; COMPUTE_PGM_RSRC2:TRAP_HANDLER: 0
; COMPUTE_PGM_RSRC2:TGID_X_EN: 1
; COMPUTE_PGM_RSRC2:TGID_Y_EN: 0
; COMPUTE_PGM_RSRC2:TGID_Z_EN: 0
; COMPUTE_PGM_RSRC2:TIDIG_COMP_CNT: 0
; COMPUTE_PGM_RSRC3_GFX90A:ACCUM_OFFSET: 13
; COMPUTE_PGM_RSRC3_GFX90A:TG_SPLIT: 0
	.section	.AMDGPU.gpr_maximums,"",@progbits
	.set amdgpu.max_num_vgpr, 0
	.set amdgpu.max_num_agpr, 0
	.set amdgpu.max_num_sgpr, 0
	.section	.AMDGPU.csdata,"",@progbits
	.type	__hip_cuid_fc8c42a5ab4a65f,@object ; @__hip_cuid_fc8c42a5ab4a65f
	.section	.bss,"aw",@nobits
	.globl	__hip_cuid_fc8c42a5ab4a65f
__hip_cuid_fc8c42a5ab4a65f:
	.byte	0                               ; 0x0
	.size	__hip_cuid_fc8c42a5ab4a65f, 1

	.ident	"AMD clang version 22.0.0git (https://github.com/RadeonOpenCompute/llvm-project roc-7.2.4 26084 f58b06dce1f9c15707c5f808fd002e18c2accf7e)"
	.section	".note.GNU-stack","",@progbits
	.addrsig
	.addrsig_sym _ZN9rocsparse13shared_memoryE
	.addrsig_sym __hip_cuid_fc8c42a5ab4a65f
	.amdgpu_metadata
---
amdhsa.kernels:
  - .agpr_count:     0
    .args:
      - .offset:         0
        .size:           4
        .value_kind:     by_value
      - .offset:         4
        .size:           4
        .value_kind:     by_value
      - .actual_access:  read_only
        .address_space:  global
        .offset:         8
        .size:           8
        .value_kind:     global_buffer
      - .actual_access:  read_only
        .address_space:  global
        .offset:         16
        .size:           8
        .value_kind:     global_buffer
      - .offset:         24
        .size:           8
        .value_kind:     by_value
      - .actual_access:  read_only
        .address_space:  global
        .offset:         32
        .size:           8
        .value_kind:     global_buffer
      - .actual_access:  read_only
        .address_space:  global
        .offset:         40
        .size:           8
        .value_kind:     global_buffer
      - .actual_access:  read_only
        .address_space:  global
        .offset:         48
        .size:           8
        .value_kind:     global_buffer
      - .actual_access:  read_only
        .address_space:  global
        .offset:         56
        .size:           8
        .value_kind:     global_buffer
      - .actual_access:  read_only
        .address_space:  global
        .offset:         64
        .size:           8
        .value_kind:     global_buffer
      - .actual_access:  read_only
        .address_space:  global
        .offset:         72
        .size:           8
        .value_kind:     global_buffer
      - .offset:         80
        .size:           8
        .value_kind:     by_value
      - .actual_access:  read_only
        .address_space:  global
        .offset:         88
        .size:           8
        .value_kind:     global_buffer
      - .actual_access:  read_only
        .address_space:  global
        .offset:         96
        .size:           8
        .value_kind:     global_buffer
      - .actual_access:  read_only
        .address_space:  global
        .offset:         104
        .size:           8
        .value_kind:     global_buffer
      - .actual_access:  read_only
        .address_space:  global
        .offset:         112
        .size:           8
        .value_kind:     global_buffer
      - .actual_access:  read_only
        .address_space:  global
        .offset:         120
        .size:           8
        .value_kind:     global_buffer
      - .actual_access:  write_only
        .address_space:  global
        .offset:         128
        .size:           8
        .value_kind:     global_buffer
      - .offset:         136
        .size:           4
        .value_kind:     by_value
      - .offset:         140
        .size:           4
        .value_kind:     by_value
      - .offset:         144
        .size:           4
        .value_kind:     by_value
      - .offset:         148
        .size:           4
        .value_kind:     by_value
      - .offset:         152
        .size:           1
        .value_kind:     by_value
      - .offset:         153
        .size:           1
        .value_kind:     by_value
      - .offset:         154
        .size:           1
        .value_kind:     by_value
    .group_segment_fixed_size: 4096
    .kernarg_segment_align: 8
    .kernarg_segment_size: 156
    .language:       OpenCL C
    .language_version:
      - 2
      - 0
    .max_flat_workgroup_size: 256
    .name:           _ZN9rocsparseL38csrgemm_numeric_fill_wf_per_row_kernelILj256ELj8ELj16ELj137EiifEEvT4_S1_PKS1_S3_NS_24const_host_device_scalarIT5_EEPKT3_S3_PKS5_S9_S3_SB_S6_S9_S3_SB_S9_S3_PS5_21rocsparse_index_base_SD_SD_SD_bbb
    .private_segment_fixed_size: 0
    .sgpr_count:     54
    .sgpr_spill_count: 0
    .symbol:         _ZN9rocsparseL38csrgemm_numeric_fill_wf_per_row_kernelILj256ELj8ELj16ELj137EiifEEvT4_S1_PKS1_S3_NS_24const_host_device_scalarIT5_EEPKT3_S3_PKS5_S9_S3_SB_S6_S9_S3_SB_S9_S3_PS5_21rocsparse_index_base_SD_SD_SD_bbb.kd
    .uniform_work_group_size: 1
    .uses_dynamic_stack: false
    .vgpr_count:     22
    .vgpr_spill_count: 0
    .wavefront_size: 64
  - .agpr_count:     0
    .args:
      - .offset:         0
        .size:           4
        .value_kind:     by_value
      - .offset:         4
        .size:           4
        .value_kind:     by_value
      - .actual_access:  read_only
        .address_space:  global
        .offset:         8
        .size:           8
        .value_kind:     global_buffer
      - .actual_access:  read_only
        .address_space:  global
        .offset:         16
        .size:           8
        .value_kind:     global_buffer
      - .offset:         24
        .size:           8
        .value_kind:     by_value
      - .actual_access:  read_only
        .address_space:  global
        .offset:         32
        .size:           8
        .value_kind:     global_buffer
      - .actual_access:  read_only
        .address_space:  global
        .offset:         40
        .size:           8
        .value_kind:     global_buffer
      - .actual_access:  read_only
        .address_space:  global
        .offset:         48
        .size:           8
        .value_kind:     global_buffer
      - .actual_access:  read_only
        .address_space:  global
        .offset:         56
        .size:           8
        .value_kind:     global_buffer
      - .actual_access:  read_only
        .address_space:  global
        .offset:         64
        .size:           8
        .value_kind:     global_buffer
      - .actual_access:  read_only
        .address_space:  global
        .offset:         72
        .size:           8
        .value_kind:     global_buffer
      - .offset:         80
        .size:           8
        .value_kind:     by_value
      - .actual_access:  read_only
        .address_space:  global
        .offset:         88
        .size:           8
        .value_kind:     global_buffer
      - .actual_access:  read_only
        .address_space:  global
        .offset:         96
        .size:           8
        .value_kind:     global_buffer
      - .actual_access:  read_only
        .address_space:  global
        .offset:         104
        .size:           8
        .value_kind:     global_buffer
      - .actual_access:  read_only
        .address_space:  global
        .offset:         112
        .size:           8
        .value_kind:     global_buffer
      - .actual_access:  read_only
        .address_space:  global
        .offset:         120
        .size:           8
        .value_kind:     global_buffer
      - .actual_access:  write_only
        .address_space:  global
        .offset:         128
        .size:           8
        .value_kind:     global_buffer
      - .offset:         136
        .size:           4
        .value_kind:     by_value
      - .offset:         140
        .size:           4
        .value_kind:     by_value
      - .offset:         144
        .size:           4
        .value_kind:     by_value
      - .offset:         148
        .size:           4
        .value_kind:     by_value
      - .offset:         152
        .size:           1
        .value_kind:     by_value
      - .offset:         153
        .size:           1
        .value_kind:     by_value
      - .offset:         154
        .size:           1
        .value_kind:     by_value
    .group_segment_fixed_size: 4096
    .kernarg_segment_align: 8
    .kernarg_segment_size: 156
    .language:       OpenCL C
    .language_version:
      - 2
      - 0
    .max_flat_workgroup_size: 256
    .name:           _ZN9rocsparseL38csrgemm_numeric_fill_wf_per_row_kernelILj256ELj16ELj32ELj137EiifEEvT4_S1_PKS1_S3_NS_24const_host_device_scalarIT5_EEPKT3_S3_PKS5_S9_S3_SB_S6_S9_S3_SB_S9_S3_PS5_21rocsparse_index_base_SD_SD_SD_bbb
    .private_segment_fixed_size: 0
    .sgpr_count:     54
    .sgpr_spill_count: 0
    .symbol:         _ZN9rocsparseL38csrgemm_numeric_fill_wf_per_row_kernelILj256ELj16ELj32ELj137EiifEEvT4_S1_PKS1_S3_NS_24const_host_device_scalarIT5_EEPKT3_S3_PKS5_S9_S3_SB_S6_S9_S3_SB_S9_S3_PS5_21rocsparse_index_base_SD_SD_SD_bbb.kd
    .uniform_work_group_size: 1
    .uses_dynamic_stack: false
    .vgpr_count:     22
    .vgpr_spill_count: 0
    .wavefront_size: 64
  - .agpr_count:     0
    .args:
      - .offset:         0
        .size:           4
        .value_kind:     by_value
      - .actual_access:  read_only
        .address_space:  global
        .offset:         8
        .size:           8
        .value_kind:     global_buffer
      - .actual_access:  read_only
        .address_space:  global
        .offset:         16
        .size:           8
        .value_kind:     global_buffer
      - .offset:         24
        .size:           8
        .value_kind:     by_value
      - .actual_access:  read_only
        .address_space:  global
        .offset:         32
        .size:           8
        .value_kind:     global_buffer
      - .actual_access:  read_only
        .address_space:  global
        .offset:         40
        .size:           8
        .value_kind:     global_buffer
      - .actual_access:  read_only
        .address_space:  global
        .offset:         48
        .size:           8
        .value_kind:     global_buffer
      - .actual_access:  read_only
        .address_space:  global
        .offset:         56
        .size:           8
        .value_kind:     global_buffer
      - .actual_access:  read_only
        .address_space:  global
        .offset:         64
        .size:           8
        .value_kind:     global_buffer
      - .actual_access:  read_only
        .address_space:  global
        .offset:         72
        .size:           8
        .value_kind:     global_buffer
      - .offset:         80
        .size:           8
        .value_kind:     by_value
      - .actual_access:  read_only
        .address_space:  global
        .offset:         88
        .size:           8
        .value_kind:     global_buffer
      - .actual_access:  read_only
        .address_space:  global
        .offset:         96
        .size:           8
        .value_kind:     global_buffer
      - .actual_access:  read_only
        .address_space:  global
        .offset:         104
        .size:           8
        .value_kind:     global_buffer
      - .actual_access:  read_only
        .address_space:  global
        .offset:         112
        .size:           8
        .value_kind:     global_buffer
      - .actual_access:  read_only
        .address_space:  global
        .offset:         120
        .size:           8
        .value_kind:     global_buffer
      - .actual_access:  write_only
        .address_space:  global
        .offset:         128
        .size:           8
        .value_kind:     global_buffer
      - .offset:         136
        .size:           4
        .value_kind:     by_value
      - .offset:         140
        .size:           4
        .value_kind:     by_value
      - .offset:         144
        .size:           4
        .value_kind:     by_value
      - .offset:         148
        .size:           4
        .value_kind:     by_value
      - .offset:         152
        .size:           1
        .value_kind:     by_value
      - .offset:         153
        .size:           1
        .value_kind:     by_value
      - .offset:         154
        .size:           1
        .value_kind:     by_value
    .group_segment_fixed_size: 0
    .kernarg_segment_align: 8
    .kernarg_segment_size: 156
    .language:       OpenCL C
    .language_version:
      - 2
      - 0
    .max_flat_workgroup_size: 128
    .name:           _ZN9rocsparseL41csrgemm_numeric_fill_block_per_row_kernelILj128ELj16ELj256ELj137ELj32EiifEEvT5_PKS1_S3_NS_24const_host_device_scalarIT6_EEPKT4_S3_PKS5_S9_S3_SB_S6_S9_S3_SB_S9_S3_PS5_21rocsparse_index_base_SD_SD_SD_bbb
    .private_segment_fixed_size: 0
    .sgpr_count:     57
    .sgpr_spill_count: 0
    .symbol:         _ZN9rocsparseL41csrgemm_numeric_fill_block_per_row_kernelILj128ELj16ELj256ELj137ELj32EiifEEvT5_PKS1_S3_NS_24const_host_device_scalarIT6_EEPKT4_S3_PKS5_S9_S3_SB_S6_S9_S3_SB_S9_S3_PS5_21rocsparse_index_base_SD_SD_SD_bbb.kd
    .uniform_work_group_size: 1
    .uses_dynamic_stack: false
    .vgpr_count:     22
    .vgpr_spill_count: 0
    .wavefront_size: 64
  - .agpr_count:     0
    .args:
      - .offset:         0
        .size:           4
        .value_kind:     by_value
      - .actual_access:  read_only
        .address_space:  global
        .offset:         8
        .size:           8
        .value_kind:     global_buffer
      - .actual_access:  read_only
        .address_space:  global
        .offset:         16
        .size:           8
        .value_kind:     global_buffer
      - .offset:         24
        .size:           8
        .value_kind:     by_value
      - .actual_access:  read_only
        .address_space:  global
        .offset:         32
        .size:           8
        .value_kind:     global_buffer
      - .actual_access:  read_only
        .address_space:  global
        .offset:         40
        .size:           8
        .value_kind:     global_buffer
      - .actual_access:  read_only
        .address_space:  global
        .offset:         48
        .size:           8
        .value_kind:     global_buffer
      - .actual_access:  read_only
        .address_space:  global
        .offset:         56
        .size:           8
        .value_kind:     global_buffer
      - .actual_access:  read_only
        .address_space:  global
        .offset:         64
        .size:           8
        .value_kind:     global_buffer
      - .actual_access:  read_only
        .address_space:  global
        .offset:         72
        .size:           8
        .value_kind:     global_buffer
      - .offset:         80
        .size:           8
        .value_kind:     by_value
      - .actual_access:  read_only
        .address_space:  global
        .offset:         88
        .size:           8
        .value_kind:     global_buffer
      - .actual_access:  read_only
        .address_space:  global
        .offset:         96
        .size:           8
        .value_kind:     global_buffer
      - .actual_access:  read_only
        .address_space:  global
        .offset:         104
        .size:           8
        .value_kind:     global_buffer
      - .actual_access:  read_only
        .address_space:  global
        .offset:         112
        .size:           8
        .value_kind:     global_buffer
      - .actual_access:  read_only
        .address_space:  global
        .offset:         120
        .size:           8
        .value_kind:     global_buffer
      - .actual_access:  write_only
        .address_space:  global
        .offset:         128
        .size:           8
        .value_kind:     global_buffer
      - .offset:         136
        .size:           4
        .value_kind:     by_value
      - .offset:         140
        .size:           4
        .value_kind:     by_value
      - .offset:         144
        .size:           4
        .value_kind:     by_value
      - .offset:         148
        .size:           4
        .value_kind:     by_value
      - .offset:         152
        .size:           1
        .value_kind:     by_value
      - .offset:         153
        .size:           1
        .value_kind:     by_value
      - .offset:         154
        .size:           1
        .value_kind:     by_value
    .group_segment_fixed_size: 0
    .kernarg_segment_align: 8
    .kernarg_segment_size: 156
    .language:       OpenCL C
    .language_version:
      - 2
      - 0
    .max_flat_workgroup_size: 128
    .name:           _ZN9rocsparseL41csrgemm_numeric_fill_block_per_row_kernelILj128ELj16ELj256ELj137ELj64EiifEEvT5_PKS1_S3_NS_24const_host_device_scalarIT6_EEPKT4_S3_PKS5_S9_S3_SB_S6_S9_S3_SB_S9_S3_PS5_21rocsparse_index_base_SD_SD_SD_bbb
    .private_segment_fixed_size: 0
    .sgpr_count:     57
    .sgpr_spill_count: 0
    .symbol:         _ZN9rocsparseL41csrgemm_numeric_fill_block_per_row_kernelILj128ELj16ELj256ELj137ELj64EiifEEvT5_PKS1_S3_NS_24const_host_device_scalarIT6_EEPKT4_S3_PKS5_S9_S3_SB_S6_S9_S3_SB_S9_S3_PS5_21rocsparse_index_base_SD_SD_SD_bbb.kd
    .uniform_work_group_size: 1
    .uses_dynamic_stack: false
    .vgpr_count:     22
    .vgpr_spill_count: 0
    .wavefront_size: 64
  - .agpr_count:     0
    .args:
      - .offset:         0
        .size:           4
        .value_kind:     by_value
      - .actual_access:  read_only
        .address_space:  global
        .offset:         8
        .size:           8
        .value_kind:     global_buffer
      - .actual_access:  read_only
        .address_space:  global
        .offset:         16
        .size:           8
        .value_kind:     global_buffer
      - .offset:         24
        .size:           8
        .value_kind:     by_value
      - .actual_access:  read_only
        .address_space:  global
        .offset:         32
        .size:           8
        .value_kind:     global_buffer
      - .actual_access:  read_only
        .address_space:  global
        .offset:         40
        .size:           8
        .value_kind:     global_buffer
      - .actual_access:  read_only
        .address_space:  global
        .offset:         48
        .size:           8
        .value_kind:     global_buffer
      - .actual_access:  read_only
        .address_space:  global
        .offset:         56
        .size:           8
        .value_kind:     global_buffer
      - .actual_access:  read_only
        .address_space:  global
        .offset:         64
        .size:           8
        .value_kind:     global_buffer
      - .actual_access:  read_only
        .address_space:  global
        .offset:         72
        .size:           8
        .value_kind:     global_buffer
      - .offset:         80
        .size:           8
        .value_kind:     by_value
      - .actual_access:  read_only
        .address_space:  global
        .offset:         88
        .size:           8
        .value_kind:     global_buffer
      - .actual_access:  read_only
        .address_space:  global
        .offset:         96
        .size:           8
        .value_kind:     global_buffer
      - .actual_access:  read_only
        .address_space:  global
        .offset:         104
        .size:           8
        .value_kind:     global_buffer
      - .actual_access:  read_only
        .address_space:  global
        .offset:         112
        .size:           8
        .value_kind:     global_buffer
      - .actual_access:  read_only
        .address_space:  global
        .offset:         120
        .size:           8
        .value_kind:     global_buffer
      - .actual_access:  write_only
        .address_space:  global
        .offset:         128
        .size:           8
        .value_kind:     global_buffer
      - .offset:         136
        .size:           4
        .value_kind:     by_value
      - .offset:         140
        .size:           4
        .value_kind:     by_value
      - .offset:         144
        .size:           4
        .value_kind:     by_value
      - .offset:         148
        .size:           4
        .value_kind:     by_value
      - .offset:         152
        .size:           1
        .value_kind:     by_value
      - .offset:         153
        .size:           1
        .value_kind:     by_value
      - .offset:         154
        .size:           1
        .value_kind:     by_value
    .group_segment_fixed_size: 0
    .kernarg_segment_align: 8
    .kernarg_segment_size: 156
    .language:       OpenCL C
    .language_version:
      - 2
      - 0
    .max_flat_workgroup_size: 256
    .name:           _ZN9rocsparseL41csrgemm_numeric_fill_block_per_row_kernelILj256ELj32ELj512ELj137ELj32EiifEEvT5_PKS1_S3_NS_24const_host_device_scalarIT6_EEPKT4_S3_PKS5_S9_S3_SB_S6_S9_S3_SB_S9_S3_PS5_21rocsparse_index_base_SD_SD_SD_bbb
    .private_segment_fixed_size: 0
    .sgpr_count:     57
    .sgpr_spill_count: 0
    .symbol:         _ZN9rocsparseL41csrgemm_numeric_fill_block_per_row_kernelILj256ELj32ELj512ELj137ELj32EiifEEvT5_PKS1_S3_NS_24const_host_device_scalarIT6_EEPKT4_S3_PKS5_S9_S3_SB_S6_S9_S3_SB_S9_S3_PS5_21rocsparse_index_base_SD_SD_SD_bbb.kd
    .uniform_work_group_size: 1
    .uses_dynamic_stack: false
    .vgpr_count:     22
    .vgpr_spill_count: 0
    .wavefront_size: 64
  - .agpr_count:     0
    .args:
      - .offset:         0
        .size:           4
        .value_kind:     by_value
      - .actual_access:  read_only
        .address_space:  global
        .offset:         8
        .size:           8
        .value_kind:     global_buffer
      - .actual_access:  read_only
        .address_space:  global
        .offset:         16
        .size:           8
        .value_kind:     global_buffer
      - .offset:         24
        .size:           8
        .value_kind:     by_value
      - .actual_access:  read_only
        .address_space:  global
        .offset:         32
        .size:           8
        .value_kind:     global_buffer
      - .actual_access:  read_only
        .address_space:  global
        .offset:         40
        .size:           8
        .value_kind:     global_buffer
      - .actual_access:  read_only
        .address_space:  global
        .offset:         48
        .size:           8
        .value_kind:     global_buffer
      - .actual_access:  read_only
        .address_space:  global
        .offset:         56
        .size:           8
        .value_kind:     global_buffer
      - .actual_access:  read_only
        .address_space:  global
        .offset:         64
        .size:           8
        .value_kind:     global_buffer
      - .actual_access:  read_only
        .address_space:  global
        .offset:         72
        .size:           8
        .value_kind:     global_buffer
      - .offset:         80
        .size:           8
        .value_kind:     by_value
      - .actual_access:  read_only
        .address_space:  global
        .offset:         88
        .size:           8
        .value_kind:     global_buffer
      - .actual_access:  read_only
        .address_space:  global
        .offset:         96
        .size:           8
        .value_kind:     global_buffer
      - .actual_access:  read_only
        .address_space:  global
        .offset:         104
        .size:           8
        .value_kind:     global_buffer
      - .actual_access:  read_only
        .address_space:  global
        .offset:         112
        .size:           8
        .value_kind:     global_buffer
      - .actual_access:  read_only
        .address_space:  global
        .offset:         120
        .size:           8
        .value_kind:     global_buffer
      - .actual_access:  write_only
        .address_space:  global
        .offset:         128
        .size:           8
        .value_kind:     global_buffer
      - .offset:         136
        .size:           4
        .value_kind:     by_value
      - .offset:         140
        .size:           4
        .value_kind:     by_value
      - .offset:         144
        .size:           4
        .value_kind:     by_value
      - .offset:         148
        .size:           4
        .value_kind:     by_value
      - .offset:         152
        .size:           1
        .value_kind:     by_value
      - .offset:         153
        .size:           1
        .value_kind:     by_value
      - .offset:         154
        .size:           1
        .value_kind:     by_value
    .group_segment_fixed_size: 0
    .kernarg_segment_align: 8
    .kernarg_segment_size: 156
    .language:       OpenCL C
    .language_version:
      - 2
      - 0
    .max_flat_workgroup_size: 256
    .name:           _ZN9rocsparseL41csrgemm_numeric_fill_block_per_row_kernelILj256ELj32ELj512ELj137ELj64EiifEEvT5_PKS1_S3_NS_24const_host_device_scalarIT6_EEPKT4_S3_PKS5_S9_S3_SB_S6_S9_S3_SB_S9_S3_PS5_21rocsparse_index_base_SD_SD_SD_bbb
    .private_segment_fixed_size: 0
    .sgpr_count:     57
    .sgpr_spill_count: 0
    .symbol:         _ZN9rocsparseL41csrgemm_numeric_fill_block_per_row_kernelILj256ELj32ELj512ELj137ELj64EiifEEvT5_PKS1_S3_NS_24const_host_device_scalarIT6_EEPKT4_S3_PKS5_S9_S3_SB_S6_S9_S3_SB_S9_S3_PS5_21rocsparse_index_base_SD_SD_SD_bbb.kd
    .uniform_work_group_size: 1
    .uses_dynamic_stack: false
    .vgpr_count:     22
    .vgpr_spill_count: 0
    .wavefront_size: 64
  - .agpr_count:     0
    .args:
      - .offset:         0
        .size:           4
        .value_kind:     by_value
      - .actual_access:  read_only
        .address_space:  global
        .offset:         8
        .size:           8
        .value_kind:     global_buffer
      - .actual_access:  read_only
        .address_space:  global
        .offset:         16
        .size:           8
        .value_kind:     global_buffer
      - .offset:         24
        .size:           8
        .value_kind:     by_value
      - .actual_access:  read_only
        .address_space:  global
        .offset:         32
        .size:           8
        .value_kind:     global_buffer
      - .actual_access:  read_only
        .address_space:  global
        .offset:         40
        .size:           8
        .value_kind:     global_buffer
      - .actual_access:  read_only
        .address_space:  global
        .offset:         48
        .size:           8
        .value_kind:     global_buffer
      - .actual_access:  read_only
        .address_space:  global
        .offset:         56
        .size:           8
        .value_kind:     global_buffer
      - .actual_access:  read_only
        .address_space:  global
        .offset:         64
        .size:           8
        .value_kind:     global_buffer
      - .actual_access:  read_only
        .address_space:  global
        .offset:         72
        .size:           8
        .value_kind:     global_buffer
      - .offset:         80
        .size:           8
        .value_kind:     by_value
      - .actual_access:  read_only
        .address_space:  global
        .offset:         88
        .size:           8
        .value_kind:     global_buffer
      - .actual_access:  read_only
        .address_space:  global
        .offset:         96
        .size:           8
        .value_kind:     global_buffer
      - .actual_access:  read_only
        .address_space:  global
        .offset:         104
        .size:           8
        .value_kind:     global_buffer
      - .actual_access:  read_only
        .address_space:  global
        .offset:         112
        .size:           8
        .value_kind:     global_buffer
      - .actual_access:  read_only
        .address_space:  global
        .offset:         120
        .size:           8
        .value_kind:     global_buffer
      - .actual_access:  write_only
        .address_space:  global
        .offset:         128
        .size:           8
        .value_kind:     global_buffer
      - .offset:         136
        .size:           4
        .value_kind:     by_value
      - .offset:         140
        .size:           4
        .value_kind:     by_value
      - .offset:         144
        .size:           4
        .value_kind:     by_value
      - .offset:         148
        .size:           4
        .value_kind:     by_value
      - .offset:         152
        .size:           1
        .value_kind:     by_value
      - .offset:         153
        .size:           1
        .value_kind:     by_value
      - .offset:         154
        .size:           1
        .value_kind:     by_value
    .group_segment_fixed_size: 0
    .kernarg_segment_align: 8
    .kernarg_segment_size: 156
    .language:       OpenCL C
    .language_version:
      - 2
      - 0
    .max_flat_workgroup_size: 512
    .name:           _ZN9rocsparseL41csrgemm_numeric_fill_block_per_row_kernelILj512ELj32ELj1024ELj137ELj32EiifEEvT5_PKS1_S3_NS_24const_host_device_scalarIT6_EEPKT4_S3_PKS5_S9_S3_SB_S6_S9_S3_SB_S9_S3_PS5_21rocsparse_index_base_SD_SD_SD_bbb
    .private_segment_fixed_size: 0
    .sgpr_count:     55
    .sgpr_spill_count: 0
    .symbol:         _ZN9rocsparseL41csrgemm_numeric_fill_block_per_row_kernelILj512ELj32ELj1024ELj137ELj32EiifEEvT5_PKS1_S3_NS_24const_host_device_scalarIT6_EEPKT4_S3_PKS5_S9_S3_SB_S6_S9_S3_SB_S9_S3_PS5_21rocsparse_index_base_SD_SD_SD_bbb.kd
    .uniform_work_group_size: 1
    .uses_dynamic_stack: false
    .vgpr_count:     22
    .vgpr_spill_count: 0
    .wavefront_size: 64
  - .agpr_count:     0
    .args:
      - .offset:         0
        .size:           4
        .value_kind:     by_value
      - .actual_access:  read_only
        .address_space:  global
        .offset:         8
        .size:           8
        .value_kind:     global_buffer
      - .actual_access:  read_only
        .address_space:  global
        .offset:         16
        .size:           8
        .value_kind:     global_buffer
      - .offset:         24
        .size:           8
        .value_kind:     by_value
      - .actual_access:  read_only
        .address_space:  global
        .offset:         32
        .size:           8
        .value_kind:     global_buffer
      - .actual_access:  read_only
        .address_space:  global
        .offset:         40
        .size:           8
        .value_kind:     global_buffer
      - .actual_access:  read_only
        .address_space:  global
        .offset:         48
        .size:           8
        .value_kind:     global_buffer
      - .actual_access:  read_only
        .address_space:  global
        .offset:         56
        .size:           8
        .value_kind:     global_buffer
      - .actual_access:  read_only
        .address_space:  global
        .offset:         64
        .size:           8
        .value_kind:     global_buffer
      - .actual_access:  read_only
        .address_space:  global
        .offset:         72
        .size:           8
        .value_kind:     global_buffer
      - .offset:         80
        .size:           8
        .value_kind:     by_value
      - .actual_access:  read_only
        .address_space:  global
        .offset:         88
        .size:           8
        .value_kind:     global_buffer
      - .actual_access:  read_only
        .address_space:  global
        .offset:         96
        .size:           8
        .value_kind:     global_buffer
      - .actual_access:  read_only
        .address_space:  global
        .offset:         104
        .size:           8
        .value_kind:     global_buffer
      - .actual_access:  read_only
        .address_space:  global
        .offset:         112
        .size:           8
        .value_kind:     global_buffer
      - .actual_access:  read_only
        .address_space:  global
        .offset:         120
        .size:           8
        .value_kind:     global_buffer
      - .actual_access:  write_only
        .address_space:  global
        .offset:         128
        .size:           8
        .value_kind:     global_buffer
      - .offset:         136
        .size:           4
        .value_kind:     by_value
      - .offset:         140
        .size:           4
        .value_kind:     by_value
      - .offset:         144
        .size:           4
        .value_kind:     by_value
      - .offset:         148
        .size:           4
        .value_kind:     by_value
      - .offset:         152
        .size:           1
        .value_kind:     by_value
      - .offset:         153
        .size:           1
        .value_kind:     by_value
      - .offset:         154
        .size:           1
        .value_kind:     by_value
    .group_segment_fixed_size: 0
    .kernarg_segment_align: 8
    .kernarg_segment_size: 156
    .language:       OpenCL C
    .language_version:
      - 2
      - 0
    .max_flat_workgroup_size: 512
    .name:           _ZN9rocsparseL41csrgemm_numeric_fill_block_per_row_kernelILj512ELj32ELj1024ELj137ELj64EiifEEvT5_PKS1_S3_NS_24const_host_device_scalarIT6_EEPKT4_S3_PKS5_S9_S3_SB_S6_S9_S3_SB_S9_S3_PS5_21rocsparse_index_base_SD_SD_SD_bbb
    .private_segment_fixed_size: 0
    .sgpr_count:     55
    .sgpr_spill_count: 0
    .symbol:         _ZN9rocsparseL41csrgemm_numeric_fill_block_per_row_kernelILj512ELj32ELj1024ELj137ELj64EiifEEvT5_PKS1_S3_NS_24const_host_device_scalarIT6_EEPKT4_S3_PKS5_S9_S3_SB_S6_S9_S3_SB_S9_S3_PS5_21rocsparse_index_base_SD_SD_SD_bbb.kd
    .uniform_work_group_size: 1
    .uses_dynamic_stack: false
    .vgpr_count:     22
    .vgpr_spill_count: 0
    .wavefront_size: 64
  - .agpr_count:     0
    .args:
      - .offset:         0
        .size:           4
        .value_kind:     by_value
      - .actual_access:  read_only
        .address_space:  global
        .offset:         8
        .size:           8
        .value_kind:     global_buffer
      - .actual_access:  read_only
        .address_space:  global
        .offset:         16
        .size:           8
        .value_kind:     global_buffer
      - .offset:         24
        .size:           8
        .value_kind:     by_value
      - .actual_access:  read_only
        .address_space:  global
        .offset:         32
        .size:           8
        .value_kind:     global_buffer
      - .actual_access:  read_only
        .address_space:  global
        .offset:         40
        .size:           8
        .value_kind:     global_buffer
      - .actual_access:  read_only
        .address_space:  global
        .offset:         48
        .size:           8
        .value_kind:     global_buffer
      - .actual_access:  read_only
        .address_space:  global
        .offset:         56
        .size:           8
        .value_kind:     global_buffer
      - .actual_access:  read_only
        .address_space:  global
        .offset:         64
        .size:           8
        .value_kind:     global_buffer
      - .actual_access:  read_only
        .address_space:  global
        .offset:         72
        .size:           8
        .value_kind:     global_buffer
      - .offset:         80
        .size:           8
        .value_kind:     by_value
      - .actual_access:  read_only
        .address_space:  global
        .offset:         88
        .size:           8
        .value_kind:     global_buffer
      - .actual_access:  read_only
        .address_space:  global
        .offset:         96
        .size:           8
        .value_kind:     global_buffer
      - .actual_access:  read_only
        .address_space:  global
        .offset:         104
        .size:           8
        .value_kind:     global_buffer
      - .actual_access:  read_only
        .address_space:  global
        .offset:         112
        .size:           8
        .value_kind:     global_buffer
      - .actual_access:  read_only
        .address_space:  global
        .offset:         120
        .size:           8
        .value_kind:     global_buffer
      - .actual_access:  write_only
        .address_space:  global
        .offset:         128
        .size:           8
        .value_kind:     global_buffer
      - .offset:         136
        .size:           4
        .value_kind:     by_value
      - .offset:         140
        .size:           4
        .value_kind:     by_value
      - .offset:         144
        .size:           4
        .value_kind:     by_value
      - .offset:         148
        .size:           4
        .value_kind:     by_value
      - .offset:         152
        .size:           1
        .value_kind:     by_value
      - .offset:         153
        .size:           1
        .value_kind:     by_value
      - .offset:         154
        .size:           1
        .value_kind:     by_value
    .group_segment_fixed_size: 0
    .kernarg_segment_align: 8
    .kernarg_segment_size: 156
    .language:       OpenCL C
    .language_version:
      - 2
      - 0
    .max_flat_workgroup_size: 1024
    .name:           _ZN9rocsparseL41csrgemm_numeric_fill_block_per_row_kernelILj1024ELj32ELj2048ELj137ELj32EiifEEvT5_PKS1_S3_NS_24const_host_device_scalarIT6_EEPKT4_S3_PKS5_S9_S3_SB_S6_S9_S3_SB_S9_S3_PS5_21rocsparse_index_base_SD_SD_SD_bbb
    .private_segment_fixed_size: 0
    .sgpr_count:     84
    .sgpr_spill_count: 0
    .symbol:         _ZN9rocsparseL41csrgemm_numeric_fill_block_per_row_kernelILj1024ELj32ELj2048ELj137ELj32EiifEEvT5_PKS1_S3_NS_24const_host_device_scalarIT6_EEPKT4_S3_PKS5_S9_S3_SB_S6_S9_S3_SB_S9_S3_PS5_21rocsparse_index_base_SD_SD_SD_bbb.kd
    .uniform_work_group_size: 1
    .uses_dynamic_stack: false
    .vgpr_count:     22
    .vgpr_spill_count: 0
    .wavefront_size: 64
  - .agpr_count:     0
    .args:
      - .offset:         0
        .size:           4
        .value_kind:     by_value
      - .actual_access:  read_only
        .address_space:  global
        .offset:         8
        .size:           8
        .value_kind:     global_buffer
      - .actual_access:  read_only
        .address_space:  global
        .offset:         16
        .size:           8
        .value_kind:     global_buffer
      - .offset:         24
        .size:           8
        .value_kind:     by_value
      - .actual_access:  read_only
        .address_space:  global
        .offset:         32
        .size:           8
        .value_kind:     global_buffer
      - .actual_access:  read_only
        .address_space:  global
        .offset:         40
        .size:           8
        .value_kind:     global_buffer
      - .actual_access:  read_only
        .address_space:  global
        .offset:         48
        .size:           8
        .value_kind:     global_buffer
      - .actual_access:  read_only
        .address_space:  global
        .offset:         56
        .size:           8
        .value_kind:     global_buffer
      - .actual_access:  read_only
        .address_space:  global
        .offset:         64
        .size:           8
        .value_kind:     global_buffer
      - .actual_access:  read_only
        .address_space:  global
        .offset:         72
        .size:           8
        .value_kind:     global_buffer
      - .offset:         80
        .size:           8
        .value_kind:     by_value
      - .actual_access:  read_only
        .address_space:  global
        .offset:         88
        .size:           8
        .value_kind:     global_buffer
      - .actual_access:  read_only
        .address_space:  global
        .offset:         96
        .size:           8
        .value_kind:     global_buffer
      - .actual_access:  read_only
        .address_space:  global
        .offset:         104
        .size:           8
        .value_kind:     global_buffer
      - .actual_access:  read_only
        .address_space:  global
        .offset:         112
        .size:           8
        .value_kind:     global_buffer
      - .actual_access:  read_only
        .address_space:  global
        .offset:         120
        .size:           8
        .value_kind:     global_buffer
      - .actual_access:  write_only
        .address_space:  global
        .offset:         128
        .size:           8
        .value_kind:     global_buffer
      - .offset:         136
        .size:           4
        .value_kind:     by_value
      - .offset:         140
        .size:           4
        .value_kind:     by_value
      - .offset:         144
        .size:           4
        .value_kind:     by_value
      - .offset:         148
        .size:           4
        .value_kind:     by_value
      - .offset:         152
        .size:           1
        .value_kind:     by_value
      - .offset:         153
        .size:           1
        .value_kind:     by_value
      - .offset:         154
        .size:           1
        .value_kind:     by_value
    .group_segment_fixed_size: 0
    .kernarg_segment_align: 8
    .kernarg_segment_size: 156
    .language:       OpenCL C
    .language_version:
      - 2
      - 0
    .max_flat_workgroup_size: 1024
    .name:           _ZN9rocsparseL41csrgemm_numeric_fill_block_per_row_kernelILj1024ELj32ELj2048ELj137ELj64EiifEEvT5_PKS1_S3_NS_24const_host_device_scalarIT6_EEPKT4_S3_PKS5_S9_S3_SB_S6_S9_S3_SB_S9_S3_PS5_21rocsparse_index_base_SD_SD_SD_bbb
    .private_segment_fixed_size: 0
    .sgpr_count:     55
    .sgpr_spill_count: 0
    .symbol:         _ZN9rocsparseL41csrgemm_numeric_fill_block_per_row_kernelILj1024ELj32ELj2048ELj137ELj64EiifEEvT5_PKS1_S3_NS_24const_host_device_scalarIT6_EEPKT4_S3_PKS5_S9_S3_SB_S6_S9_S3_SB_S9_S3_PS5_21rocsparse_index_base_SD_SD_SD_bbb.kd
    .uniform_work_group_size: 1
    .uses_dynamic_stack: false
    .vgpr_count:     22
    .vgpr_spill_count: 0
    .wavefront_size: 64
  - .agpr_count:     0
    .args:
      - .offset:         0
        .size:           4
        .value_kind:     by_value
      - .actual_access:  read_only
        .address_space:  global
        .offset:         8
        .size:           8
        .value_kind:     global_buffer
      - .actual_access:  read_only
        .address_space:  global
        .offset:         16
        .size:           8
        .value_kind:     global_buffer
      - .offset:         24
        .size:           8
        .value_kind:     by_value
      - .actual_access:  read_only
        .address_space:  global
        .offset:         32
        .size:           8
        .value_kind:     global_buffer
      - .actual_access:  read_only
        .address_space:  global
        .offset:         40
        .size:           8
        .value_kind:     global_buffer
      - .actual_access:  read_only
        .address_space:  global
        .offset:         48
        .size:           8
        .value_kind:     global_buffer
      - .actual_access:  read_only
        .address_space:  global
        .offset:         56
        .size:           8
        .value_kind:     global_buffer
      - .actual_access:  read_only
        .address_space:  global
        .offset:         64
        .size:           8
        .value_kind:     global_buffer
      - .actual_access:  read_only
        .address_space:  global
        .offset:         72
        .size:           8
        .value_kind:     global_buffer
      - .offset:         80
        .size:           8
        .value_kind:     by_value
      - .actual_access:  read_only
        .address_space:  global
        .offset:         88
        .size:           8
        .value_kind:     global_buffer
      - .actual_access:  read_only
        .address_space:  global
        .offset:         96
        .size:           8
        .value_kind:     global_buffer
      - .actual_access:  read_only
        .address_space:  global
        .offset:         104
        .size:           8
        .value_kind:     global_buffer
      - .actual_access:  read_only
        .address_space:  global
        .offset:         112
        .size:           8
        .value_kind:     global_buffer
      - .actual_access:  read_only
        .address_space:  global
        .offset:         120
        .size:           8
        .value_kind:     global_buffer
      - .actual_access:  write_only
        .address_space:  global
        .offset:         128
        .size:           8
        .value_kind:     global_buffer
      - .offset:         136
        .size:           4
        .value_kind:     by_value
      - .offset:         140
        .size:           4
        .value_kind:     by_value
      - .offset:         144
        .size:           4
        .value_kind:     by_value
      - .offset:         148
        .size:           4
        .value_kind:     by_value
      - .offset:         152
        .size:           1
        .value_kind:     by_value
      - .offset:         153
        .size:           1
        .value_kind:     by_value
      - .offset:         154
        .size:           1
        .value_kind:     by_value
    .group_segment_fixed_size: 0
    .kernarg_segment_align: 8
    .kernarg_segment_size: 156
    .language:       OpenCL C
    .language_version:
      - 2
      - 0
    .max_flat_workgroup_size: 1024
    .name:           _ZN9rocsparseL41csrgemm_numeric_fill_block_per_row_kernelILj1024ELj64ELj4096ELj137ELj32EiifEEvT5_PKS1_S3_NS_24const_host_device_scalarIT6_EEPKT4_S3_PKS5_S9_S3_SB_S6_S9_S3_SB_S9_S3_PS5_21rocsparse_index_base_SD_SD_SD_bbb
    .private_segment_fixed_size: 0
    .sgpr_count:     84
    .sgpr_spill_count: 0
    .symbol:         _ZN9rocsparseL41csrgemm_numeric_fill_block_per_row_kernelILj1024ELj64ELj4096ELj137ELj32EiifEEvT5_PKS1_S3_NS_24const_host_device_scalarIT6_EEPKT4_S3_PKS5_S9_S3_SB_S6_S9_S3_SB_S9_S3_PS5_21rocsparse_index_base_SD_SD_SD_bbb.kd
    .uniform_work_group_size: 1
    .uses_dynamic_stack: false
    .vgpr_count:     22
    .vgpr_spill_count: 0
    .wavefront_size: 64
  - .agpr_count:     0
    .args:
      - .offset:         0
        .size:           4
        .value_kind:     by_value
      - .actual_access:  read_only
        .address_space:  global
        .offset:         8
        .size:           8
        .value_kind:     global_buffer
      - .actual_access:  read_only
        .address_space:  global
        .offset:         16
        .size:           8
        .value_kind:     global_buffer
      - .offset:         24
        .size:           8
        .value_kind:     by_value
      - .actual_access:  read_only
        .address_space:  global
        .offset:         32
        .size:           8
        .value_kind:     global_buffer
      - .actual_access:  read_only
        .address_space:  global
        .offset:         40
        .size:           8
        .value_kind:     global_buffer
      - .actual_access:  read_only
        .address_space:  global
        .offset:         48
        .size:           8
        .value_kind:     global_buffer
      - .actual_access:  read_only
        .address_space:  global
        .offset:         56
        .size:           8
        .value_kind:     global_buffer
      - .actual_access:  read_only
        .address_space:  global
        .offset:         64
        .size:           8
        .value_kind:     global_buffer
      - .actual_access:  read_only
        .address_space:  global
        .offset:         72
        .size:           8
        .value_kind:     global_buffer
      - .offset:         80
        .size:           8
        .value_kind:     by_value
      - .actual_access:  read_only
        .address_space:  global
        .offset:         88
        .size:           8
        .value_kind:     global_buffer
      - .actual_access:  read_only
        .address_space:  global
        .offset:         96
        .size:           8
        .value_kind:     global_buffer
      - .actual_access:  read_only
        .address_space:  global
        .offset:         104
        .size:           8
        .value_kind:     global_buffer
      - .actual_access:  read_only
        .address_space:  global
        .offset:         112
        .size:           8
        .value_kind:     global_buffer
      - .actual_access:  read_only
        .address_space:  global
        .offset:         120
        .size:           8
        .value_kind:     global_buffer
      - .actual_access:  write_only
        .address_space:  global
        .offset:         128
        .size:           8
        .value_kind:     global_buffer
      - .offset:         136
        .size:           4
        .value_kind:     by_value
      - .offset:         140
        .size:           4
        .value_kind:     by_value
      - .offset:         144
        .size:           4
        .value_kind:     by_value
      - .offset:         148
        .size:           4
        .value_kind:     by_value
      - .offset:         152
        .size:           1
        .value_kind:     by_value
      - .offset:         153
        .size:           1
        .value_kind:     by_value
      - .offset:         154
        .size:           1
        .value_kind:     by_value
    .group_segment_fixed_size: 0
    .kernarg_segment_align: 8
    .kernarg_segment_size: 156
    .language:       OpenCL C
    .language_version:
      - 2
      - 0
    .max_flat_workgroup_size: 1024
    .name:           _ZN9rocsparseL41csrgemm_numeric_fill_block_per_row_kernelILj1024ELj64ELj4096ELj137ELj64EiifEEvT5_PKS1_S3_NS_24const_host_device_scalarIT6_EEPKT4_S3_PKS5_S9_S3_SB_S6_S9_S3_SB_S9_S3_PS5_21rocsparse_index_base_SD_SD_SD_bbb
    .private_segment_fixed_size: 0
    .sgpr_count:     55
    .sgpr_spill_count: 0
    .symbol:         _ZN9rocsparseL41csrgemm_numeric_fill_block_per_row_kernelILj1024ELj64ELj4096ELj137ELj64EiifEEvT5_PKS1_S3_NS_24const_host_device_scalarIT6_EEPKT4_S3_PKS5_S9_S3_SB_S6_S9_S3_SB_S9_S3_PS5_21rocsparse_index_base_SD_SD_SD_bbb.kd
    .uniform_work_group_size: 1
    .uses_dynamic_stack: false
    .vgpr_count:     22
    .vgpr_spill_count: 0
    .wavefront_size: 64
  - .agpr_count:     0
    .args:
      - .offset:         0
        .size:           4
        .value_kind:     by_value
      - .actual_access:  read_only
        .address_space:  global
        .offset:         8
        .size:           8
        .value_kind:     global_buffer
      - .actual_access:  read_only
        .address_space:  global
        .offset:         16
        .size:           8
        .value_kind:     global_buffer
      - .offset:         24
        .size:           8
        .value_kind:     by_value
      - .actual_access:  read_only
        .address_space:  global
        .offset:         32
        .size:           8
        .value_kind:     global_buffer
      - .actual_access:  read_only
        .address_space:  global
        .offset:         40
        .size:           8
        .value_kind:     global_buffer
      - .actual_access:  read_only
        .address_space:  global
        .offset:         48
        .size:           8
        .value_kind:     global_buffer
      - .actual_access:  read_only
        .address_space:  global
        .offset:         56
        .size:           8
        .value_kind:     global_buffer
      - .actual_access:  read_only
        .address_space:  global
        .offset:         64
        .size:           8
        .value_kind:     global_buffer
      - .actual_access:  read_only
        .address_space:  global
        .offset:         72
        .size:           8
        .value_kind:     global_buffer
      - .offset:         80
        .size:           8
        .value_kind:     by_value
      - .actual_access:  read_only
        .address_space:  global
        .offset:         88
        .size:           8
        .value_kind:     global_buffer
      - .actual_access:  read_only
        .address_space:  global
        .offset:         96
        .size:           8
        .value_kind:     global_buffer
      - .actual_access:  read_only
        .address_space:  global
        .offset:         104
        .size:           8
        .value_kind:     global_buffer
      - .actual_access:  read_only
        .address_space:  global
        .offset:         112
        .size:           8
        .value_kind:     global_buffer
      - .actual_access:  read_only
        .address_space:  global
        .offset:         120
        .size:           8
        .value_kind:     global_buffer
      - .actual_access:  write_only
        .address_space:  global
        .offset:         128
        .size:           8
        .value_kind:     global_buffer
      - .offset:         136
        .size:           4
        .value_kind:     by_value
      - .offset:         140
        .size:           4
        .value_kind:     by_value
      - .offset:         144
        .size:           4
        .value_kind:     by_value
      - .offset:         148
        .size:           4
        .value_kind:     by_value
      - .offset:         152
        .size:           1
        .value_kind:     by_value
      - .offset:         153
        .size:           1
        .value_kind:     by_value
      - .offset:         154
        .size:           1
        .value_kind:     by_value
    .group_segment_fixed_size: 0
    .kernarg_segment_align: 8
    .kernarg_segment_size: 156
    .language:       OpenCL C
    .language_version:
      - 2
      - 0
    .max_flat_workgroup_size: 1024
    .name:           _ZN9rocsparseL41csrgemm_numeric_fill_block_per_row_kernelILj1024ELj64ELj8192ELj137ELj32EiifEEvT5_PKS1_S3_NS_24const_host_device_scalarIT6_EEPKT4_S3_PKS5_S9_S3_SB_S6_S9_S3_SB_S9_S3_PS5_21rocsparse_index_base_SD_SD_SD_bbb
    .private_segment_fixed_size: 0
    .sgpr_count:     106
    .sgpr_spill_count: 15
    .symbol:         _ZN9rocsparseL41csrgemm_numeric_fill_block_per_row_kernelILj1024ELj64ELj8192ELj137ELj32EiifEEvT5_PKS1_S3_NS_24const_host_device_scalarIT6_EEPKT4_S3_PKS5_S9_S3_SB_S6_S9_S3_SB_S9_S3_PS5_21rocsparse_index_base_SD_SD_SD_bbb.kd
    .uniform_work_group_size: 1
    .uses_dynamic_stack: false
    .vgpr_count:     23
    .vgpr_spill_count: 0
    .wavefront_size: 64
  - .agpr_count:     0
    .args:
      - .offset:         0
        .size:           4
        .value_kind:     by_value
      - .actual_access:  read_only
        .address_space:  global
        .offset:         8
        .size:           8
        .value_kind:     global_buffer
      - .actual_access:  read_only
        .address_space:  global
        .offset:         16
        .size:           8
        .value_kind:     global_buffer
      - .offset:         24
        .size:           8
        .value_kind:     by_value
      - .actual_access:  read_only
        .address_space:  global
        .offset:         32
        .size:           8
        .value_kind:     global_buffer
      - .actual_access:  read_only
        .address_space:  global
        .offset:         40
        .size:           8
        .value_kind:     global_buffer
      - .actual_access:  read_only
        .address_space:  global
        .offset:         48
        .size:           8
        .value_kind:     global_buffer
      - .actual_access:  read_only
        .address_space:  global
        .offset:         56
        .size:           8
        .value_kind:     global_buffer
      - .actual_access:  read_only
        .address_space:  global
        .offset:         64
        .size:           8
        .value_kind:     global_buffer
      - .actual_access:  read_only
        .address_space:  global
        .offset:         72
        .size:           8
        .value_kind:     global_buffer
      - .offset:         80
        .size:           8
        .value_kind:     by_value
      - .actual_access:  read_only
        .address_space:  global
        .offset:         88
        .size:           8
        .value_kind:     global_buffer
      - .actual_access:  read_only
        .address_space:  global
        .offset:         96
        .size:           8
        .value_kind:     global_buffer
      - .actual_access:  read_only
        .address_space:  global
        .offset:         104
        .size:           8
        .value_kind:     global_buffer
      - .actual_access:  read_only
        .address_space:  global
        .offset:         112
        .size:           8
        .value_kind:     global_buffer
      - .actual_access:  read_only
        .address_space:  global
        .offset:         120
        .size:           8
        .value_kind:     global_buffer
      - .actual_access:  write_only
        .address_space:  global
        .offset:         128
        .size:           8
        .value_kind:     global_buffer
      - .offset:         136
        .size:           4
        .value_kind:     by_value
      - .offset:         140
        .size:           4
        .value_kind:     by_value
      - .offset:         144
        .size:           4
        .value_kind:     by_value
      - .offset:         148
        .size:           4
        .value_kind:     by_value
      - .offset:         152
        .size:           1
        .value_kind:     by_value
      - .offset:         153
        .size:           1
        .value_kind:     by_value
      - .offset:         154
        .size:           1
        .value_kind:     by_value
    .group_segment_fixed_size: 0
    .kernarg_segment_align: 8
    .kernarg_segment_size: 156
    .language:       OpenCL C
    .language_version:
      - 2
      - 0
    .max_flat_workgroup_size: 1024
    .name:           _ZN9rocsparseL41csrgemm_numeric_fill_block_per_row_kernelILj1024ELj64ELj8192ELj137ELj64EiifEEvT5_PKS1_S3_NS_24const_host_device_scalarIT6_EEPKT4_S3_PKS5_S9_S3_SB_S6_S9_S3_SB_S9_S3_PS5_21rocsparse_index_base_SD_SD_SD_bbb
    .private_segment_fixed_size: 0
    .sgpr_count:     67
    .sgpr_spill_count: 0
    .symbol:         _ZN9rocsparseL41csrgemm_numeric_fill_block_per_row_kernelILj1024ELj64ELj8192ELj137ELj64EiifEEvT5_PKS1_S3_NS_24const_host_device_scalarIT6_EEPKT4_S3_PKS5_S9_S3_SB_S6_S9_S3_SB_S9_S3_PS5_21rocsparse_index_base_SD_SD_SD_bbb.kd
    .uniform_work_group_size: 1
    .uses_dynamic_stack: false
    .vgpr_count:     22
    .vgpr_spill_count: 0
    .wavefront_size: 64
  - .agpr_count:     0
    .args:
      - .offset:         0
        .size:           4
        .value_kind:     by_value
      - .actual_access:  read_only
        .address_space:  global
        .offset:         8
        .size:           8
        .value_kind:     global_buffer
      - .actual_access:  read_only
        .address_space:  global
        .offset:         16
        .size:           8
        .value_kind:     global_buffer
      - .offset:         24
        .size:           8
        .value_kind:     by_value
      - .actual_access:  read_only
        .address_space:  global
        .offset:         32
        .size:           8
        .value_kind:     global_buffer
      - .actual_access:  read_only
        .address_space:  global
        .offset:         40
        .size:           8
        .value_kind:     global_buffer
      - .actual_access:  read_only
        .address_space:  global
        .offset:         48
        .size:           8
        .value_kind:     global_buffer
      - .actual_access:  read_only
        .address_space:  global
        .offset:         56
        .size:           8
        .value_kind:     global_buffer
      - .actual_access:  read_only
        .address_space:  global
        .offset:         64
        .size:           8
        .value_kind:     global_buffer
      - .actual_access:  read_only
        .address_space:  global
        .offset:         72
        .size:           8
        .value_kind:     global_buffer
      - .offset:         80
        .size:           8
        .value_kind:     by_value
      - .actual_access:  read_only
        .address_space:  global
        .offset:         88
        .size:           8
        .value_kind:     global_buffer
      - .actual_access:  read_only
        .address_space:  global
        .offset:         96
        .size:           8
        .value_kind:     global_buffer
      - .actual_access:  read_only
        .address_space:  global
        .offset:         104
        .size:           8
        .value_kind:     global_buffer
      - .actual_access:  read_only
        .address_space:  global
        .offset:         112
        .size:           8
        .value_kind:     global_buffer
      - .actual_access:  read_only
        .address_space:  global
        .offset:         120
        .size:           8
        .value_kind:     global_buffer
      - .actual_access:  write_only
        .address_space:  global
        .offset:         128
        .size:           8
        .value_kind:     global_buffer
      - .offset:         136
        .size:           4
        .value_kind:     by_value
      - .offset:         140
        .size:           4
        .value_kind:     by_value
      - .offset:         144
        .size:           4
        .value_kind:     by_value
      - .offset:         148
        .size:           4
        .value_kind:     by_value
      - .offset:         152
        .size:           1
        .value_kind:     by_value
      - .offset:         153
        .size:           1
        .value_kind:     by_value
      - .offset:         154
        .size:           1
        .value_kind:     by_value
    .group_segment_fixed_size: 0
    .kernarg_segment_align: 8
    .kernarg_segment_size: 156
    .language:       OpenCL C
    .language_version:
      - 2
      - 0
    .max_flat_workgroup_size: 1024
    .name:           _ZN9rocsparseL41csrgemm_numeric_fill_block_per_row_kernelILj1024ELj64ELj16384ELj137ELj32EiifEEvT5_PKS1_S3_NS_24const_host_device_scalarIT6_EEPKT4_S3_PKS5_S9_S3_SB_S6_S9_S3_SB_S9_S3_PS5_21rocsparse_index_base_SD_SD_SD_bbb
    .private_segment_fixed_size: 0
    .sgpr_count:     106
    .sgpr_spill_count: 11
    .symbol:         _ZN9rocsparseL41csrgemm_numeric_fill_block_per_row_kernelILj1024ELj64ELj16384ELj137ELj32EiifEEvT5_PKS1_S3_NS_24const_host_device_scalarIT6_EEPKT4_S3_PKS5_S9_S3_SB_S6_S9_S3_SB_S9_S3_PS5_21rocsparse_index_base_SD_SD_SD_bbb.kd
    .uniform_work_group_size: 1
    .uses_dynamic_stack: false
    .vgpr_count:     23
    .vgpr_spill_count: 0
    .wavefront_size: 64
  - .agpr_count:     0
    .args:
      - .offset:         0
        .size:           4
        .value_kind:     by_value
      - .actual_access:  read_only
        .address_space:  global
        .offset:         8
        .size:           8
        .value_kind:     global_buffer
      - .actual_access:  read_only
        .address_space:  global
        .offset:         16
        .size:           8
        .value_kind:     global_buffer
      - .offset:         24
        .size:           8
        .value_kind:     by_value
      - .actual_access:  read_only
        .address_space:  global
        .offset:         32
        .size:           8
        .value_kind:     global_buffer
      - .actual_access:  read_only
        .address_space:  global
        .offset:         40
        .size:           8
        .value_kind:     global_buffer
      - .actual_access:  read_only
        .address_space:  global
        .offset:         48
        .size:           8
        .value_kind:     global_buffer
      - .actual_access:  read_only
        .address_space:  global
        .offset:         56
        .size:           8
        .value_kind:     global_buffer
      - .actual_access:  read_only
        .address_space:  global
        .offset:         64
        .size:           8
        .value_kind:     global_buffer
      - .actual_access:  read_only
        .address_space:  global
        .offset:         72
        .size:           8
        .value_kind:     global_buffer
      - .offset:         80
        .size:           8
        .value_kind:     by_value
      - .actual_access:  read_only
        .address_space:  global
        .offset:         88
        .size:           8
        .value_kind:     global_buffer
      - .actual_access:  read_only
        .address_space:  global
        .offset:         96
        .size:           8
        .value_kind:     global_buffer
      - .actual_access:  read_only
        .address_space:  global
        .offset:         104
        .size:           8
        .value_kind:     global_buffer
      - .actual_access:  read_only
        .address_space:  global
        .offset:         112
        .size:           8
        .value_kind:     global_buffer
      - .actual_access:  read_only
        .address_space:  global
        .offset:         120
        .size:           8
        .value_kind:     global_buffer
      - .actual_access:  write_only
        .address_space:  global
        .offset:         128
        .size:           8
        .value_kind:     global_buffer
      - .offset:         136
        .size:           4
        .value_kind:     by_value
      - .offset:         140
        .size:           4
        .value_kind:     by_value
      - .offset:         144
        .size:           4
        .value_kind:     by_value
      - .offset:         148
        .size:           4
        .value_kind:     by_value
      - .offset:         152
        .size:           1
        .value_kind:     by_value
      - .offset:         153
        .size:           1
        .value_kind:     by_value
      - .offset:         154
        .size:           1
        .value_kind:     by_value
    .group_segment_fixed_size: 0
    .kernarg_segment_align: 8
    .kernarg_segment_size: 156
    .language:       OpenCL C
    .language_version:
      - 2
      - 0
    .max_flat_workgroup_size: 1024
    .name:           _ZN9rocsparseL41csrgemm_numeric_fill_block_per_row_kernelILj1024ELj64ELj16384ELj137ELj64EiifEEvT5_PKS1_S3_NS_24const_host_device_scalarIT6_EEPKT4_S3_PKS5_S9_S3_SB_S6_S9_S3_SB_S9_S3_PS5_21rocsparse_index_base_SD_SD_SD_bbb
    .private_segment_fixed_size: 0
    .sgpr_count:     67
    .sgpr_spill_count: 0
    .symbol:         _ZN9rocsparseL41csrgemm_numeric_fill_block_per_row_kernelILj1024ELj64ELj16384ELj137ELj64EiifEEvT5_PKS1_S3_NS_24const_host_device_scalarIT6_EEPKT4_S3_PKS5_S9_S3_SB_S6_S9_S3_SB_S9_S3_PS5_21rocsparse_index_base_SD_SD_SD_bbb.kd
    .uniform_work_group_size: 1
    .uses_dynamic_stack: false
    .vgpr_count:     22
    .vgpr_spill_count: 0
    .wavefront_size: 64
  - .agpr_count:     0
    .args:
      - .offset:         0
        .size:           4
        .value_kind:     by_value
      - .actual_access:  read_only
        .address_space:  global
        .offset:         8
        .size:           8
        .value_kind:     global_buffer
      - .actual_access:  read_only
        .address_space:  global
        .offset:         16
        .size:           8
        .value_kind:     global_buffer
      - .offset:         24
        .size:           8
        .value_kind:     by_value
      - .actual_access:  read_only
        .address_space:  global
        .offset:         32
        .size:           8
        .value_kind:     global_buffer
      - .actual_access:  read_only
        .address_space:  global
        .offset:         40
        .size:           8
        .value_kind:     global_buffer
      - .actual_access:  read_only
        .address_space:  global
        .offset:         48
        .size:           8
        .value_kind:     global_buffer
      - .actual_access:  read_only
        .address_space:  global
        .offset:         56
        .size:           8
        .value_kind:     global_buffer
      - .actual_access:  read_only
        .address_space:  global
        .offset:         64
        .size:           8
        .value_kind:     global_buffer
      - .actual_access:  read_only
        .address_space:  global
        .offset:         72
        .size:           8
        .value_kind:     global_buffer
      - .offset:         80
        .size:           8
        .value_kind:     by_value
      - .actual_access:  read_only
        .address_space:  global
        .offset:         88
        .size:           8
        .value_kind:     global_buffer
      - .actual_access:  read_only
        .address_space:  global
        .offset:         96
        .size:           8
        .value_kind:     global_buffer
      - .actual_access:  read_only
        .address_space:  global
        .offset:         104
        .size:           8
        .value_kind:     global_buffer
      - .actual_access:  read_only
        .address_space:  global
        .offset:         112
        .size:           8
        .value_kind:     global_buffer
      - .actual_access:  read_only
        .address_space:  global
        .offset:         120
        .size:           8
        .value_kind:     global_buffer
      - .actual_access:  write_only
        .address_space:  global
        .offset:         128
        .size:           8
        .value_kind:     global_buffer
      - .offset:         136
        .size:           4
        .value_kind:     by_value
      - .offset:         140
        .size:           4
        .value_kind:     by_value
      - .offset:         144
        .size:           4
        .value_kind:     by_value
      - .offset:         148
        .size:           4
        .value_kind:     by_value
      - .offset:         152
        .size:           1
        .value_kind:     by_value
      - .offset:         153
        .size:           1
        .value_kind:     by_value
      - .offset:         154
        .size:           1
        .value_kind:     by_value
    .group_segment_fixed_size: 0
    .kernarg_segment_align: 8
    .kernarg_segment_size: 156
    .language:       OpenCL C
    .language_version:
      - 2
      - 0
    .max_flat_workgroup_size: 1024
    .name:           _ZN9rocsparseL41csrgemm_numeric_fill_block_per_row_kernelILj1024ELj64ELj32768ELj137ELj32EiifEEvT5_PKS1_S3_NS_24const_host_device_scalarIT6_EEPKT4_S3_PKS5_S9_S3_SB_S6_S9_S3_SB_S9_S3_PS5_21rocsparse_index_base_SD_SD_SD_bbb
    .private_segment_fixed_size: 0
    .sgpr_count:     106
    .sgpr_spill_count: 11
    .symbol:         _ZN9rocsparseL41csrgemm_numeric_fill_block_per_row_kernelILj1024ELj64ELj32768ELj137ELj32EiifEEvT5_PKS1_S3_NS_24const_host_device_scalarIT6_EEPKT4_S3_PKS5_S9_S3_SB_S6_S9_S3_SB_S9_S3_PS5_21rocsparse_index_base_SD_SD_SD_bbb.kd
    .uniform_work_group_size: 1
    .uses_dynamic_stack: false
    .vgpr_count:     23
    .vgpr_spill_count: 0
    .wavefront_size: 64
  - .agpr_count:     0
    .args:
      - .offset:         0
        .size:           4
        .value_kind:     by_value
      - .actual_access:  read_only
        .address_space:  global
        .offset:         8
        .size:           8
        .value_kind:     global_buffer
      - .actual_access:  read_only
        .address_space:  global
        .offset:         16
        .size:           8
        .value_kind:     global_buffer
      - .offset:         24
        .size:           8
        .value_kind:     by_value
      - .actual_access:  read_only
        .address_space:  global
        .offset:         32
        .size:           8
        .value_kind:     global_buffer
      - .actual_access:  read_only
        .address_space:  global
        .offset:         40
        .size:           8
        .value_kind:     global_buffer
      - .actual_access:  read_only
        .address_space:  global
        .offset:         48
        .size:           8
        .value_kind:     global_buffer
      - .actual_access:  read_only
        .address_space:  global
        .offset:         56
        .size:           8
        .value_kind:     global_buffer
      - .actual_access:  read_only
        .address_space:  global
        .offset:         64
        .size:           8
        .value_kind:     global_buffer
      - .actual_access:  read_only
        .address_space:  global
        .offset:         72
        .size:           8
        .value_kind:     global_buffer
      - .offset:         80
        .size:           8
        .value_kind:     by_value
      - .actual_access:  read_only
        .address_space:  global
        .offset:         88
        .size:           8
        .value_kind:     global_buffer
      - .actual_access:  read_only
        .address_space:  global
        .offset:         96
        .size:           8
        .value_kind:     global_buffer
      - .actual_access:  read_only
        .address_space:  global
        .offset:         104
        .size:           8
        .value_kind:     global_buffer
      - .actual_access:  read_only
        .address_space:  global
        .offset:         112
        .size:           8
        .value_kind:     global_buffer
      - .actual_access:  read_only
        .address_space:  global
        .offset:         120
        .size:           8
        .value_kind:     global_buffer
      - .actual_access:  write_only
        .address_space:  global
        .offset:         128
        .size:           8
        .value_kind:     global_buffer
      - .offset:         136
        .size:           4
        .value_kind:     by_value
      - .offset:         140
        .size:           4
        .value_kind:     by_value
      - .offset:         144
        .size:           4
        .value_kind:     by_value
      - .offset:         148
        .size:           4
        .value_kind:     by_value
      - .offset:         152
        .size:           1
        .value_kind:     by_value
      - .offset:         153
        .size:           1
        .value_kind:     by_value
      - .offset:         154
        .size:           1
        .value_kind:     by_value
    .group_segment_fixed_size: 0
    .kernarg_segment_align: 8
    .kernarg_segment_size: 156
    .language:       OpenCL C
    .language_version:
      - 2
      - 0
    .max_flat_workgroup_size: 1024
    .name:           _ZN9rocsparseL41csrgemm_numeric_fill_block_per_row_kernelILj1024ELj64ELj32768ELj137ELj64EiifEEvT5_PKS1_S3_NS_24const_host_device_scalarIT6_EEPKT4_S3_PKS5_S9_S3_SB_S6_S9_S3_SB_S9_S3_PS5_21rocsparse_index_base_SD_SD_SD_bbb
    .private_segment_fixed_size: 0
    .sgpr_count:     67
    .sgpr_spill_count: 0
    .symbol:         _ZN9rocsparseL41csrgemm_numeric_fill_block_per_row_kernelILj1024ELj64ELj32768ELj137ELj64EiifEEvT5_PKS1_S3_NS_24const_host_device_scalarIT6_EEPKT4_S3_PKS5_S9_S3_SB_S6_S9_S3_SB_S9_S3_PS5_21rocsparse_index_base_SD_SD_SD_bbb.kd
    .uniform_work_group_size: 1
    .uses_dynamic_stack: false
    .vgpr_count:     22
    .vgpr_spill_count: 0
    .wavefront_size: 64
  - .agpr_count:     0
    .args:
      - .offset:         0
        .size:           4
        .value_kind:     by_value
      - .actual_access:  read_only
        .address_space:  global
        .offset:         8
        .size:           8
        .value_kind:     global_buffer
      - .actual_access:  read_only
        .address_space:  global
        .offset:         16
        .size:           8
        .value_kind:     global_buffer
      - .offset:         24
        .size:           8
        .value_kind:     by_value
      - .actual_access:  read_only
        .address_space:  global
        .offset:         32
        .size:           8
        .value_kind:     global_buffer
      - .actual_access:  read_only
        .address_space:  global
        .offset:         40
        .size:           8
        .value_kind:     global_buffer
      - .actual_access:  read_only
        .address_space:  global
        .offset:         48
        .size:           8
        .value_kind:     global_buffer
      - .actual_access:  read_only
        .address_space:  global
        .offset:         56
        .size:           8
        .value_kind:     global_buffer
      - .actual_access:  read_only
        .address_space:  global
        .offset:         64
        .size:           8
        .value_kind:     global_buffer
      - .actual_access:  read_only
        .address_space:  global
        .offset:         72
        .size:           8
        .value_kind:     global_buffer
      - .offset:         80
        .size:           8
        .value_kind:     by_value
      - .actual_access:  read_only
        .address_space:  global
        .offset:         88
        .size:           8
        .value_kind:     global_buffer
      - .actual_access:  read_only
        .address_space:  global
        .offset:         96
        .size:           8
        .value_kind:     global_buffer
      - .actual_access:  read_only
        .address_space:  global
        .offset:         104
        .size:           8
        .value_kind:     global_buffer
      - .actual_access:  read_only
        .address_space:  global
        .offset:         112
        .size:           8
        .value_kind:     global_buffer
      - .actual_access:  read_only
        .address_space:  global
        .offset:         120
        .size:           8
        .value_kind:     global_buffer
      - .actual_access:  write_only
        .address_space:  global
        .offset:         128
        .size:           8
        .value_kind:     global_buffer
      - .address_space:  global
        .offset:         136
        .size:           8
        .value_kind:     global_buffer
      - .offset:         144
        .size:           4
        .value_kind:     by_value
      - .offset:         148
        .size:           4
        .value_kind:     by_value
      - .offset:         152
        .size:           4
        .value_kind:     by_value
      - .offset:         156
        .size:           4
        .value_kind:     by_value
      - .offset:         160
        .size:           1
        .value_kind:     by_value
      - .offset:         161
        .size:           1
        .value_kind:     by_value
      - .offset:         162
        .size:           1
        .value_kind:     by_value
    .group_segment_fixed_size: 10244
    .kernarg_segment_align: 8
    .kernarg_segment_size: 164
    .language:       OpenCL C
    .language_version:
      - 2
      - 0
    .max_flat_workgroup_size: 512
    .name:           _ZN9rocsparseL51csrgemm_numeric_fill_block_per_row_multipass_kernelILj512ELj16ELj2048ELj32EiifEEvT4_PKS1_S3_NS_24const_host_device_scalarIT5_EEPKT3_S3_PKS5_S9_S3_SB_S6_S9_S3_SB_S9_S3_PS5_PS7_21rocsparse_index_base_SE_SE_SE_bbb
    .private_segment_fixed_size: 0
    .sgpr_count:     93
    .sgpr_spill_count: 0
    .symbol:         _ZN9rocsparseL51csrgemm_numeric_fill_block_per_row_multipass_kernelILj512ELj16ELj2048ELj32EiifEEvT4_PKS1_S3_NS_24const_host_device_scalarIT5_EEPKT3_S3_PKS5_S9_S3_SB_S6_S9_S3_SB_S9_S3_PS5_PS7_21rocsparse_index_base_SE_SE_SE_bbb.kd
    .uniform_work_group_size: 1
    .uses_dynamic_stack: false
    .vgpr_count:     37
    .vgpr_spill_count: 0
    .wavefront_size: 64
  - .agpr_count:     0
    .args:
      - .offset:         0
        .size:           4
        .value_kind:     by_value
      - .actual_access:  read_only
        .address_space:  global
        .offset:         8
        .size:           8
        .value_kind:     global_buffer
      - .actual_access:  read_only
        .address_space:  global
        .offset:         16
        .size:           8
        .value_kind:     global_buffer
      - .offset:         24
        .size:           8
        .value_kind:     by_value
      - .actual_access:  read_only
        .address_space:  global
        .offset:         32
        .size:           8
        .value_kind:     global_buffer
      - .actual_access:  read_only
        .address_space:  global
        .offset:         40
        .size:           8
        .value_kind:     global_buffer
      - .actual_access:  read_only
        .address_space:  global
        .offset:         48
        .size:           8
        .value_kind:     global_buffer
      - .actual_access:  read_only
        .address_space:  global
        .offset:         56
        .size:           8
        .value_kind:     global_buffer
      - .actual_access:  read_only
        .address_space:  global
        .offset:         64
        .size:           8
        .value_kind:     global_buffer
      - .actual_access:  read_only
        .address_space:  global
        .offset:         72
        .size:           8
        .value_kind:     global_buffer
      - .offset:         80
        .size:           8
        .value_kind:     by_value
      - .actual_access:  read_only
        .address_space:  global
        .offset:         88
        .size:           8
        .value_kind:     global_buffer
      - .actual_access:  read_only
        .address_space:  global
        .offset:         96
        .size:           8
        .value_kind:     global_buffer
      - .actual_access:  read_only
        .address_space:  global
        .offset:         104
        .size:           8
        .value_kind:     global_buffer
      - .actual_access:  read_only
        .address_space:  global
        .offset:         112
        .size:           8
        .value_kind:     global_buffer
      - .actual_access:  read_only
        .address_space:  global
        .offset:         120
        .size:           8
        .value_kind:     global_buffer
      - .actual_access:  write_only
        .address_space:  global
        .offset:         128
        .size:           8
        .value_kind:     global_buffer
      - .address_space:  global
        .offset:         136
        .size:           8
        .value_kind:     global_buffer
      - .offset:         144
        .size:           4
        .value_kind:     by_value
      - .offset:         148
        .size:           4
        .value_kind:     by_value
      - .offset:         152
        .size:           4
        .value_kind:     by_value
      - .offset:         156
        .size:           4
        .value_kind:     by_value
      - .offset:         160
        .size:           1
        .value_kind:     by_value
      - .offset:         161
        .size:           1
        .value_kind:     by_value
      - .offset:         162
        .size:           1
        .value_kind:     by_value
    .group_segment_fixed_size: 10244
    .kernarg_segment_align: 8
    .kernarg_segment_size: 164
    .language:       OpenCL C
    .language_version:
      - 2
      - 0
    .max_flat_workgroup_size: 512
    .name:           _ZN9rocsparseL51csrgemm_numeric_fill_block_per_row_multipass_kernelILj512ELj16ELj2048ELj64EiifEEvT4_PKS1_S3_NS_24const_host_device_scalarIT5_EEPKT3_S3_PKS5_S9_S3_SB_S6_S9_S3_SB_S9_S3_PS5_PS7_21rocsparse_index_base_SE_SE_SE_bbb
    .private_segment_fixed_size: 0
    .sgpr_count:     77
    .sgpr_spill_count: 0
    .symbol:         _ZN9rocsparseL51csrgemm_numeric_fill_block_per_row_multipass_kernelILj512ELj16ELj2048ELj64EiifEEvT4_PKS1_S3_NS_24const_host_device_scalarIT5_EEPKT3_S3_PKS5_S9_S3_SB_S6_S9_S3_SB_S9_S3_PS5_PS7_21rocsparse_index_base_SE_SE_SE_bbb.kd
    .uniform_work_group_size: 1
    .uses_dynamic_stack: false
    .vgpr_count:     29
    .vgpr_spill_count: 0
    .wavefront_size: 64
  - .agpr_count:     0
    .args:
      - .offset:         0
        .size:           4
        .value_kind:     by_value
      - .offset:         4
        .size:           4
        .value_kind:     by_value
      - .actual_access:  read_only
        .address_space:  global
        .offset:         8
        .size:           8
        .value_kind:     global_buffer
      - .actual_access:  read_only
        .address_space:  global
        .offset:         16
        .size:           8
        .value_kind:     global_buffer
      - .offset:         24
        .size:           8
        .value_kind:     by_value
      - .actual_access:  read_only
        .address_space:  global
        .offset:         32
        .size:           8
        .value_kind:     global_buffer
      - .actual_access:  read_only
        .address_space:  global
        .offset:         40
        .size:           8
        .value_kind:     global_buffer
      - .actual_access:  read_only
        .address_space:  global
        .offset:         48
        .size:           8
        .value_kind:     global_buffer
      - .actual_access:  read_only
        .address_space:  global
        .offset:         56
        .size:           8
        .value_kind:     global_buffer
      - .actual_access:  read_only
        .address_space:  global
        .offset:         64
        .size:           8
        .value_kind:     global_buffer
      - .actual_access:  read_only
        .address_space:  global
        .offset:         72
        .size:           8
        .value_kind:     global_buffer
      - .offset:         80
        .size:           8
        .value_kind:     by_value
      - .actual_access:  read_only
        .address_space:  global
        .offset:         88
        .size:           8
        .value_kind:     global_buffer
      - .actual_access:  read_only
        .address_space:  global
        .offset:         96
        .size:           8
        .value_kind:     global_buffer
      - .actual_access:  read_only
        .address_space:  global
        .offset:         104
        .size:           8
        .value_kind:     global_buffer
      - .actual_access:  read_only
        .address_space:  global
        .offset:         112
        .size:           8
        .value_kind:     global_buffer
      - .actual_access:  read_only
        .address_space:  global
        .offset:         120
        .size:           8
        .value_kind:     global_buffer
      - .actual_access:  write_only
        .address_space:  global
        .offset:         128
        .size:           8
        .value_kind:     global_buffer
      - .offset:         136
        .size:           4
        .value_kind:     by_value
      - .offset:         140
        .size:           4
        .value_kind:     by_value
      - .offset:         144
        .size:           4
        .value_kind:     by_value
      - .offset:         148
        .size:           4
        .value_kind:     by_value
      - .offset:         152
        .size:           1
        .value_kind:     by_value
      - .offset:         153
        .size:           1
        .value_kind:     by_value
      - .offset:         154
        .size:           1
        .value_kind:     by_value
    .group_segment_fixed_size: 6144
    .kernarg_segment_align: 8
    .kernarg_segment_size: 156
    .language:       OpenCL C
    .language_version:
      - 2
      - 0
    .max_flat_workgroup_size: 256
    .name:           _ZN9rocsparseL38csrgemm_numeric_fill_wf_per_row_kernelILj256ELj8ELj16ELj137EiidEEvT4_S1_PKS1_S3_NS_24const_host_device_scalarIT5_EEPKT3_S3_PKS5_S9_S3_SB_S6_S9_S3_SB_S9_S3_PS5_21rocsparse_index_base_SD_SD_SD_bbb
    .private_segment_fixed_size: 0
    .sgpr_count:     54
    .sgpr_spill_count: 0
    .symbol:         _ZN9rocsparseL38csrgemm_numeric_fill_wf_per_row_kernelILj256ELj8ELj16ELj137EiidEEvT4_S1_PKS1_S3_NS_24const_host_device_scalarIT5_EEPKT3_S3_PKS5_S9_S3_SB_S6_S9_S3_SB_S9_S3_PS5_21rocsparse_index_base_SD_SD_SD_bbb.kd
    .uniform_work_group_size: 1
    .uses_dynamic_stack: false
    .vgpr_count:     24
    .vgpr_spill_count: 0
    .wavefront_size: 64
  - .agpr_count:     0
    .args:
      - .offset:         0
        .size:           4
        .value_kind:     by_value
      - .offset:         4
        .size:           4
        .value_kind:     by_value
      - .actual_access:  read_only
        .address_space:  global
        .offset:         8
        .size:           8
        .value_kind:     global_buffer
      - .actual_access:  read_only
        .address_space:  global
        .offset:         16
        .size:           8
        .value_kind:     global_buffer
      - .offset:         24
        .size:           8
        .value_kind:     by_value
      - .actual_access:  read_only
        .address_space:  global
        .offset:         32
        .size:           8
        .value_kind:     global_buffer
      - .actual_access:  read_only
        .address_space:  global
        .offset:         40
        .size:           8
        .value_kind:     global_buffer
      - .actual_access:  read_only
        .address_space:  global
        .offset:         48
        .size:           8
        .value_kind:     global_buffer
      - .actual_access:  read_only
        .address_space:  global
        .offset:         56
        .size:           8
        .value_kind:     global_buffer
      - .actual_access:  read_only
        .address_space:  global
        .offset:         64
        .size:           8
        .value_kind:     global_buffer
      - .actual_access:  read_only
        .address_space:  global
        .offset:         72
        .size:           8
        .value_kind:     global_buffer
      - .offset:         80
        .size:           8
        .value_kind:     by_value
      - .actual_access:  read_only
        .address_space:  global
        .offset:         88
        .size:           8
        .value_kind:     global_buffer
      - .actual_access:  read_only
        .address_space:  global
        .offset:         96
        .size:           8
        .value_kind:     global_buffer
      - .actual_access:  read_only
        .address_space:  global
        .offset:         104
        .size:           8
        .value_kind:     global_buffer
      - .actual_access:  read_only
        .address_space:  global
        .offset:         112
        .size:           8
        .value_kind:     global_buffer
      - .actual_access:  read_only
        .address_space:  global
        .offset:         120
        .size:           8
        .value_kind:     global_buffer
      - .actual_access:  write_only
        .address_space:  global
        .offset:         128
        .size:           8
        .value_kind:     global_buffer
      - .offset:         136
        .size:           4
        .value_kind:     by_value
      - .offset:         140
        .size:           4
        .value_kind:     by_value
      - .offset:         144
        .size:           4
        .value_kind:     by_value
      - .offset:         148
        .size:           4
        .value_kind:     by_value
      - .offset:         152
        .size:           1
        .value_kind:     by_value
      - .offset:         153
        .size:           1
        .value_kind:     by_value
      - .offset:         154
        .size:           1
        .value_kind:     by_value
    .group_segment_fixed_size: 6144
    .kernarg_segment_align: 8
    .kernarg_segment_size: 156
    .language:       OpenCL C
    .language_version:
      - 2
      - 0
    .max_flat_workgroup_size: 256
    .name:           _ZN9rocsparseL38csrgemm_numeric_fill_wf_per_row_kernelILj256ELj16ELj32ELj137EiidEEvT4_S1_PKS1_S3_NS_24const_host_device_scalarIT5_EEPKT3_S3_PKS5_S9_S3_SB_S6_S9_S3_SB_S9_S3_PS5_21rocsparse_index_base_SD_SD_SD_bbb
    .private_segment_fixed_size: 0
    .sgpr_count:     54
    .sgpr_spill_count: 0
    .symbol:         _ZN9rocsparseL38csrgemm_numeric_fill_wf_per_row_kernelILj256ELj16ELj32ELj137EiidEEvT4_S1_PKS1_S3_NS_24const_host_device_scalarIT5_EEPKT3_S3_PKS5_S9_S3_SB_S6_S9_S3_SB_S9_S3_PS5_21rocsparse_index_base_SD_SD_SD_bbb.kd
    .uniform_work_group_size: 1
    .uses_dynamic_stack: false
    .vgpr_count:     24
    .vgpr_spill_count: 0
    .wavefront_size: 64
  - .agpr_count:     0
    .args:
      - .offset:         0
        .size:           4
        .value_kind:     by_value
      - .actual_access:  read_only
        .address_space:  global
        .offset:         8
        .size:           8
        .value_kind:     global_buffer
      - .actual_access:  read_only
        .address_space:  global
        .offset:         16
        .size:           8
        .value_kind:     global_buffer
      - .offset:         24
        .size:           8
        .value_kind:     by_value
      - .actual_access:  read_only
        .address_space:  global
        .offset:         32
        .size:           8
        .value_kind:     global_buffer
      - .actual_access:  read_only
        .address_space:  global
        .offset:         40
        .size:           8
        .value_kind:     global_buffer
      - .actual_access:  read_only
        .address_space:  global
        .offset:         48
        .size:           8
        .value_kind:     global_buffer
      - .actual_access:  read_only
        .address_space:  global
        .offset:         56
        .size:           8
        .value_kind:     global_buffer
      - .actual_access:  read_only
        .address_space:  global
        .offset:         64
        .size:           8
        .value_kind:     global_buffer
      - .actual_access:  read_only
        .address_space:  global
        .offset:         72
        .size:           8
        .value_kind:     global_buffer
      - .offset:         80
        .size:           8
        .value_kind:     by_value
      - .actual_access:  read_only
        .address_space:  global
        .offset:         88
        .size:           8
        .value_kind:     global_buffer
      - .actual_access:  read_only
        .address_space:  global
        .offset:         96
        .size:           8
        .value_kind:     global_buffer
      - .actual_access:  read_only
        .address_space:  global
        .offset:         104
        .size:           8
        .value_kind:     global_buffer
      - .actual_access:  read_only
        .address_space:  global
        .offset:         112
        .size:           8
        .value_kind:     global_buffer
      - .actual_access:  read_only
        .address_space:  global
        .offset:         120
        .size:           8
        .value_kind:     global_buffer
      - .actual_access:  write_only
        .address_space:  global
        .offset:         128
        .size:           8
        .value_kind:     global_buffer
      - .offset:         136
        .size:           4
        .value_kind:     by_value
      - .offset:         140
        .size:           4
        .value_kind:     by_value
      - .offset:         144
        .size:           4
        .value_kind:     by_value
      - .offset:         148
        .size:           4
        .value_kind:     by_value
      - .offset:         152
        .size:           1
        .value_kind:     by_value
      - .offset:         153
        .size:           1
        .value_kind:     by_value
      - .offset:         154
        .size:           1
        .value_kind:     by_value
    .group_segment_fixed_size: 0
    .kernarg_segment_align: 8
    .kernarg_segment_size: 156
    .language:       OpenCL C
    .language_version:
      - 2
      - 0
    .max_flat_workgroup_size: 128
    .name:           _ZN9rocsparseL41csrgemm_numeric_fill_block_per_row_kernelILj128ELj16ELj256ELj137ELj32EiidEEvT5_PKS1_S3_NS_24const_host_device_scalarIT6_EEPKT4_S3_PKS5_S9_S3_SB_S6_S9_S3_SB_S9_S3_PS5_21rocsparse_index_base_SD_SD_SD_bbb
    .private_segment_fixed_size: 0
    .sgpr_count:     57
    .sgpr_spill_count: 0
    .symbol:         _ZN9rocsparseL41csrgemm_numeric_fill_block_per_row_kernelILj128ELj16ELj256ELj137ELj32EiidEEvT5_PKS1_S3_NS_24const_host_device_scalarIT6_EEPKT4_S3_PKS5_S9_S3_SB_S6_S9_S3_SB_S9_S3_PS5_21rocsparse_index_base_SD_SD_SD_bbb.kd
    .uniform_work_group_size: 1
    .uses_dynamic_stack: false
    .vgpr_count:     22
    .vgpr_spill_count: 0
    .wavefront_size: 64
  - .agpr_count:     0
    .args:
      - .offset:         0
        .size:           4
        .value_kind:     by_value
      - .actual_access:  read_only
        .address_space:  global
        .offset:         8
        .size:           8
        .value_kind:     global_buffer
      - .actual_access:  read_only
        .address_space:  global
        .offset:         16
        .size:           8
        .value_kind:     global_buffer
      - .offset:         24
        .size:           8
        .value_kind:     by_value
      - .actual_access:  read_only
        .address_space:  global
        .offset:         32
        .size:           8
        .value_kind:     global_buffer
      - .actual_access:  read_only
        .address_space:  global
        .offset:         40
        .size:           8
        .value_kind:     global_buffer
      - .actual_access:  read_only
        .address_space:  global
        .offset:         48
        .size:           8
        .value_kind:     global_buffer
      - .actual_access:  read_only
        .address_space:  global
        .offset:         56
        .size:           8
        .value_kind:     global_buffer
      - .actual_access:  read_only
        .address_space:  global
        .offset:         64
        .size:           8
        .value_kind:     global_buffer
      - .actual_access:  read_only
        .address_space:  global
        .offset:         72
        .size:           8
        .value_kind:     global_buffer
      - .offset:         80
        .size:           8
        .value_kind:     by_value
      - .actual_access:  read_only
        .address_space:  global
        .offset:         88
        .size:           8
        .value_kind:     global_buffer
      - .actual_access:  read_only
        .address_space:  global
        .offset:         96
        .size:           8
        .value_kind:     global_buffer
      - .actual_access:  read_only
        .address_space:  global
        .offset:         104
        .size:           8
        .value_kind:     global_buffer
      - .actual_access:  read_only
        .address_space:  global
        .offset:         112
        .size:           8
        .value_kind:     global_buffer
      - .actual_access:  read_only
        .address_space:  global
        .offset:         120
        .size:           8
        .value_kind:     global_buffer
      - .actual_access:  write_only
        .address_space:  global
        .offset:         128
        .size:           8
        .value_kind:     global_buffer
      - .offset:         136
        .size:           4
        .value_kind:     by_value
      - .offset:         140
        .size:           4
        .value_kind:     by_value
      - .offset:         144
        .size:           4
        .value_kind:     by_value
      - .offset:         148
        .size:           4
        .value_kind:     by_value
      - .offset:         152
        .size:           1
        .value_kind:     by_value
      - .offset:         153
        .size:           1
        .value_kind:     by_value
      - .offset:         154
        .size:           1
        .value_kind:     by_value
    .group_segment_fixed_size: 0
    .kernarg_segment_align: 8
    .kernarg_segment_size: 156
    .language:       OpenCL C
    .language_version:
      - 2
      - 0
    .max_flat_workgroup_size: 128
    .name:           _ZN9rocsparseL41csrgemm_numeric_fill_block_per_row_kernelILj128ELj16ELj256ELj137ELj64EiidEEvT5_PKS1_S3_NS_24const_host_device_scalarIT6_EEPKT4_S3_PKS5_S9_S3_SB_S6_S9_S3_SB_S9_S3_PS5_21rocsparse_index_base_SD_SD_SD_bbb
    .private_segment_fixed_size: 0
    .sgpr_count:     57
    .sgpr_spill_count: 0
    .symbol:         _ZN9rocsparseL41csrgemm_numeric_fill_block_per_row_kernelILj128ELj16ELj256ELj137ELj64EiidEEvT5_PKS1_S3_NS_24const_host_device_scalarIT6_EEPKT4_S3_PKS5_S9_S3_SB_S6_S9_S3_SB_S9_S3_PS5_21rocsparse_index_base_SD_SD_SD_bbb.kd
    .uniform_work_group_size: 1
    .uses_dynamic_stack: false
    .vgpr_count:     22
    .vgpr_spill_count: 0
    .wavefront_size: 64
  - .agpr_count:     0
    .args:
      - .offset:         0
        .size:           4
        .value_kind:     by_value
      - .actual_access:  read_only
        .address_space:  global
        .offset:         8
        .size:           8
        .value_kind:     global_buffer
      - .actual_access:  read_only
        .address_space:  global
        .offset:         16
        .size:           8
        .value_kind:     global_buffer
      - .offset:         24
        .size:           8
        .value_kind:     by_value
      - .actual_access:  read_only
        .address_space:  global
        .offset:         32
        .size:           8
        .value_kind:     global_buffer
      - .actual_access:  read_only
        .address_space:  global
        .offset:         40
        .size:           8
        .value_kind:     global_buffer
      - .actual_access:  read_only
        .address_space:  global
        .offset:         48
        .size:           8
        .value_kind:     global_buffer
      - .actual_access:  read_only
        .address_space:  global
        .offset:         56
        .size:           8
        .value_kind:     global_buffer
      - .actual_access:  read_only
        .address_space:  global
        .offset:         64
        .size:           8
        .value_kind:     global_buffer
      - .actual_access:  read_only
        .address_space:  global
        .offset:         72
        .size:           8
        .value_kind:     global_buffer
      - .offset:         80
        .size:           8
        .value_kind:     by_value
      - .actual_access:  read_only
        .address_space:  global
        .offset:         88
        .size:           8
        .value_kind:     global_buffer
      - .actual_access:  read_only
        .address_space:  global
        .offset:         96
        .size:           8
        .value_kind:     global_buffer
      - .actual_access:  read_only
        .address_space:  global
        .offset:         104
        .size:           8
        .value_kind:     global_buffer
      - .actual_access:  read_only
        .address_space:  global
        .offset:         112
        .size:           8
        .value_kind:     global_buffer
      - .actual_access:  read_only
        .address_space:  global
        .offset:         120
        .size:           8
        .value_kind:     global_buffer
      - .actual_access:  write_only
        .address_space:  global
        .offset:         128
        .size:           8
        .value_kind:     global_buffer
      - .offset:         136
        .size:           4
        .value_kind:     by_value
      - .offset:         140
        .size:           4
        .value_kind:     by_value
      - .offset:         144
        .size:           4
        .value_kind:     by_value
      - .offset:         148
        .size:           4
        .value_kind:     by_value
      - .offset:         152
        .size:           1
        .value_kind:     by_value
      - .offset:         153
        .size:           1
        .value_kind:     by_value
      - .offset:         154
        .size:           1
        .value_kind:     by_value
    .group_segment_fixed_size: 0
    .kernarg_segment_align: 8
    .kernarg_segment_size: 156
    .language:       OpenCL C
    .language_version:
      - 2
      - 0
    .max_flat_workgroup_size: 256
    .name:           _ZN9rocsparseL41csrgemm_numeric_fill_block_per_row_kernelILj256ELj32ELj512ELj137ELj32EiidEEvT5_PKS1_S3_NS_24const_host_device_scalarIT6_EEPKT4_S3_PKS5_S9_S3_SB_S6_S9_S3_SB_S9_S3_PS5_21rocsparse_index_base_SD_SD_SD_bbb
    .private_segment_fixed_size: 0
    .sgpr_count:     57
    .sgpr_spill_count: 0
    .symbol:         _ZN9rocsparseL41csrgemm_numeric_fill_block_per_row_kernelILj256ELj32ELj512ELj137ELj32EiidEEvT5_PKS1_S3_NS_24const_host_device_scalarIT6_EEPKT4_S3_PKS5_S9_S3_SB_S6_S9_S3_SB_S9_S3_PS5_21rocsparse_index_base_SD_SD_SD_bbb.kd
    .uniform_work_group_size: 1
    .uses_dynamic_stack: false
    .vgpr_count:     22
    .vgpr_spill_count: 0
    .wavefront_size: 64
  - .agpr_count:     0
    .args:
      - .offset:         0
        .size:           4
        .value_kind:     by_value
      - .actual_access:  read_only
        .address_space:  global
        .offset:         8
        .size:           8
        .value_kind:     global_buffer
      - .actual_access:  read_only
        .address_space:  global
        .offset:         16
        .size:           8
        .value_kind:     global_buffer
      - .offset:         24
        .size:           8
        .value_kind:     by_value
      - .actual_access:  read_only
        .address_space:  global
        .offset:         32
        .size:           8
        .value_kind:     global_buffer
      - .actual_access:  read_only
        .address_space:  global
        .offset:         40
        .size:           8
        .value_kind:     global_buffer
      - .actual_access:  read_only
        .address_space:  global
        .offset:         48
        .size:           8
        .value_kind:     global_buffer
      - .actual_access:  read_only
        .address_space:  global
        .offset:         56
        .size:           8
        .value_kind:     global_buffer
      - .actual_access:  read_only
        .address_space:  global
        .offset:         64
        .size:           8
        .value_kind:     global_buffer
      - .actual_access:  read_only
        .address_space:  global
        .offset:         72
        .size:           8
        .value_kind:     global_buffer
      - .offset:         80
        .size:           8
        .value_kind:     by_value
      - .actual_access:  read_only
        .address_space:  global
        .offset:         88
        .size:           8
        .value_kind:     global_buffer
      - .actual_access:  read_only
        .address_space:  global
        .offset:         96
        .size:           8
        .value_kind:     global_buffer
      - .actual_access:  read_only
        .address_space:  global
        .offset:         104
        .size:           8
        .value_kind:     global_buffer
      - .actual_access:  read_only
        .address_space:  global
        .offset:         112
        .size:           8
        .value_kind:     global_buffer
      - .actual_access:  read_only
        .address_space:  global
        .offset:         120
        .size:           8
        .value_kind:     global_buffer
      - .actual_access:  write_only
        .address_space:  global
        .offset:         128
        .size:           8
        .value_kind:     global_buffer
      - .offset:         136
        .size:           4
        .value_kind:     by_value
      - .offset:         140
        .size:           4
        .value_kind:     by_value
      - .offset:         144
        .size:           4
        .value_kind:     by_value
      - .offset:         148
        .size:           4
        .value_kind:     by_value
      - .offset:         152
        .size:           1
        .value_kind:     by_value
      - .offset:         153
        .size:           1
        .value_kind:     by_value
      - .offset:         154
        .size:           1
        .value_kind:     by_value
    .group_segment_fixed_size: 0
    .kernarg_segment_align: 8
    .kernarg_segment_size: 156
    .language:       OpenCL C
    .language_version:
      - 2
      - 0
    .max_flat_workgroup_size: 256
    .name:           _ZN9rocsparseL41csrgemm_numeric_fill_block_per_row_kernelILj256ELj32ELj512ELj137ELj64EiidEEvT5_PKS1_S3_NS_24const_host_device_scalarIT6_EEPKT4_S3_PKS5_S9_S3_SB_S6_S9_S3_SB_S9_S3_PS5_21rocsparse_index_base_SD_SD_SD_bbb
    .private_segment_fixed_size: 0
    .sgpr_count:     57
    .sgpr_spill_count: 0
    .symbol:         _ZN9rocsparseL41csrgemm_numeric_fill_block_per_row_kernelILj256ELj32ELj512ELj137ELj64EiidEEvT5_PKS1_S3_NS_24const_host_device_scalarIT6_EEPKT4_S3_PKS5_S9_S3_SB_S6_S9_S3_SB_S9_S3_PS5_21rocsparse_index_base_SD_SD_SD_bbb.kd
    .uniform_work_group_size: 1
    .uses_dynamic_stack: false
    .vgpr_count:     22
    .vgpr_spill_count: 0
    .wavefront_size: 64
  - .agpr_count:     0
    .args:
      - .offset:         0
        .size:           4
        .value_kind:     by_value
      - .actual_access:  read_only
        .address_space:  global
        .offset:         8
        .size:           8
        .value_kind:     global_buffer
      - .actual_access:  read_only
        .address_space:  global
        .offset:         16
        .size:           8
        .value_kind:     global_buffer
      - .offset:         24
        .size:           8
        .value_kind:     by_value
      - .actual_access:  read_only
        .address_space:  global
        .offset:         32
        .size:           8
        .value_kind:     global_buffer
      - .actual_access:  read_only
        .address_space:  global
        .offset:         40
        .size:           8
        .value_kind:     global_buffer
      - .actual_access:  read_only
        .address_space:  global
        .offset:         48
        .size:           8
        .value_kind:     global_buffer
      - .actual_access:  read_only
        .address_space:  global
        .offset:         56
        .size:           8
        .value_kind:     global_buffer
      - .actual_access:  read_only
        .address_space:  global
        .offset:         64
        .size:           8
        .value_kind:     global_buffer
      - .actual_access:  read_only
        .address_space:  global
        .offset:         72
        .size:           8
        .value_kind:     global_buffer
      - .offset:         80
        .size:           8
        .value_kind:     by_value
      - .actual_access:  read_only
        .address_space:  global
        .offset:         88
        .size:           8
        .value_kind:     global_buffer
      - .actual_access:  read_only
        .address_space:  global
        .offset:         96
        .size:           8
        .value_kind:     global_buffer
      - .actual_access:  read_only
        .address_space:  global
        .offset:         104
        .size:           8
        .value_kind:     global_buffer
      - .actual_access:  read_only
        .address_space:  global
        .offset:         112
        .size:           8
        .value_kind:     global_buffer
      - .actual_access:  read_only
        .address_space:  global
        .offset:         120
        .size:           8
        .value_kind:     global_buffer
      - .actual_access:  write_only
        .address_space:  global
        .offset:         128
        .size:           8
        .value_kind:     global_buffer
      - .offset:         136
        .size:           4
        .value_kind:     by_value
      - .offset:         140
        .size:           4
        .value_kind:     by_value
      - .offset:         144
        .size:           4
        .value_kind:     by_value
      - .offset:         148
        .size:           4
        .value_kind:     by_value
      - .offset:         152
        .size:           1
        .value_kind:     by_value
      - .offset:         153
        .size:           1
        .value_kind:     by_value
      - .offset:         154
        .size:           1
        .value_kind:     by_value
    .group_segment_fixed_size: 0
    .kernarg_segment_align: 8
    .kernarg_segment_size: 156
    .language:       OpenCL C
    .language_version:
      - 2
      - 0
    .max_flat_workgroup_size: 512
    .name:           _ZN9rocsparseL41csrgemm_numeric_fill_block_per_row_kernelILj512ELj32ELj1024ELj137ELj32EiidEEvT5_PKS1_S3_NS_24const_host_device_scalarIT6_EEPKT4_S3_PKS5_S9_S3_SB_S6_S9_S3_SB_S9_S3_PS5_21rocsparse_index_base_SD_SD_SD_bbb
    .private_segment_fixed_size: 0
    .sgpr_count:     56
    .sgpr_spill_count: 0
    .symbol:         _ZN9rocsparseL41csrgemm_numeric_fill_block_per_row_kernelILj512ELj32ELj1024ELj137ELj32EiidEEvT5_PKS1_S3_NS_24const_host_device_scalarIT6_EEPKT4_S3_PKS5_S9_S3_SB_S6_S9_S3_SB_S9_S3_PS5_21rocsparse_index_base_SD_SD_SD_bbb.kd
    .uniform_work_group_size: 1
    .uses_dynamic_stack: false
    .vgpr_count:     22
    .vgpr_spill_count: 0
    .wavefront_size: 64
  - .agpr_count:     0
    .args:
      - .offset:         0
        .size:           4
        .value_kind:     by_value
      - .actual_access:  read_only
        .address_space:  global
        .offset:         8
        .size:           8
        .value_kind:     global_buffer
      - .actual_access:  read_only
        .address_space:  global
        .offset:         16
        .size:           8
        .value_kind:     global_buffer
      - .offset:         24
        .size:           8
        .value_kind:     by_value
      - .actual_access:  read_only
        .address_space:  global
        .offset:         32
        .size:           8
        .value_kind:     global_buffer
      - .actual_access:  read_only
        .address_space:  global
        .offset:         40
        .size:           8
        .value_kind:     global_buffer
      - .actual_access:  read_only
        .address_space:  global
        .offset:         48
        .size:           8
        .value_kind:     global_buffer
      - .actual_access:  read_only
        .address_space:  global
        .offset:         56
        .size:           8
        .value_kind:     global_buffer
      - .actual_access:  read_only
        .address_space:  global
        .offset:         64
        .size:           8
        .value_kind:     global_buffer
      - .actual_access:  read_only
        .address_space:  global
        .offset:         72
        .size:           8
        .value_kind:     global_buffer
      - .offset:         80
        .size:           8
        .value_kind:     by_value
      - .actual_access:  read_only
        .address_space:  global
        .offset:         88
        .size:           8
        .value_kind:     global_buffer
      - .actual_access:  read_only
        .address_space:  global
        .offset:         96
        .size:           8
        .value_kind:     global_buffer
      - .actual_access:  read_only
        .address_space:  global
        .offset:         104
        .size:           8
        .value_kind:     global_buffer
      - .actual_access:  read_only
        .address_space:  global
        .offset:         112
        .size:           8
        .value_kind:     global_buffer
      - .actual_access:  read_only
        .address_space:  global
        .offset:         120
        .size:           8
        .value_kind:     global_buffer
      - .actual_access:  write_only
        .address_space:  global
        .offset:         128
        .size:           8
        .value_kind:     global_buffer
      - .offset:         136
        .size:           4
        .value_kind:     by_value
      - .offset:         140
        .size:           4
        .value_kind:     by_value
      - .offset:         144
        .size:           4
        .value_kind:     by_value
      - .offset:         148
        .size:           4
        .value_kind:     by_value
      - .offset:         152
        .size:           1
        .value_kind:     by_value
      - .offset:         153
        .size:           1
        .value_kind:     by_value
      - .offset:         154
        .size:           1
        .value_kind:     by_value
    .group_segment_fixed_size: 0
    .kernarg_segment_align: 8
    .kernarg_segment_size: 156
    .language:       OpenCL C
    .language_version:
      - 2
      - 0
    .max_flat_workgroup_size: 512
    .name:           _ZN9rocsparseL41csrgemm_numeric_fill_block_per_row_kernelILj512ELj32ELj1024ELj137ELj64EiidEEvT5_PKS1_S3_NS_24const_host_device_scalarIT6_EEPKT4_S3_PKS5_S9_S3_SB_S6_S9_S3_SB_S9_S3_PS5_21rocsparse_index_base_SD_SD_SD_bbb
    .private_segment_fixed_size: 0
    .sgpr_count:     55
    .sgpr_spill_count: 0
    .symbol:         _ZN9rocsparseL41csrgemm_numeric_fill_block_per_row_kernelILj512ELj32ELj1024ELj137ELj64EiidEEvT5_PKS1_S3_NS_24const_host_device_scalarIT6_EEPKT4_S3_PKS5_S9_S3_SB_S6_S9_S3_SB_S9_S3_PS5_21rocsparse_index_base_SD_SD_SD_bbb.kd
    .uniform_work_group_size: 1
    .uses_dynamic_stack: false
    .vgpr_count:     22
    .vgpr_spill_count: 0
    .wavefront_size: 64
  - .agpr_count:     0
    .args:
      - .offset:         0
        .size:           4
        .value_kind:     by_value
      - .actual_access:  read_only
        .address_space:  global
        .offset:         8
        .size:           8
        .value_kind:     global_buffer
      - .actual_access:  read_only
        .address_space:  global
        .offset:         16
        .size:           8
        .value_kind:     global_buffer
      - .offset:         24
        .size:           8
        .value_kind:     by_value
      - .actual_access:  read_only
        .address_space:  global
        .offset:         32
        .size:           8
        .value_kind:     global_buffer
      - .actual_access:  read_only
        .address_space:  global
        .offset:         40
        .size:           8
        .value_kind:     global_buffer
      - .actual_access:  read_only
        .address_space:  global
        .offset:         48
        .size:           8
        .value_kind:     global_buffer
      - .actual_access:  read_only
        .address_space:  global
        .offset:         56
        .size:           8
        .value_kind:     global_buffer
      - .actual_access:  read_only
        .address_space:  global
        .offset:         64
        .size:           8
        .value_kind:     global_buffer
      - .actual_access:  read_only
        .address_space:  global
        .offset:         72
        .size:           8
        .value_kind:     global_buffer
      - .offset:         80
        .size:           8
        .value_kind:     by_value
      - .actual_access:  read_only
        .address_space:  global
        .offset:         88
        .size:           8
        .value_kind:     global_buffer
      - .actual_access:  read_only
        .address_space:  global
        .offset:         96
        .size:           8
        .value_kind:     global_buffer
      - .actual_access:  read_only
        .address_space:  global
        .offset:         104
        .size:           8
        .value_kind:     global_buffer
      - .actual_access:  read_only
        .address_space:  global
        .offset:         112
        .size:           8
        .value_kind:     global_buffer
      - .actual_access:  read_only
        .address_space:  global
        .offset:         120
        .size:           8
        .value_kind:     global_buffer
      - .actual_access:  write_only
        .address_space:  global
        .offset:         128
        .size:           8
        .value_kind:     global_buffer
      - .offset:         136
        .size:           4
        .value_kind:     by_value
      - .offset:         140
        .size:           4
        .value_kind:     by_value
      - .offset:         144
        .size:           4
        .value_kind:     by_value
      - .offset:         148
        .size:           4
        .value_kind:     by_value
      - .offset:         152
        .size:           1
        .value_kind:     by_value
      - .offset:         153
        .size:           1
        .value_kind:     by_value
      - .offset:         154
        .size:           1
        .value_kind:     by_value
    .group_segment_fixed_size: 0
    .kernarg_segment_align: 8
    .kernarg_segment_size: 156
    .language:       OpenCL C
    .language_version:
      - 2
      - 0
    .max_flat_workgroup_size: 1024
    .name:           _ZN9rocsparseL41csrgemm_numeric_fill_block_per_row_kernelILj1024ELj32ELj2048ELj137ELj32EiidEEvT5_PKS1_S3_NS_24const_host_device_scalarIT6_EEPKT4_S3_PKS5_S9_S3_SB_S6_S9_S3_SB_S9_S3_PS5_21rocsparse_index_base_SD_SD_SD_bbb
    .private_segment_fixed_size: 0
    .sgpr_count:     84
    .sgpr_spill_count: 0
    .symbol:         _ZN9rocsparseL41csrgemm_numeric_fill_block_per_row_kernelILj1024ELj32ELj2048ELj137ELj32EiidEEvT5_PKS1_S3_NS_24const_host_device_scalarIT6_EEPKT4_S3_PKS5_S9_S3_SB_S6_S9_S3_SB_S9_S3_PS5_21rocsparse_index_base_SD_SD_SD_bbb.kd
    .uniform_work_group_size: 1
    .uses_dynamic_stack: false
    .vgpr_count:     22
    .vgpr_spill_count: 0
    .wavefront_size: 64
  - .agpr_count:     0
    .args:
      - .offset:         0
        .size:           4
        .value_kind:     by_value
      - .actual_access:  read_only
        .address_space:  global
        .offset:         8
        .size:           8
        .value_kind:     global_buffer
      - .actual_access:  read_only
        .address_space:  global
        .offset:         16
        .size:           8
        .value_kind:     global_buffer
      - .offset:         24
        .size:           8
        .value_kind:     by_value
      - .actual_access:  read_only
        .address_space:  global
        .offset:         32
        .size:           8
        .value_kind:     global_buffer
      - .actual_access:  read_only
        .address_space:  global
        .offset:         40
        .size:           8
        .value_kind:     global_buffer
      - .actual_access:  read_only
        .address_space:  global
        .offset:         48
        .size:           8
        .value_kind:     global_buffer
      - .actual_access:  read_only
        .address_space:  global
        .offset:         56
        .size:           8
        .value_kind:     global_buffer
      - .actual_access:  read_only
        .address_space:  global
        .offset:         64
        .size:           8
        .value_kind:     global_buffer
      - .actual_access:  read_only
        .address_space:  global
        .offset:         72
        .size:           8
        .value_kind:     global_buffer
      - .offset:         80
        .size:           8
        .value_kind:     by_value
      - .actual_access:  read_only
        .address_space:  global
        .offset:         88
        .size:           8
        .value_kind:     global_buffer
      - .actual_access:  read_only
        .address_space:  global
        .offset:         96
        .size:           8
        .value_kind:     global_buffer
      - .actual_access:  read_only
        .address_space:  global
        .offset:         104
        .size:           8
        .value_kind:     global_buffer
      - .actual_access:  read_only
        .address_space:  global
        .offset:         112
        .size:           8
        .value_kind:     global_buffer
      - .actual_access:  read_only
        .address_space:  global
        .offset:         120
        .size:           8
        .value_kind:     global_buffer
      - .actual_access:  write_only
        .address_space:  global
        .offset:         128
        .size:           8
        .value_kind:     global_buffer
      - .offset:         136
        .size:           4
        .value_kind:     by_value
      - .offset:         140
        .size:           4
        .value_kind:     by_value
      - .offset:         144
        .size:           4
        .value_kind:     by_value
      - .offset:         148
        .size:           4
        .value_kind:     by_value
      - .offset:         152
        .size:           1
        .value_kind:     by_value
      - .offset:         153
        .size:           1
        .value_kind:     by_value
      - .offset:         154
        .size:           1
        .value_kind:     by_value
    .group_segment_fixed_size: 0
    .kernarg_segment_align: 8
    .kernarg_segment_size: 156
    .language:       OpenCL C
    .language_version:
      - 2
      - 0
    .max_flat_workgroup_size: 1024
    .name:           _ZN9rocsparseL41csrgemm_numeric_fill_block_per_row_kernelILj1024ELj32ELj2048ELj137ELj64EiidEEvT5_PKS1_S3_NS_24const_host_device_scalarIT6_EEPKT4_S3_PKS5_S9_S3_SB_S6_S9_S3_SB_S9_S3_PS5_21rocsparse_index_base_SD_SD_SD_bbb
    .private_segment_fixed_size: 0
    .sgpr_count:     56
    .sgpr_spill_count: 0
    .symbol:         _ZN9rocsparseL41csrgemm_numeric_fill_block_per_row_kernelILj1024ELj32ELj2048ELj137ELj64EiidEEvT5_PKS1_S3_NS_24const_host_device_scalarIT6_EEPKT4_S3_PKS5_S9_S3_SB_S6_S9_S3_SB_S9_S3_PS5_21rocsparse_index_base_SD_SD_SD_bbb.kd
    .uniform_work_group_size: 1
    .uses_dynamic_stack: false
    .vgpr_count:     22
    .vgpr_spill_count: 0
    .wavefront_size: 64
  - .agpr_count:     0
    .args:
      - .offset:         0
        .size:           4
        .value_kind:     by_value
      - .actual_access:  read_only
        .address_space:  global
        .offset:         8
        .size:           8
        .value_kind:     global_buffer
      - .actual_access:  read_only
        .address_space:  global
        .offset:         16
        .size:           8
        .value_kind:     global_buffer
      - .offset:         24
        .size:           8
        .value_kind:     by_value
      - .actual_access:  read_only
        .address_space:  global
        .offset:         32
        .size:           8
        .value_kind:     global_buffer
      - .actual_access:  read_only
        .address_space:  global
        .offset:         40
        .size:           8
        .value_kind:     global_buffer
      - .actual_access:  read_only
        .address_space:  global
        .offset:         48
        .size:           8
        .value_kind:     global_buffer
      - .actual_access:  read_only
        .address_space:  global
        .offset:         56
        .size:           8
        .value_kind:     global_buffer
      - .actual_access:  read_only
        .address_space:  global
        .offset:         64
        .size:           8
        .value_kind:     global_buffer
      - .actual_access:  read_only
        .address_space:  global
        .offset:         72
        .size:           8
        .value_kind:     global_buffer
      - .offset:         80
        .size:           8
        .value_kind:     by_value
      - .actual_access:  read_only
        .address_space:  global
        .offset:         88
        .size:           8
        .value_kind:     global_buffer
      - .actual_access:  read_only
        .address_space:  global
        .offset:         96
        .size:           8
        .value_kind:     global_buffer
      - .actual_access:  read_only
        .address_space:  global
        .offset:         104
        .size:           8
        .value_kind:     global_buffer
      - .actual_access:  read_only
        .address_space:  global
        .offset:         112
        .size:           8
        .value_kind:     global_buffer
      - .actual_access:  read_only
        .address_space:  global
        .offset:         120
        .size:           8
        .value_kind:     global_buffer
      - .actual_access:  write_only
        .address_space:  global
        .offset:         128
        .size:           8
        .value_kind:     global_buffer
      - .offset:         136
        .size:           4
        .value_kind:     by_value
      - .offset:         140
        .size:           4
        .value_kind:     by_value
      - .offset:         144
        .size:           4
        .value_kind:     by_value
      - .offset:         148
        .size:           4
        .value_kind:     by_value
      - .offset:         152
        .size:           1
        .value_kind:     by_value
      - .offset:         153
        .size:           1
        .value_kind:     by_value
      - .offset:         154
        .size:           1
        .value_kind:     by_value
    .group_segment_fixed_size: 0
    .kernarg_segment_align: 8
    .kernarg_segment_size: 156
    .language:       OpenCL C
    .language_version:
      - 2
      - 0
    .max_flat_workgroup_size: 1024
    .name:           _ZN9rocsparseL41csrgemm_numeric_fill_block_per_row_kernelILj1024ELj64ELj4096ELj137ELj32EiidEEvT5_PKS1_S3_NS_24const_host_device_scalarIT6_EEPKT4_S3_PKS5_S9_S3_SB_S6_S9_S3_SB_S9_S3_PS5_21rocsparse_index_base_SD_SD_SD_bbb
    .private_segment_fixed_size: 0
    .sgpr_count:     84
    .sgpr_spill_count: 0
    .symbol:         _ZN9rocsparseL41csrgemm_numeric_fill_block_per_row_kernelILj1024ELj64ELj4096ELj137ELj32EiidEEvT5_PKS1_S3_NS_24const_host_device_scalarIT6_EEPKT4_S3_PKS5_S9_S3_SB_S6_S9_S3_SB_S9_S3_PS5_21rocsparse_index_base_SD_SD_SD_bbb.kd
    .uniform_work_group_size: 1
    .uses_dynamic_stack: false
    .vgpr_count:     22
    .vgpr_spill_count: 0
    .wavefront_size: 64
  - .agpr_count:     0
    .args:
      - .offset:         0
        .size:           4
        .value_kind:     by_value
      - .actual_access:  read_only
        .address_space:  global
        .offset:         8
        .size:           8
        .value_kind:     global_buffer
      - .actual_access:  read_only
        .address_space:  global
        .offset:         16
        .size:           8
        .value_kind:     global_buffer
      - .offset:         24
        .size:           8
        .value_kind:     by_value
      - .actual_access:  read_only
        .address_space:  global
        .offset:         32
        .size:           8
        .value_kind:     global_buffer
      - .actual_access:  read_only
        .address_space:  global
        .offset:         40
        .size:           8
        .value_kind:     global_buffer
      - .actual_access:  read_only
        .address_space:  global
        .offset:         48
        .size:           8
        .value_kind:     global_buffer
      - .actual_access:  read_only
        .address_space:  global
        .offset:         56
        .size:           8
        .value_kind:     global_buffer
      - .actual_access:  read_only
        .address_space:  global
        .offset:         64
        .size:           8
        .value_kind:     global_buffer
      - .actual_access:  read_only
        .address_space:  global
        .offset:         72
        .size:           8
        .value_kind:     global_buffer
      - .offset:         80
        .size:           8
        .value_kind:     by_value
      - .actual_access:  read_only
        .address_space:  global
        .offset:         88
        .size:           8
        .value_kind:     global_buffer
      - .actual_access:  read_only
        .address_space:  global
        .offset:         96
        .size:           8
        .value_kind:     global_buffer
      - .actual_access:  read_only
        .address_space:  global
        .offset:         104
        .size:           8
        .value_kind:     global_buffer
      - .actual_access:  read_only
        .address_space:  global
        .offset:         112
        .size:           8
        .value_kind:     global_buffer
      - .actual_access:  read_only
        .address_space:  global
        .offset:         120
        .size:           8
        .value_kind:     global_buffer
      - .actual_access:  write_only
        .address_space:  global
        .offset:         128
        .size:           8
        .value_kind:     global_buffer
      - .offset:         136
        .size:           4
        .value_kind:     by_value
      - .offset:         140
        .size:           4
        .value_kind:     by_value
      - .offset:         144
        .size:           4
        .value_kind:     by_value
      - .offset:         148
        .size:           4
        .value_kind:     by_value
      - .offset:         152
        .size:           1
        .value_kind:     by_value
      - .offset:         153
        .size:           1
        .value_kind:     by_value
      - .offset:         154
        .size:           1
        .value_kind:     by_value
    .group_segment_fixed_size: 0
    .kernarg_segment_align: 8
    .kernarg_segment_size: 156
    .language:       OpenCL C
    .language_version:
      - 2
      - 0
    .max_flat_workgroup_size: 1024
    .name:           _ZN9rocsparseL41csrgemm_numeric_fill_block_per_row_kernelILj1024ELj64ELj4096ELj137ELj64EiidEEvT5_PKS1_S3_NS_24const_host_device_scalarIT6_EEPKT4_S3_PKS5_S9_S3_SB_S6_S9_S3_SB_S9_S3_PS5_21rocsparse_index_base_SD_SD_SD_bbb
    .private_segment_fixed_size: 0
    .sgpr_count:     56
    .sgpr_spill_count: 0
    .symbol:         _ZN9rocsparseL41csrgemm_numeric_fill_block_per_row_kernelILj1024ELj64ELj4096ELj137ELj64EiidEEvT5_PKS1_S3_NS_24const_host_device_scalarIT6_EEPKT4_S3_PKS5_S9_S3_SB_S6_S9_S3_SB_S9_S3_PS5_21rocsparse_index_base_SD_SD_SD_bbb.kd
    .uniform_work_group_size: 1
    .uses_dynamic_stack: false
    .vgpr_count:     22
    .vgpr_spill_count: 0
    .wavefront_size: 64
  - .agpr_count:     0
    .args:
      - .offset:         0
        .size:           4
        .value_kind:     by_value
      - .actual_access:  read_only
        .address_space:  global
        .offset:         8
        .size:           8
        .value_kind:     global_buffer
      - .actual_access:  read_only
        .address_space:  global
        .offset:         16
        .size:           8
        .value_kind:     global_buffer
      - .offset:         24
        .size:           8
        .value_kind:     by_value
      - .actual_access:  read_only
        .address_space:  global
        .offset:         32
        .size:           8
        .value_kind:     global_buffer
      - .actual_access:  read_only
        .address_space:  global
        .offset:         40
        .size:           8
        .value_kind:     global_buffer
      - .actual_access:  read_only
        .address_space:  global
        .offset:         48
        .size:           8
        .value_kind:     global_buffer
      - .actual_access:  read_only
        .address_space:  global
        .offset:         56
        .size:           8
        .value_kind:     global_buffer
      - .actual_access:  read_only
        .address_space:  global
        .offset:         64
        .size:           8
        .value_kind:     global_buffer
      - .actual_access:  read_only
        .address_space:  global
        .offset:         72
        .size:           8
        .value_kind:     global_buffer
      - .offset:         80
        .size:           8
        .value_kind:     by_value
      - .actual_access:  read_only
        .address_space:  global
        .offset:         88
        .size:           8
        .value_kind:     global_buffer
      - .actual_access:  read_only
        .address_space:  global
        .offset:         96
        .size:           8
        .value_kind:     global_buffer
      - .actual_access:  read_only
        .address_space:  global
        .offset:         104
        .size:           8
        .value_kind:     global_buffer
      - .actual_access:  read_only
        .address_space:  global
        .offset:         112
        .size:           8
        .value_kind:     global_buffer
      - .actual_access:  read_only
        .address_space:  global
        .offset:         120
        .size:           8
        .value_kind:     global_buffer
      - .actual_access:  write_only
        .address_space:  global
        .offset:         128
        .size:           8
        .value_kind:     global_buffer
      - .offset:         136
        .size:           4
        .value_kind:     by_value
      - .offset:         140
        .size:           4
        .value_kind:     by_value
      - .offset:         144
        .size:           4
        .value_kind:     by_value
      - .offset:         148
        .size:           4
        .value_kind:     by_value
      - .offset:         152
        .size:           1
        .value_kind:     by_value
      - .offset:         153
        .size:           1
        .value_kind:     by_value
      - .offset:         154
        .size:           1
        .value_kind:     by_value
    .group_segment_fixed_size: 0
    .kernarg_segment_align: 8
    .kernarg_segment_size: 156
    .language:       OpenCL C
    .language_version:
      - 2
      - 0
    .max_flat_workgroup_size: 1024
    .name:           _ZN9rocsparseL41csrgemm_numeric_fill_block_per_row_kernelILj1024ELj64ELj8192ELj137ELj32EiidEEvT5_PKS1_S3_NS_24const_host_device_scalarIT6_EEPKT4_S3_PKS5_S9_S3_SB_S6_S9_S3_SB_S9_S3_PS5_21rocsparse_index_base_SD_SD_SD_bbb
    .private_segment_fixed_size: 0
    .sgpr_count:     106
    .sgpr_spill_count: 15
    .symbol:         _ZN9rocsparseL41csrgemm_numeric_fill_block_per_row_kernelILj1024ELj64ELj8192ELj137ELj32EiidEEvT5_PKS1_S3_NS_24const_host_device_scalarIT6_EEPKT4_S3_PKS5_S9_S3_SB_S6_S9_S3_SB_S9_S3_PS5_21rocsparse_index_base_SD_SD_SD_bbb.kd
    .uniform_work_group_size: 1
    .uses_dynamic_stack: false
    .vgpr_count:     23
    .vgpr_spill_count: 0
    .wavefront_size: 64
  - .agpr_count:     0
    .args:
      - .offset:         0
        .size:           4
        .value_kind:     by_value
      - .actual_access:  read_only
        .address_space:  global
        .offset:         8
        .size:           8
        .value_kind:     global_buffer
      - .actual_access:  read_only
        .address_space:  global
        .offset:         16
        .size:           8
        .value_kind:     global_buffer
      - .offset:         24
        .size:           8
        .value_kind:     by_value
      - .actual_access:  read_only
        .address_space:  global
        .offset:         32
        .size:           8
        .value_kind:     global_buffer
      - .actual_access:  read_only
        .address_space:  global
        .offset:         40
        .size:           8
        .value_kind:     global_buffer
      - .actual_access:  read_only
        .address_space:  global
        .offset:         48
        .size:           8
        .value_kind:     global_buffer
      - .actual_access:  read_only
        .address_space:  global
        .offset:         56
        .size:           8
        .value_kind:     global_buffer
      - .actual_access:  read_only
        .address_space:  global
        .offset:         64
        .size:           8
        .value_kind:     global_buffer
      - .actual_access:  read_only
        .address_space:  global
        .offset:         72
        .size:           8
        .value_kind:     global_buffer
      - .offset:         80
        .size:           8
        .value_kind:     by_value
      - .actual_access:  read_only
        .address_space:  global
        .offset:         88
        .size:           8
        .value_kind:     global_buffer
      - .actual_access:  read_only
        .address_space:  global
        .offset:         96
        .size:           8
        .value_kind:     global_buffer
      - .actual_access:  read_only
        .address_space:  global
        .offset:         104
        .size:           8
        .value_kind:     global_buffer
      - .actual_access:  read_only
        .address_space:  global
        .offset:         112
        .size:           8
        .value_kind:     global_buffer
      - .actual_access:  read_only
        .address_space:  global
        .offset:         120
        .size:           8
        .value_kind:     global_buffer
      - .actual_access:  write_only
        .address_space:  global
        .offset:         128
        .size:           8
        .value_kind:     global_buffer
      - .offset:         136
        .size:           4
        .value_kind:     by_value
      - .offset:         140
        .size:           4
        .value_kind:     by_value
      - .offset:         144
        .size:           4
        .value_kind:     by_value
      - .offset:         148
        .size:           4
        .value_kind:     by_value
      - .offset:         152
        .size:           1
        .value_kind:     by_value
      - .offset:         153
        .size:           1
        .value_kind:     by_value
      - .offset:         154
        .size:           1
        .value_kind:     by_value
    .group_segment_fixed_size: 0
    .kernarg_segment_align: 8
    .kernarg_segment_size: 156
    .language:       OpenCL C
    .language_version:
      - 2
      - 0
    .max_flat_workgroup_size: 1024
    .name:           _ZN9rocsparseL41csrgemm_numeric_fill_block_per_row_kernelILj1024ELj64ELj8192ELj137ELj64EiidEEvT5_PKS1_S3_NS_24const_host_device_scalarIT6_EEPKT4_S3_PKS5_S9_S3_SB_S6_S9_S3_SB_S9_S3_PS5_21rocsparse_index_base_SD_SD_SD_bbb
    .private_segment_fixed_size: 0
    .sgpr_count:     67
    .sgpr_spill_count: 0
    .symbol:         _ZN9rocsparseL41csrgemm_numeric_fill_block_per_row_kernelILj1024ELj64ELj8192ELj137ELj64EiidEEvT5_PKS1_S3_NS_24const_host_device_scalarIT6_EEPKT4_S3_PKS5_S9_S3_SB_S6_S9_S3_SB_S9_S3_PS5_21rocsparse_index_base_SD_SD_SD_bbb.kd
    .uniform_work_group_size: 1
    .uses_dynamic_stack: false
    .vgpr_count:     22
    .vgpr_spill_count: 0
    .wavefront_size: 64
  - .agpr_count:     0
    .args:
      - .offset:         0
        .size:           4
        .value_kind:     by_value
      - .actual_access:  read_only
        .address_space:  global
        .offset:         8
        .size:           8
        .value_kind:     global_buffer
      - .actual_access:  read_only
        .address_space:  global
        .offset:         16
        .size:           8
        .value_kind:     global_buffer
      - .offset:         24
        .size:           8
        .value_kind:     by_value
      - .actual_access:  read_only
        .address_space:  global
        .offset:         32
        .size:           8
        .value_kind:     global_buffer
      - .actual_access:  read_only
        .address_space:  global
        .offset:         40
        .size:           8
        .value_kind:     global_buffer
      - .actual_access:  read_only
        .address_space:  global
        .offset:         48
        .size:           8
        .value_kind:     global_buffer
      - .actual_access:  read_only
        .address_space:  global
        .offset:         56
        .size:           8
        .value_kind:     global_buffer
      - .actual_access:  read_only
        .address_space:  global
        .offset:         64
        .size:           8
        .value_kind:     global_buffer
      - .actual_access:  read_only
        .address_space:  global
        .offset:         72
        .size:           8
        .value_kind:     global_buffer
      - .offset:         80
        .size:           8
        .value_kind:     by_value
      - .actual_access:  read_only
        .address_space:  global
        .offset:         88
        .size:           8
        .value_kind:     global_buffer
      - .actual_access:  read_only
        .address_space:  global
        .offset:         96
        .size:           8
        .value_kind:     global_buffer
      - .actual_access:  read_only
        .address_space:  global
        .offset:         104
        .size:           8
        .value_kind:     global_buffer
      - .actual_access:  read_only
        .address_space:  global
        .offset:         112
        .size:           8
        .value_kind:     global_buffer
      - .actual_access:  read_only
        .address_space:  global
        .offset:         120
        .size:           8
        .value_kind:     global_buffer
      - .actual_access:  write_only
        .address_space:  global
        .offset:         128
        .size:           8
        .value_kind:     global_buffer
      - .offset:         136
        .size:           4
        .value_kind:     by_value
      - .offset:         140
        .size:           4
        .value_kind:     by_value
      - .offset:         144
        .size:           4
        .value_kind:     by_value
      - .offset:         148
        .size:           4
        .value_kind:     by_value
      - .offset:         152
        .size:           1
        .value_kind:     by_value
      - .offset:         153
        .size:           1
        .value_kind:     by_value
      - .offset:         154
        .size:           1
        .value_kind:     by_value
    .group_segment_fixed_size: 0
    .kernarg_segment_align: 8
    .kernarg_segment_size: 156
    .language:       OpenCL C
    .language_version:
      - 2
      - 0
    .max_flat_workgroup_size: 1024
    .name:           _ZN9rocsparseL41csrgemm_numeric_fill_block_per_row_kernelILj1024ELj64ELj16384ELj137ELj32EiidEEvT5_PKS1_S3_NS_24const_host_device_scalarIT6_EEPKT4_S3_PKS5_S9_S3_SB_S6_S9_S3_SB_S9_S3_PS5_21rocsparse_index_base_SD_SD_SD_bbb
    .private_segment_fixed_size: 0
    .sgpr_count:     106
    .sgpr_spill_count: 21
    .symbol:         _ZN9rocsparseL41csrgemm_numeric_fill_block_per_row_kernelILj1024ELj64ELj16384ELj137ELj32EiidEEvT5_PKS1_S3_NS_24const_host_device_scalarIT6_EEPKT4_S3_PKS5_S9_S3_SB_S6_S9_S3_SB_S9_S3_PS5_21rocsparse_index_base_SD_SD_SD_bbb.kd
    .uniform_work_group_size: 1
    .uses_dynamic_stack: false
    .vgpr_count:     23
    .vgpr_spill_count: 0
    .wavefront_size: 64
  - .agpr_count:     0
    .args:
      - .offset:         0
        .size:           4
        .value_kind:     by_value
      - .actual_access:  read_only
        .address_space:  global
        .offset:         8
        .size:           8
        .value_kind:     global_buffer
      - .actual_access:  read_only
        .address_space:  global
        .offset:         16
        .size:           8
        .value_kind:     global_buffer
      - .offset:         24
        .size:           8
        .value_kind:     by_value
      - .actual_access:  read_only
        .address_space:  global
        .offset:         32
        .size:           8
        .value_kind:     global_buffer
      - .actual_access:  read_only
        .address_space:  global
        .offset:         40
        .size:           8
        .value_kind:     global_buffer
      - .actual_access:  read_only
        .address_space:  global
        .offset:         48
        .size:           8
        .value_kind:     global_buffer
      - .actual_access:  read_only
        .address_space:  global
        .offset:         56
        .size:           8
        .value_kind:     global_buffer
      - .actual_access:  read_only
        .address_space:  global
        .offset:         64
        .size:           8
        .value_kind:     global_buffer
      - .actual_access:  read_only
        .address_space:  global
        .offset:         72
        .size:           8
        .value_kind:     global_buffer
      - .offset:         80
        .size:           8
        .value_kind:     by_value
      - .actual_access:  read_only
        .address_space:  global
        .offset:         88
        .size:           8
        .value_kind:     global_buffer
      - .actual_access:  read_only
        .address_space:  global
        .offset:         96
        .size:           8
        .value_kind:     global_buffer
      - .actual_access:  read_only
        .address_space:  global
        .offset:         104
        .size:           8
        .value_kind:     global_buffer
      - .actual_access:  read_only
        .address_space:  global
        .offset:         112
        .size:           8
        .value_kind:     global_buffer
      - .actual_access:  read_only
        .address_space:  global
        .offset:         120
        .size:           8
        .value_kind:     global_buffer
      - .actual_access:  write_only
        .address_space:  global
        .offset:         128
        .size:           8
        .value_kind:     global_buffer
      - .offset:         136
        .size:           4
        .value_kind:     by_value
      - .offset:         140
        .size:           4
        .value_kind:     by_value
      - .offset:         144
        .size:           4
        .value_kind:     by_value
      - .offset:         148
        .size:           4
        .value_kind:     by_value
      - .offset:         152
        .size:           1
        .value_kind:     by_value
      - .offset:         153
        .size:           1
        .value_kind:     by_value
      - .offset:         154
        .size:           1
        .value_kind:     by_value
    .group_segment_fixed_size: 0
    .kernarg_segment_align: 8
    .kernarg_segment_size: 156
    .language:       OpenCL C
    .language_version:
      - 2
      - 0
    .max_flat_workgroup_size: 1024
    .name:           _ZN9rocsparseL41csrgemm_numeric_fill_block_per_row_kernelILj1024ELj64ELj16384ELj137ELj64EiidEEvT5_PKS1_S3_NS_24const_host_device_scalarIT6_EEPKT4_S3_PKS5_S9_S3_SB_S6_S9_S3_SB_S9_S3_PS5_21rocsparse_index_base_SD_SD_SD_bbb
    .private_segment_fixed_size: 0
    .sgpr_count:     67
    .sgpr_spill_count: 0
    .symbol:         _ZN9rocsparseL41csrgemm_numeric_fill_block_per_row_kernelILj1024ELj64ELj16384ELj137ELj64EiidEEvT5_PKS1_S3_NS_24const_host_device_scalarIT6_EEPKT4_S3_PKS5_S9_S3_SB_S6_S9_S3_SB_S9_S3_PS5_21rocsparse_index_base_SD_SD_SD_bbb.kd
    .uniform_work_group_size: 1
    .uses_dynamic_stack: false
    .vgpr_count:     22
    .vgpr_spill_count: 0
    .wavefront_size: 64
  - .agpr_count:     0
    .args:
      - .offset:         0
        .size:           4
        .value_kind:     by_value
      - .actual_access:  read_only
        .address_space:  global
        .offset:         8
        .size:           8
        .value_kind:     global_buffer
      - .actual_access:  read_only
        .address_space:  global
        .offset:         16
        .size:           8
        .value_kind:     global_buffer
      - .offset:         24
        .size:           8
        .value_kind:     by_value
      - .actual_access:  read_only
        .address_space:  global
        .offset:         32
        .size:           8
        .value_kind:     global_buffer
      - .actual_access:  read_only
        .address_space:  global
        .offset:         40
        .size:           8
        .value_kind:     global_buffer
      - .actual_access:  read_only
        .address_space:  global
        .offset:         48
        .size:           8
        .value_kind:     global_buffer
      - .actual_access:  read_only
        .address_space:  global
        .offset:         56
        .size:           8
        .value_kind:     global_buffer
      - .actual_access:  read_only
        .address_space:  global
        .offset:         64
        .size:           8
        .value_kind:     global_buffer
      - .actual_access:  read_only
        .address_space:  global
        .offset:         72
        .size:           8
        .value_kind:     global_buffer
      - .offset:         80
        .size:           8
        .value_kind:     by_value
      - .actual_access:  read_only
        .address_space:  global
        .offset:         88
        .size:           8
        .value_kind:     global_buffer
      - .actual_access:  read_only
        .address_space:  global
        .offset:         96
        .size:           8
        .value_kind:     global_buffer
      - .actual_access:  read_only
        .address_space:  global
        .offset:         104
        .size:           8
        .value_kind:     global_buffer
      - .actual_access:  read_only
        .address_space:  global
        .offset:         112
        .size:           8
        .value_kind:     global_buffer
      - .actual_access:  read_only
        .address_space:  global
        .offset:         120
        .size:           8
        .value_kind:     global_buffer
      - .actual_access:  write_only
        .address_space:  global
        .offset:         128
        .size:           8
        .value_kind:     global_buffer
      - .offset:         136
        .size:           4
        .value_kind:     by_value
      - .offset:         140
        .size:           4
        .value_kind:     by_value
      - .offset:         144
        .size:           4
        .value_kind:     by_value
      - .offset:         148
        .size:           4
        .value_kind:     by_value
      - .offset:         152
        .size:           1
        .value_kind:     by_value
      - .offset:         153
        .size:           1
        .value_kind:     by_value
      - .offset:         154
        .size:           1
        .value_kind:     by_value
    .group_segment_fixed_size: 0
    .kernarg_segment_align: 8
    .kernarg_segment_size: 156
    .language:       OpenCL C
    .language_version:
      - 2
      - 0
    .max_flat_workgroup_size: 1024
    .name:           _ZN9rocsparseL41csrgemm_numeric_fill_block_per_row_kernelILj1024ELj64ELj32768ELj137ELj32EiidEEvT5_PKS1_S3_NS_24const_host_device_scalarIT6_EEPKT4_S3_PKS5_S9_S3_SB_S6_S9_S3_SB_S9_S3_PS5_21rocsparse_index_base_SD_SD_SD_bbb
    .private_segment_fixed_size: 0
    .sgpr_count:     106
    .sgpr_spill_count: 21
    .symbol:         _ZN9rocsparseL41csrgemm_numeric_fill_block_per_row_kernelILj1024ELj64ELj32768ELj137ELj32EiidEEvT5_PKS1_S3_NS_24const_host_device_scalarIT6_EEPKT4_S3_PKS5_S9_S3_SB_S6_S9_S3_SB_S9_S3_PS5_21rocsparse_index_base_SD_SD_SD_bbb.kd
    .uniform_work_group_size: 1
    .uses_dynamic_stack: false
    .vgpr_count:     23
    .vgpr_spill_count: 0
    .wavefront_size: 64
  - .agpr_count:     0
    .args:
      - .offset:         0
        .size:           4
        .value_kind:     by_value
      - .actual_access:  read_only
        .address_space:  global
        .offset:         8
        .size:           8
        .value_kind:     global_buffer
      - .actual_access:  read_only
        .address_space:  global
        .offset:         16
        .size:           8
        .value_kind:     global_buffer
      - .offset:         24
        .size:           8
        .value_kind:     by_value
      - .actual_access:  read_only
        .address_space:  global
        .offset:         32
        .size:           8
        .value_kind:     global_buffer
      - .actual_access:  read_only
        .address_space:  global
        .offset:         40
        .size:           8
        .value_kind:     global_buffer
      - .actual_access:  read_only
        .address_space:  global
        .offset:         48
        .size:           8
        .value_kind:     global_buffer
      - .actual_access:  read_only
        .address_space:  global
        .offset:         56
        .size:           8
        .value_kind:     global_buffer
      - .actual_access:  read_only
        .address_space:  global
        .offset:         64
        .size:           8
        .value_kind:     global_buffer
      - .actual_access:  read_only
        .address_space:  global
        .offset:         72
        .size:           8
        .value_kind:     global_buffer
      - .offset:         80
        .size:           8
        .value_kind:     by_value
      - .actual_access:  read_only
        .address_space:  global
        .offset:         88
        .size:           8
        .value_kind:     global_buffer
      - .actual_access:  read_only
        .address_space:  global
        .offset:         96
        .size:           8
        .value_kind:     global_buffer
      - .actual_access:  read_only
        .address_space:  global
        .offset:         104
        .size:           8
        .value_kind:     global_buffer
      - .actual_access:  read_only
        .address_space:  global
        .offset:         112
        .size:           8
        .value_kind:     global_buffer
      - .actual_access:  read_only
        .address_space:  global
        .offset:         120
        .size:           8
        .value_kind:     global_buffer
      - .actual_access:  write_only
        .address_space:  global
        .offset:         128
        .size:           8
        .value_kind:     global_buffer
      - .offset:         136
        .size:           4
        .value_kind:     by_value
      - .offset:         140
        .size:           4
        .value_kind:     by_value
      - .offset:         144
        .size:           4
        .value_kind:     by_value
      - .offset:         148
        .size:           4
        .value_kind:     by_value
      - .offset:         152
        .size:           1
        .value_kind:     by_value
      - .offset:         153
        .size:           1
        .value_kind:     by_value
      - .offset:         154
        .size:           1
        .value_kind:     by_value
    .group_segment_fixed_size: 0
    .kernarg_segment_align: 8
    .kernarg_segment_size: 156
    .language:       OpenCL C
    .language_version:
      - 2
      - 0
    .max_flat_workgroup_size: 1024
    .name:           _ZN9rocsparseL41csrgemm_numeric_fill_block_per_row_kernelILj1024ELj64ELj32768ELj137ELj64EiidEEvT5_PKS1_S3_NS_24const_host_device_scalarIT6_EEPKT4_S3_PKS5_S9_S3_SB_S6_S9_S3_SB_S9_S3_PS5_21rocsparse_index_base_SD_SD_SD_bbb
    .private_segment_fixed_size: 0
    .sgpr_count:     67
    .sgpr_spill_count: 0
    .symbol:         _ZN9rocsparseL41csrgemm_numeric_fill_block_per_row_kernelILj1024ELj64ELj32768ELj137ELj64EiidEEvT5_PKS1_S3_NS_24const_host_device_scalarIT6_EEPKT4_S3_PKS5_S9_S3_SB_S6_S9_S3_SB_S9_S3_PS5_21rocsparse_index_base_SD_SD_SD_bbb.kd
    .uniform_work_group_size: 1
    .uses_dynamic_stack: false
    .vgpr_count:     22
    .vgpr_spill_count: 0
    .wavefront_size: 64
  - .agpr_count:     0
    .args:
      - .offset:         0
        .size:           4
        .value_kind:     by_value
      - .actual_access:  read_only
        .address_space:  global
        .offset:         8
        .size:           8
        .value_kind:     global_buffer
      - .actual_access:  read_only
        .address_space:  global
        .offset:         16
        .size:           8
        .value_kind:     global_buffer
      - .offset:         24
        .size:           8
        .value_kind:     by_value
      - .actual_access:  read_only
        .address_space:  global
        .offset:         32
        .size:           8
        .value_kind:     global_buffer
      - .actual_access:  read_only
        .address_space:  global
        .offset:         40
        .size:           8
        .value_kind:     global_buffer
      - .actual_access:  read_only
        .address_space:  global
        .offset:         48
        .size:           8
        .value_kind:     global_buffer
      - .actual_access:  read_only
        .address_space:  global
        .offset:         56
        .size:           8
        .value_kind:     global_buffer
      - .actual_access:  read_only
        .address_space:  global
        .offset:         64
        .size:           8
        .value_kind:     global_buffer
      - .actual_access:  read_only
        .address_space:  global
        .offset:         72
        .size:           8
        .value_kind:     global_buffer
      - .offset:         80
        .size:           8
        .value_kind:     by_value
      - .actual_access:  read_only
        .address_space:  global
        .offset:         88
        .size:           8
        .value_kind:     global_buffer
      - .actual_access:  read_only
        .address_space:  global
        .offset:         96
        .size:           8
        .value_kind:     global_buffer
      - .actual_access:  read_only
        .address_space:  global
        .offset:         104
        .size:           8
        .value_kind:     global_buffer
      - .actual_access:  read_only
        .address_space:  global
        .offset:         112
        .size:           8
        .value_kind:     global_buffer
      - .actual_access:  read_only
        .address_space:  global
        .offset:         120
        .size:           8
        .value_kind:     global_buffer
      - .actual_access:  write_only
        .address_space:  global
        .offset:         128
        .size:           8
        .value_kind:     global_buffer
      - .address_space:  global
        .offset:         136
        .size:           8
        .value_kind:     global_buffer
      - .offset:         144
        .size:           4
        .value_kind:     by_value
      - .offset:         148
        .size:           4
        .value_kind:     by_value
      - .offset:         152
        .size:           4
        .value_kind:     by_value
      - .offset:         156
        .size:           4
        .value_kind:     by_value
      - .offset:         160
        .size:           1
        .value_kind:     by_value
      - .offset:         161
        .size:           1
        .value_kind:     by_value
      - .offset:         162
        .size:           1
        .value_kind:     by_value
    .group_segment_fixed_size: 18440
    .kernarg_segment_align: 8
    .kernarg_segment_size: 164
    .language:       OpenCL C
    .language_version:
      - 2
      - 0
    .max_flat_workgroup_size: 512
    .name:           _ZN9rocsparseL51csrgemm_numeric_fill_block_per_row_multipass_kernelILj512ELj16ELj2048ELj32EiidEEvT4_PKS1_S3_NS_24const_host_device_scalarIT5_EEPKT3_S3_PKS5_S9_S3_SB_S6_S9_S3_SB_S9_S3_PS5_PS7_21rocsparse_index_base_SE_SE_SE_bbb
    .private_segment_fixed_size: 0
    .sgpr_count:     94
    .sgpr_spill_count: 0
    .symbol:         _ZN9rocsparseL51csrgemm_numeric_fill_block_per_row_multipass_kernelILj512ELj16ELj2048ELj32EiidEEvT4_PKS1_S3_NS_24const_host_device_scalarIT5_EEPKT3_S3_PKS5_S9_S3_SB_S6_S9_S3_SB_S9_S3_PS5_PS7_21rocsparse_index_base_SE_SE_SE_bbb.kd
    .uniform_work_group_size: 1
    .uses_dynamic_stack: false
    .vgpr_count:     38
    .vgpr_spill_count: 0
    .wavefront_size: 64
  - .agpr_count:     0
    .args:
      - .offset:         0
        .size:           4
        .value_kind:     by_value
      - .actual_access:  read_only
        .address_space:  global
        .offset:         8
        .size:           8
        .value_kind:     global_buffer
      - .actual_access:  read_only
        .address_space:  global
        .offset:         16
        .size:           8
        .value_kind:     global_buffer
      - .offset:         24
        .size:           8
        .value_kind:     by_value
      - .actual_access:  read_only
        .address_space:  global
        .offset:         32
        .size:           8
        .value_kind:     global_buffer
      - .actual_access:  read_only
        .address_space:  global
        .offset:         40
        .size:           8
        .value_kind:     global_buffer
      - .actual_access:  read_only
        .address_space:  global
        .offset:         48
        .size:           8
        .value_kind:     global_buffer
      - .actual_access:  read_only
        .address_space:  global
        .offset:         56
        .size:           8
        .value_kind:     global_buffer
      - .actual_access:  read_only
        .address_space:  global
        .offset:         64
        .size:           8
        .value_kind:     global_buffer
      - .actual_access:  read_only
        .address_space:  global
        .offset:         72
        .size:           8
        .value_kind:     global_buffer
      - .offset:         80
        .size:           8
        .value_kind:     by_value
      - .actual_access:  read_only
        .address_space:  global
        .offset:         88
        .size:           8
        .value_kind:     global_buffer
      - .actual_access:  read_only
        .address_space:  global
        .offset:         96
        .size:           8
        .value_kind:     global_buffer
      - .actual_access:  read_only
        .address_space:  global
        .offset:         104
        .size:           8
        .value_kind:     global_buffer
      - .actual_access:  read_only
        .address_space:  global
        .offset:         112
        .size:           8
        .value_kind:     global_buffer
      - .actual_access:  read_only
        .address_space:  global
        .offset:         120
        .size:           8
        .value_kind:     global_buffer
      - .actual_access:  write_only
        .address_space:  global
        .offset:         128
        .size:           8
        .value_kind:     global_buffer
      - .address_space:  global
        .offset:         136
        .size:           8
        .value_kind:     global_buffer
      - .offset:         144
        .size:           4
        .value_kind:     by_value
      - .offset:         148
        .size:           4
        .value_kind:     by_value
      - .offset:         152
        .size:           4
        .value_kind:     by_value
      - .offset:         156
        .size:           4
        .value_kind:     by_value
      - .offset:         160
        .size:           1
        .value_kind:     by_value
      - .offset:         161
        .size:           1
        .value_kind:     by_value
      - .offset:         162
        .size:           1
        .value_kind:     by_value
    .group_segment_fixed_size: 18440
    .kernarg_segment_align: 8
    .kernarg_segment_size: 164
    .language:       OpenCL C
    .language_version:
      - 2
      - 0
    .max_flat_workgroup_size: 512
    .name:           _ZN9rocsparseL51csrgemm_numeric_fill_block_per_row_multipass_kernelILj512ELj16ELj2048ELj64EiidEEvT4_PKS1_S3_NS_24const_host_device_scalarIT5_EEPKT3_S3_PKS5_S9_S3_SB_S6_S9_S3_SB_S9_S3_PS5_PS7_21rocsparse_index_base_SE_SE_SE_bbb
    .private_segment_fixed_size: 0
    .sgpr_count:     78
    .sgpr_spill_count: 0
    .symbol:         _ZN9rocsparseL51csrgemm_numeric_fill_block_per_row_multipass_kernelILj512ELj16ELj2048ELj64EiidEEvT4_PKS1_S3_NS_24const_host_device_scalarIT5_EEPKT3_S3_PKS5_S9_S3_SB_S6_S9_S3_SB_S9_S3_PS5_PS7_21rocsparse_index_base_SE_SE_SE_bbb.kd
    .uniform_work_group_size: 1
    .uses_dynamic_stack: false
    .vgpr_count:     32
    .vgpr_spill_count: 0
    .wavefront_size: 64
  - .agpr_count:     0
    .args:
      - .offset:         0
        .size:           4
        .value_kind:     by_value
      - .offset:         4
        .size:           4
        .value_kind:     by_value
      - .actual_access:  read_only
        .address_space:  global
        .offset:         8
        .size:           8
        .value_kind:     global_buffer
      - .actual_access:  read_only
        .address_space:  global
        .offset:         16
        .size:           8
        .value_kind:     global_buffer
      - .offset:         24
        .size:           8
        .value_kind:     by_value
      - .actual_access:  read_only
        .address_space:  global
        .offset:         32
        .size:           8
        .value_kind:     global_buffer
      - .actual_access:  read_only
        .address_space:  global
        .offset:         40
        .size:           8
        .value_kind:     global_buffer
      - .actual_access:  read_only
        .address_space:  global
        .offset:         48
        .size:           8
        .value_kind:     global_buffer
      - .actual_access:  read_only
        .address_space:  global
        .offset:         56
        .size:           8
        .value_kind:     global_buffer
      - .actual_access:  read_only
        .address_space:  global
        .offset:         64
        .size:           8
        .value_kind:     global_buffer
      - .actual_access:  read_only
        .address_space:  global
        .offset:         72
        .size:           8
        .value_kind:     global_buffer
      - .offset:         80
        .size:           8
        .value_kind:     by_value
      - .actual_access:  read_only
        .address_space:  global
        .offset:         88
        .size:           8
        .value_kind:     global_buffer
      - .actual_access:  read_only
        .address_space:  global
        .offset:         96
        .size:           8
        .value_kind:     global_buffer
      - .actual_access:  read_only
        .address_space:  global
        .offset:         104
        .size:           8
        .value_kind:     global_buffer
      - .actual_access:  read_only
        .address_space:  global
        .offset:         112
        .size:           8
        .value_kind:     global_buffer
      - .actual_access:  read_only
        .address_space:  global
        .offset:         120
        .size:           8
        .value_kind:     global_buffer
      - .actual_access:  write_only
        .address_space:  global
        .offset:         128
        .size:           8
        .value_kind:     global_buffer
      - .offset:         136
        .size:           4
        .value_kind:     by_value
      - .offset:         140
        .size:           4
        .value_kind:     by_value
      - .offset:         144
        .size:           4
        .value_kind:     by_value
      - .offset:         148
        .size:           4
        .value_kind:     by_value
      - .offset:         152
        .size:           1
        .value_kind:     by_value
      - .offset:         153
        .size:           1
        .value_kind:     by_value
      - .offset:         154
        .size:           1
        .value_kind:     by_value
    .group_segment_fixed_size: 6144
    .kernarg_segment_align: 8
    .kernarg_segment_size: 156
    .language:       OpenCL C
    .language_version:
      - 2
      - 0
    .max_flat_workgroup_size: 256
    .name:           _ZN9rocsparseL38csrgemm_numeric_fill_wf_per_row_kernelILj256ELj8ELj16ELj137Eii21rocsparse_complex_numIfEEEvT4_S3_PKS3_S5_NS_24const_host_device_scalarIT5_EEPKT3_S5_PKS7_SB_S5_SD_S8_SB_S5_SD_SB_S5_PS7_21rocsparse_index_base_SF_SF_SF_bbb
    .private_segment_fixed_size: 0
    .sgpr_count:     57
    .sgpr_spill_count: 0
    .symbol:         _ZN9rocsparseL38csrgemm_numeric_fill_wf_per_row_kernelILj256ELj8ELj16ELj137Eii21rocsparse_complex_numIfEEEvT4_S3_PKS3_S5_NS_24const_host_device_scalarIT5_EEPKT3_S5_PKS7_SB_S5_SD_S8_SB_S5_SD_SB_S5_PS7_21rocsparse_index_base_SF_SF_SF_bbb.kd
    .uniform_work_group_size: 1
    .uses_dynamic_stack: false
    .vgpr_count:     24
    .vgpr_spill_count: 0
    .wavefront_size: 64
  - .agpr_count:     0
    .args:
      - .offset:         0
        .size:           4
        .value_kind:     by_value
      - .offset:         4
        .size:           4
        .value_kind:     by_value
      - .actual_access:  read_only
        .address_space:  global
        .offset:         8
        .size:           8
        .value_kind:     global_buffer
      - .actual_access:  read_only
        .address_space:  global
        .offset:         16
        .size:           8
        .value_kind:     global_buffer
      - .offset:         24
        .size:           8
        .value_kind:     by_value
      - .actual_access:  read_only
        .address_space:  global
        .offset:         32
        .size:           8
        .value_kind:     global_buffer
      - .actual_access:  read_only
        .address_space:  global
        .offset:         40
        .size:           8
        .value_kind:     global_buffer
      - .actual_access:  read_only
        .address_space:  global
        .offset:         48
        .size:           8
        .value_kind:     global_buffer
      - .actual_access:  read_only
        .address_space:  global
        .offset:         56
        .size:           8
        .value_kind:     global_buffer
      - .actual_access:  read_only
        .address_space:  global
        .offset:         64
        .size:           8
        .value_kind:     global_buffer
      - .actual_access:  read_only
        .address_space:  global
        .offset:         72
        .size:           8
        .value_kind:     global_buffer
      - .offset:         80
        .size:           8
        .value_kind:     by_value
      - .actual_access:  read_only
        .address_space:  global
        .offset:         88
        .size:           8
        .value_kind:     global_buffer
      - .actual_access:  read_only
        .address_space:  global
        .offset:         96
        .size:           8
        .value_kind:     global_buffer
      - .actual_access:  read_only
        .address_space:  global
        .offset:         104
        .size:           8
        .value_kind:     global_buffer
      - .actual_access:  read_only
        .address_space:  global
        .offset:         112
        .size:           8
        .value_kind:     global_buffer
      - .actual_access:  read_only
        .address_space:  global
        .offset:         120
        .size:           8
        .value_kind:     global_buffer
      - .actual_access:  write_only
        .address_space:  global
        .offset:         128
        .size:           8
        .value_kind:     global_buffer
      - .offset:         136
        .size:           4
        .value_kind:     by_value
      - .offset:         140
        .size:           4
        .value_kind:     by_value
      - .offset:         144
        .size:           4
        .value_kind:     by_value
      - .offset:         148
        .size:           4
        .value_kind:     by_value
      - .offset:         152
        .size:           1
        .value_kind:     by_value
      - .offset:         153
        .size:           1
        .value_kind:     by_value
      - .offset:         154
        .size:           1
        .value_kind:     by_value
    .group_segment_fixed_size: 6144
    .kernarg_segment_align: 8
    .kernarg_segment_size: 156
    .language:       OpenCL C
    .language_version:
      - 2
      - 0
    .max_flat_workgroup_size: 256
    .name:           _ZN9rocsparseL38csrgemm_numeric_fill_wf_per_row_kernelILj256ELj16ELj32ELj137Eii21rocsparse_complex_numIfEEEvT4_S3_PKS3_S5_NS_24const_host_device_scalarIT5_EEPKT3_S5_PKS7_SB_S5_SD_S8_SB_S5_SD_SB_S5_PS7_21rocsparse_index_base_SF_SF_SF_bbb
    .private_segment_fixed_size: 0
    .sgpr_count:     57
    .sgpr_spill_count: 0
    .symbol:         _ZN9rocsparseL38csrgemm_numeric_fill_wf_per_row_kernelILj256ELj16ELj32ELj137Eii21rocsparse_complex_numIfEEEvT4_S3_PKS3_S5_NS_24const_host_device_scalarIT5_EEPKT3_S5_PKS7_SB_S5_SD_S8_SB_S5_SD_SB_S5_PS7_21rocsparse_index_base_SF_SF_SF_bbb.kd
    .uniform_work_group_size: 1
    .uses_dynamic_stack: false
    .vgpr_count:     24
    .vgpr_spill_count: 0
    .wavefront_size: 64
  - .agpr_count:     0
    .args:
      - .offset:         0
        .size:           4
        .value_kind:     by_value
      - .actual_access:  read_only
        .address_space:  global
        .offset:         8
        .size:           8
        .value_kind:     global_buffer
      - .actual_access:  read_only
        .address_space:  global
        .offset:         16
        .size:           8
        .value_kind:     global_buffer
      - .offset:         24
        .size:           8
        .value_kind:     by_value
      - .actual_access:  read_only
        .address_space:  global
        .offset:         32
        .size:           8
        .value_kind:     global_buffer
      - .actual_access:  read_only
        .address_space:  global
        .offset:         40
        .size:           8
        .value_kind:     global_buffer
      - .actual_access:  read_only
        .address_space:  global
        .offset:         48
        .size:           8
        .value_kind:     global_buffer
      - .actual_access:  read_only
        .address_space:  global
        .offset:         56
        .size:           8
        .value_kind:     global_buffer
      - .actual_access:  read_only
        .address_space:  global
        .offset:         64
        .size:           8
        .value_kind:     global_buffer
      - .actual_access:  read_only
        .address_space:  global
        .offset:         72
        .size:           8
        .value_kind:     global_buffer
      - .offset:         80
        .size:           8
        .value_kind:     by_value
      - .actual_access:  read_only
        .address_space:  global
        .offset:         88
        .size:           8
        .value_kind:     global_buffer
      - .actual_access:  read_only
        .address_space:  global
        .offset:         96
        .size:           8
        .value_kind:     global_buffer
      - .actual_access:  read_only
        .address_space:  global
        .offset:         104
        .size:           8
        .value_kind:     global_buffer
      - .actual_access:  read_only
        .address_space:  global
        .offset:         112
        .size:           8
        .value_kind:     global_buffer
      - .actual_access:  read_only
        .address_space:  global
        .offset:         120
        .size:           8
        .value_kind:     global_buffer
      - .actual_access:  write_only
        .address_space:  global
        .offset:         128
        .size:           8
        .value_kind:     global_buffer
      - .offset:         136
        .size:           4
        .value_kind:     by_value
      - .offset:         140
        .size:           4
        .value_kind:     by_value
      - .offset:         144
        .size:           4
        .value_kind:     by_value
      - .offset:         148
        .size:           4
        .value_kind:     by_value
      - .offset:         152
        .size:           1
        .value_kind:     by_value
      - .offset:         153
        .size:           1
        .value_kind:     by_value
      - .offset:         154
        .size:           1
        .value_kind:     by_value
    .group_segment_fixed_size: 0
    .kernarg_segment_align: 8
    .kernarg_segment_size: 156
    .language:       OpenCL C
    .language_version:
      - 2
      - 0
    .max_flat_workgroup_size: 128
    .name:           _ZN9rocsparseL41csrgemm_numeric_fill_block_per_row_kernelILj128ELj16ELj256ELj137ELj32Eii21rocsparse_complex_numIfEEEvT5_PKS3_S5_NS_24const_host_device_scalarIT6_EEPKT4_S5_PKS7_SB_S5_SD_S8_SB_S5_SD_SB_S5_PS7_21rocsparse_index_base_SF_SF_SF_bbb
    .private_segment_fixed_size: 0
    .sgpr_count:     61
    .sgpr_spill_count: 0
    .symbol:         _ZN9rocsparseL41csrgemm_numeric_fill_block_per_row_kernelILj128ELj16ELj256ELj137ELj32Eii21rocsparse_complex_numIfEEEvT5_PKS3_S5_NS_24const_host_device_scalarIT6_EEPKT4_S5_PKS7_SB_S5_SD_S8_SB_S5_SD_SB_S5_PS7_21rocsparse_index_base_SF_SF_SF_bbb.kd
    .uniform_work_group_size: 1
    .uses_dynamic_stack: false
    .vgpr_count:     22
    .vgpr_spill_count: 0
    .wavefront_size: 64
  - .agpr_count:     0
    .args:
      - .offset:         0
        .size:           4
        .value_kind:     by_value
      - .actual_access:  read_only
        .address_space:  global
        .offset:         8
        .size:           8
        .value_kind:     global_buffer
      - .actual_access:  read_only
        .address_space:  global
        .offset:         16
        .size:           8
        .value_kind:     global_buffer
      - .offset:         24
        .size:           8
        .value_kind:     by_value
      - .actual_access:  read_only
        .address_space:  global
        .offset:         32
        .size:           8
        .value_kind:     global_buffer
      - .actual_access:  read_only
        .address_space:  global
        .offset:         40
        .size:           8
        .value_kind:     global_buffer
      - .actual_access:  read_only
        .address_space:  global
        .offset:         48
        .size:           8
        .value_kind:     global_buffer
      - .actual_access:  read_only
        .address_space:  global
        .offset:         56
        .size:           8
        .value_kind:     global_buffer
      - .actual_access:  read_only
        .address_space:  global
        .offset:         64
        .size:           8
        .value_kind:     global_buffer
      - .actual_access:  read_only
        .address_space:  global
        .offset:         72
        .size:           8
        .value_kind:     global_buffer
      - .offset:         80
        .size:           8
        .value_kind:     by_value
      - .actual_access:  read_only
        .address_space:  global
        .offset:         88
        .size:           8
        .value_kind:     global_buffer
      - .actual_access:  read_only
        .address_space:  global
        .offset:         96
        .size:           8
        .value_kind:     global_buffer
      - .actual_access:  read_only
        .address_space:  global
        .offset:         104
        .size:           8
        .value_kind:     global_buffer
      - .actual_access:  read_only
        .address_space:  global
        .offset:         112
        .size:           8
        .value_kind:     global_buffer
      - .actual_access:  read_only
        .address_space:  global
        .offset:         120
        .size:           8
        .value_kind:     global_buffer
      - .actual_access:  write_only
        .address_space:  global
        .offset:         128
        .size:           8
        .value_kind:     global_buffer
      - .offset:         136
        .size:           4
        .value_kind:     by_value
      - .offset:         140
        .size:           4
        .value_kind:     by_value
      - .offset:         144
        .size:           4
        .value_kind:     by_value
      - .offset:         148
        .size:           4
        .value_kind:     by_value
      - .offset:         152
        .size:           1
        .value_kind:     by_value
      - .offset:         153
        .size:           1
        .value_kind:     by_value
      - .offset:         154
        .size:           1
        .value_kind:     by_value
    .group_segment_fixed_size: 0
    .kernarg_segment_align: 8
    .kernarg_segment_size: 156
    .language:       OpenCL C
    .language_version:
      - 2
      - 0
    .max_flat_workgroup_size: 128
    .name:           _ZN9rocsparseL41csrgemm_numeric_fill_block_per_row_kernelILj128ELj16ELj256ELj137ELj64Eii21rocsparse_complex_numIfEEEvT5_PKS3_S5_NS_24const_host_device_scalarIT6_EEPKT4_S5_PKS7_SB_S5_SD_S8_SB_S5_SD_SB_S5_PS7_21rocsparse_index_base_SF_SF_SF_bbb
    .private_segment_fixed_size: 0
    .sgpr_count:     61
    .sgpr_spill_count: 0
    .symbol:         _ZN9rocsparseL41csrgemm_numeric_fill_block_per_row_kernelILj128ELj16ELj256ELj137ELj64Eii21rocsparse_complex_numIfEEEvT5_PKS3_S5_NS_24const_host_device_scalarIT6_EEPKT4_S5_PKS7_SB_S5_SD_S8_SB_S5_SD_SB_S5_PS7_21rocsparse_index_base_SF_SF_SF_bbb.kd
    .uniform_work_group_size: 1
    .uses_dynamic_stack: false
    .vgpr_count:     22
    .vgpr_spill_count: 0
    .wavefront_size: 64
  - .agpr_count:     0
    .args:
      - .offset:         0
        .size:           4
        .value_kind:     by_value
      - .actual_access:  read_only
        .address_space:  global
        .offset:         8
        .size:           8
        .value_kind:     global_buffer
      - .actual_access:  read_only
        .address_space:  global
        .offset:         16
        .size:           8
        .value_kind:     global_buffer
      - .offset:         24
        .size:           8
        .value_kind:     by_value
      - .actual_access:  read_only
        .address_space:  global
        .offset:         32
        .size:           8
        .value_kind:     global_buffer
      - .actual_access:  read_only
        .address_space:  global
        .offset:         40
        .size:           8
        .value_kind:     global_buffer
      - .actual_access:  read_only
        .address_space:  global
        .offset:         48
        .size:           8
        .value_kind:     global_buffer
      - .actual_access:  read_only
        .address_space:  global
        .offset:         56
        .size:           8
        .value_kind:     global_buffer
      - .actual_access:  read_only
        .address_space:  global
        .offset:         64
        .size:           8
        .value_kind:     global_buffer
      - .actual_access:  read_only
        .address_space:  global
        .offset:         72
        .size:           8
        .value_kind:     global_buffer
      - .offset:         80
        .size:           8
        .value_kind:     by_value
      - .actual_access:  read_only
        .address_space:  global
        .offset:         88
        .size:           8
        .value_kind:     global_buffer
      - .actual_access:  read_only
        .address_space:  global
        .offset:         96
        .size:           8
        .value_kind:     global_buffer
      - .actual_access:  read_only
        .address_space:  global
        .offset:         104
        .size:           8
        .value_kind:     global_buffer
      - .actual_access:  read_only
        .address_space:  global
        .offset:         112
        .size:           8
        .value_kind:     global_buffer
      - .actual_access:  read_only
        .address_space:  global
        .offset:         120
        .size:           8
        .value_kind:     global_buffer
      - .actual_access:  write_only
        .address_space:  global
        .offset:         128
        .size:           8
        .value_kind:     global_buffer
      - .offset:         136
        .size:           4
        .value_kind:     by_value
      - .offset:         140
        .size:           4
        .value_kind:     by_value
      - .offset:         144
        .size:           4
        .value_kind:     by_value
      - .offset:         148
        .size:           4
        .value_kind:     by_value
      - .offset:         152
        .size:           1
        .value_kind:     by_value
      - .offset:         153
        .size:           1
        .value_kind:     by_value
      - .offset:         154
        .size:           1
        .value_kind:     by_value
    .group_segment_fixed_size: 0
    .kernarg_segment_align: 8
    .kernarg_segment_size: 156
    .language:       OpenCL C
    .language_version:
      - 2
      - 0
    .max_flat_workgroup_size: 256
    .name:           _ZN9rocsparseL41csrgemm_numeric_fill_block_per_row_kernelILj256ELj32ELj512ELj137ELj32Eii21rocsparse_complex_numIfEEEvT5_PKS3_S5_NS_24const_host_device_scalarIT6_EEPKT4_S5_PKS7_SB_S5_SD_S8_SB_S5_SD_SB_S5_PS7_21rocsparse_index_base_SF_SF_SF_bbb
    .private_segment_fixed_size: 0
    .sgpr_count:     61
    .sgpr_spill_count: 0
    .symbol:         _ZN9rocsparseL41csrgemm_numeric_fill_block_per_row_kernelILj256ELj32ELj512ELj137ELj32Eii21rocsparse_complex_numIfEEEvT5_PKS3_S5_NS_24const_host_device_scalarIT6_EEPKT4_S5_PKS7_SB_S5_SD_S8_SB_S5_SD_SB_S5_PS7_21rocsparse_index_base_SF_SF_SF_bbb.kd
    .uniform_work_group_size: 1
    .uses_dynamic_stack: false
    .vgpr_count:     22
    .vgpr_spill_count: 0
    .wavefront_size: 64
  - .agpr_count:     0
    .args:
      - .offset:         0
        .size:           4
        .value_kind:     by_value
      - .actual_access:  read_only
        .address_space:  global
        .offset:         8
        .size:           8
        .value_kind:     global_buffer
      - .actual_access:  read_only
        .address_space:  global
        .offset:         16
        .size:           8
        .value_kind:     global_buffer
      - .offset:         24
        .size:           8
        .value_kind:     by_value
      - .actual_access:  read_only
        .address_space:  global
        .offset:         32
        .size:           8
        .value_kind:     global_buffer
      - .actual_access:  read_only
        .address_space:  global
        .offset:         40
        .size:           8
        .value_kind:     global_buffer
      - .actual_access:  read_only
        .address_space:  global
        .offset:         48
        .size:           8
        .value_kind:     global_buffer
      - .actual_access:  read_only
        .address_space:  global
        .offset:         56
        .size:           8
        .value_kind:     global_buffer
      - .actual_access:  read_only
        .address_space:  global
        .offset:         64
        .size:           8
        .value_kind:     global_buffer
      - .actual_access:  read_only
        .address_space:  global
        .offset:         72
        .size:           8
        .value_kind:     global_buffer
      - .offset:         80
        .size:           8
        .value_kind:     by_value
      - .actual_access:  read_only
        .address_space:  global
        .offset:         88
        .size:           8
        .value_kind:     global_buffer
      - .actual_access:  read_only
        .address_space:  global
        .offset:         96
        .size:           8
        .value_kind:     global_buffer
      - .actual_access:  read_only
        .address_space:  global
        .offset:         104
        .size:           8
        .value_kind:     global_buffer
      - .actual_access:  read_only
        .address_space:  global
        .offset:         112
        .size:           8
        .value_kind:     global_buffer
      - .actual_access:  read_only
        .address_space:  global
        .offset:         120
        .size:           8
        .value_kind:     global_buffer
      - .actual_access:  write_only
        .address_space:  global
        .offset:         128
        .size:           8
        .value_kind:     global_buffer
      - .offset:         136
        .size:           4
        .value_kind:     by_value
      - .offset:         140
        .size:           4
        .value_kind:     by_value
      - .offset:         144
        .size:           4
        .value_kind:     by_value
      - .offset:         148
        .size:           4
        .value_kind:     by_value
      - .offset:         152
        .size:           1
        .value_kind:     by_value
      - .offset:         153
        .size:           1
        .value_kind:     by_value
      - .offset:         154
        .size:           1
        .value_kind:     by_value
    .group_segment_fixed_size: 0
    .kernarg_segment_align: 8
    .kernarg_segment_size: 156
    .language:       OpenCL C
    .language_version:
      - 2
      - 0
    .max_flat_workgroup_size: 256
    .name:           _ZN9rocsparseL41csrgemm_numeric_fill_block_per_row_kernelILj256ELj32ELj512ELj137ELj64Eii21rocsparse_complex_numIfEEEvT5_PKS3_S5_NS_24const_host_device_scalarIT6_EEPKT4_S5_PKS7_SB_S5_SD_S8_SB_S5_SD_SB_S5_PS7_21rocsparse_index_base_SF_SF_SF_bbb
    .private_segment_fixed_size: 0
    .sgpr_count:     61
    .sgpr_spill_count: 0
    .symbol:         _ZN9rocsparseL41csrgemm_numeric_fill_block_per_row_kernelILj256ELj32ELj512ELj137ELj64Eii21rocsparse_complex_numIfEEEvT5_PKS3_S5_NS_24const_host_device_scalarIT6_EEPKT4_S5_PKS7_SB_S5_SD_S8_SB_S5_SD_SB_S5_PS7_21rocsparse_index_base_SF_SF_SF_bbb.kd
    .uniform_work_group_size: 1
    .uses_dynamic_stack: false
    .vgpr_count:     22
    .vgpr_spill_count: 0
    .wavefront_size: 64
  - .agpr_count:     0
    .args:
      - .offset:         0
        .size:           4
        .value_kind:     by_value
      - .actual_access:  read_only
        .address_space:  global
        .offset:         8
        .size:           8
        .value_kind:     global_buffer
      - .actual_access:  read_only
        .address_space:  global
        .offset:         16
        .size:           8
        .value_kind:     global_buffer
      - .offset:         24
        .size:           8
        .value_kind:     by_value
      - .actual_access:  read_only
        .address_space:  global
        .offset:         32
        .size:           8
        .value_kind:     global_buffer
      - .actual_access:  read_only
        .address_space:  global
        .offset:         40
        .size:           8
        .value_kind:     global_buffer
      - .actual_access:  read_only
        .address_space:  global
        .offset:         48
        .size:           8
        .value_kind:     global_buffer
      - .actual_access:  read_only
        .address_space:  global
        .offset:         56
        .size:           8
        .value_kind:     global_buffer
      - .actual_access:  read_only
        .address_space:  global
        .offset:         64
        .size:           8
        .value_kind:     global_buffer
      - .actual_access:  read_only
        .address_space:  global
        .offset:         72
        .size:           8
        .value_kind:     global_buffer
      - .offset:         80
        .size:           8
        .value_kind:     by_value
      - .actual_access:  read_only
        .address_space:  global
        .offset:         88
        .size:           8
        .value_kind:     global_buffer
      - .actual_access:  read_only
        .address_space:  global
        .offset:         96
        .size:           8
        .value_kind:     global_buffer
      - .actual_access:  read_only
        .address_space:  global
        .offset:         104
        .size:           8
        .value_kind:     global_buffer
      - .actual_access:  read_only
        .address_space:  global
        .offset:         112
        .size:           8
        .value_kind:     global_buffer
      - .actual_access:  read_only
        .address_space:  global
        .offset:         120
        .size:           8
        .value_kind:     global_buffer
      - .actual_access:  write_only
        .address_space:  global
        .offset:         128
        .size:           8
        .value_kind:     global_buffer
      - .offset:         136
        .size:           4
        .value_kind:     by_value
      - .offset:         140
        .size:           4
        .value_kind:     by_value
      - .offset:         144
        .size:           4
        .value_kind:     by_value
      - .offset:         148
        .size:           4
        .value_kind:     by_value
      - .offset:         152
        .size:           1
        .value_kind:     by_value
      - .offset:         153
        .size:           1
        .value_kind:     by_value
      - .offset:         154
        .size:           1
        .value_kind:     by_value
    .group_segment_fixed_size: 0
    .kernarg_segment_align: 8
    .kernarg_segment_size: 156
    .language:       OpenCL C
    .language_version:
      - 2
      - 0
    .max_flat_workgroup_size: 512
    .name:           _ZN9rocsparseL41csrgemm_numeric_fill_block_per_row_kernelILj512ELj32ELj1024ELj137ELj32Eii21rocsparse_complex_numIfEEEvT5_PKS3_S5_NS_24const_host_device_scalarIT6_EEPKT4_S5_PKS7_SB_S5_SD_S8_SB_S5_SD_SB_S5_PS7_21rocsparse_index_base_SF_SF_SF_bbb
    .private_segment_fixed_size: 0
    .sgpr_count:     59
    .sgpr_spill_count: 0
    .symbol:         _ZN9rocsparseL41csrgemm_numeric_fill_block_per_row_kernelILj512ELj32ELj1024ELj137ELj32Eii21rocsparse_complex_numIfEEEvT5_PKS3_S5_NS_24const_host_device_scalarIT6_EEPKT4_S5_PKS7_SB_S5_SD_S8_SB_S5_SD_SB_S5_PS7_21rocsparse_index_base_SF_SF_SF_bbb.kd
    .uniform_work_group_size: 1
    .uses_dynamic_stack: false
    .vgpr_count:     22
    .vgpr_spill_count: 0
    .wavefront_size: 64
  - .agpr_count:     0
    .args:
      - .offset:         0
        .size:           4
        .value_kind:     by_value
      - .actual_access:  read_only
        .address_space:  global
        .offset:         8
        .size:           8
        .value_kind:     global_buffer
      - .actual_access:  read_only
        .address_space:  global
        .offset:         16
        .size:           8
        .value_kind:     global_buffer
      - .offset:         24
        .size:           8
        .value_kind:     by_value
      - .actual_access:  read_only
        .address_space:  global
        .offset:         32
        .size:           8
        .value_kind:     global_buffer
      - .actual_access:  read_only
        .address_space:  global
        .offset:         40
        .size:           8
        .value_kind:     global_buffer
      - .actual_access:  read_only
        .address_space:  global
        .offset:         48
        .size:           8
        .value_kind:     global_buffer
      - .actual_access:  read_only
        .address_space:  global
        .offset:         56
        .size:           8
        .value_kind:     global_buffer
      - .actual_access:  read_only
        .address_space:  global
        .offset:         64
        .size:           8
        .value_kind:     global_buffer
      - .actual_access:  read_only
        .address_space:  global
        .offset:         72
        .size:           8
        .value_kind:     global_buffer
      - .offset:         80
        .size:           8
        .value_kind:     by_value
      - .actual_access:  read_only
        .address_space:  global
        .offset:         88
        .size:           8
        .value_kind:     global_buffer
      - .actual_access:  read_only
        .address_space:  global
        .offset:         96
        .size:           8
        .value_kind:     global_buffer
      - .actual_access:  read_only
        .address_space:  global
        .offset:         104
        .size:           8
        .value_kind:     global_buffer
      - .actual_access:  read_only
        .address_space:  global
        .offset:         112
        .size:           8
        .value_kind:     global_buffer
      - .actual_access:  read_only
        .address_space:  global
        .offset:         120
        .size:           8
        .value_kind:     global_buffer
      - .actual_access:  write_only
        .address_space:  global
        .offset:         128
        .size:           8
        .value_kind:     global_buffer
      - .offset:         136
        .size:           4
        .value_kind:     by_value
      - .offset:         140
        .size:           4
        .value_kind:     by_value
      - .offset:         144
        .size:           4
        .value_kind:     by_value
      - .offset:         148
        .size:           4
        .value_kind:     by_value
      - .offset:         152
        .size:           1
        .value_kind:     by_value
      - .offset:         153
        .size:           1
        .value_kind:     by_value
      - .offset:         154
        .size:           1
        .value_kind:     by_value
    .group_segment_fixed_size: 0
    .kernarg_segment_align: 8
    .kernarg_segment_size: 156
    .language:       OpenCL C
    .language_version:
      - 2
      - 0
    .max_flat_workgroup_size: 512
    .name:           _ZN9rocsparseL41csrgemm_numeric_fill_block_per_row_kernelILj512ELj32ELj1024ELj137ELj64Eii21rocsparse_complex_numIfEEEvT5_PKS3_S5_NS_24const_host_device_scalarIT6_EEPKT4_S5_PKS7_SB_S5_SD_S8_SB_S5_SD_SB_S5_PS7_21rocsparse_index_base_SF_SF_SF_bbb
    .private_segment_fixed_size: 0
    .sgpr_count:     59
    .sgpr_spill_count: 0
    .symbol:         _ZN9rocsparseL41csrgemm_numeric_fill_block_per_row_kernelILj512ELj32ELj1024ELj137ELj64Eii21rocsparse_complex_numIfEEEvT5_PKS3_S5_NS_24const_host_device_scalarIT6_EEPKT4_S5_PKS7_SB_S5_SD_S8_SB_S5_SD_SB_S5_PS7_21rocsparse_index_base_SF_SF_SF_bbb.kd
    .uniform_work_group_size: 1
    .uses_dynamic_stack: false
    .vgpr_count:     22
    .vgpr_spill_count: 0
    .wavefront_size: 64
  - .agpr_count:     0
    .args:
      - .offset:         0
        .size:           4
        .value_kind:     by_value
      - .actual_access:  read_only
        .address_space:  global
        .offset:         8
        .size:           8
        .value_kind:     global_buffer
      - .actual_access:  read_only
        .address_space:  global
        .offset:         16
        .size:           8
        .value_kind:     global_buffer
      - .offset:         24
        .size:           8
        .value_kind:     by_value
      - .actual_access:  read_only
        .address_space:  global
        .offset:         32
        .size:           8
        .value_kind:     global_buffer
      - .actual_access:  read_only
        .address_space:  global
        .offset:         40
        .size:           8
        .value_kind:     global_buffer
      - .actual_access:  read_only
        .address_space:  global
        .offset:         48
        .size:           8
        .value_kind:     global_buffer
      - .actual_access:  read_only
        .address_space:  global
        .offset:         56
        .size:           8
        .value_kind:     global_buffer
      - .actual_access:  read_only
        .address_space:  global
        .offset:         64
        .size:           8
        .value_kind:     global_buffer
      - .actual_access:  read_only
        .address_space:  global
        .offset:         72
        .size:           8
        .value_kind:     global_buffer
      - .offset:         80
        .size:           8
        .value_kind:     by_value
      - .actual_access:  read_only
        .address_space:  global
        .offset:         88
        .size:           8
        .value_kind:     global_buffer
      - .actual_access:  read_only
        .address_space:  global
        .offset:         96
        .size:           8
        .value_kind:     global_buffer
      - .actual_access:  read_only
        .address_space:  global
        .offset:         104
        .size:           8
        .value_kind:     global_buffer
      - .actual_access:  read_only
        .address_space:  global
        .offset:         112
        .size:           8
        .value_kind:     global_buffer
      - .actual_access:  read_only
        .address_space:  global
        .offset:         120
        .size:           8
        .value_kind:     global_buffer
      - .actual_access:  write_only
        .address_space:  global
        .offset:         128
        .size:           8
        .value_kind:     global_buffer
      - .offset:         136
        .size:           4
        .value_kind:     by_value
      - .offset:         140
        .size:           4
        .value_kind:     by_value
      - .offset:         144
        .size:           4
        .value_kind:     by_value
      - .offset:         148
        .size:           4
        .value_kind:     by_value
      - .offset:         152
        .size:           1
        .value_kind:     by_value
      - .offset:         153
        .size:           1
        .value_kind:     by_value
      - .offset:         154
        .size:           1
        .value_kind:     by_value
    .group_segment_fixed_size: 0
    .kernarg_segment_align: 8
    .kernarg_segment_size: 156
    .language:       OpenCL C
    .language_version:
      - 2
      - 0
    .max_flat_workgroup_size: 1024
    .name:           _ZN9rocsparseL41csrgemm_numeric_fill_block_per_row_kernelILj1024ELj32ELj2048ELj137ELj32Eii21rocsparse_complex_numIfEEEvT5_PKS3_S5_NS_24const_host_device_scalarIT6_EEPKT4_S5_PKS7_SB_S5_SD_S8_SB_S5_SD_SB_S5_PS7_21rocsparse_index_base_SF_SF_SF_bbb
    .private_segment_fixed_size: 0
    .sgpr_count:     84
    .sgpr_spill_count: 0
    .symbol:         _ZN9rocsparseL41csrgemm_numeric_fill_block_per_row_kernelILj1024ELj32ELj2048ELj137ELj32Eii21rocsparse_complex_numIfEEEvT5_PKS3_S5_NS_24const_host_device_scalarIT6_EEPKT4_S5_PKS7_SB_S5_SD_S8_SB_S5_SD_SB_S5_PS7_21rocsparse_index_base_SF_SF_SF_bbb.kd
    .uniform_work_group_size: 1
    .uses_dynamic_stack: false
    .vgpr_count:     22
    .vgpr_spill_count: 0
    .wavefront_size: 64
  - .agpr_count:     0
    .args:
      - .offset:         0
        .size:           4
        .value_kind:     by_value
      - .actual_access:  read_only
        .address_space:  global
        .offset:         8
        .size:           8
        .value_kind:     global_buffer
      - .actual_access:  read_only
        .address_space:  global
        .offset:         16
        .size:           8
        .value_kind:     global_buffer
      - .offset:         24
        .size:           8
        .value_kind:     by_value
      - .actual_access:  read_only
        .address_space:  global
        .offset:         32
        .size:           8
        .value_kind:     global_buffer
      - .actual_access:  read_only
        .address_space:  global
        .offset:         40
        .size:           8
        .value_kind:     global_buffer
      - .actual_access:  read_only
        .address_space:  global
        .offset:         48
        .size:           8
        .value_kind:     global_buffer
      - .actual_access:  read_only
        .address_space:  global
        .offset:         56
        .size:           8
        .value_kind:     global_buffer
      - .actual_access:  read_only
        .address_space:  global
        .offset:         64
        .size:           8
        .value_kind:     global_buffer
      - .actual_access:  read_only
        .address_space:  global
        .offset:         72
        .size:           8
        .value_kind:     global_buffer
      - .offset:         80
        .size:           8
        .value_kind:     by_value
      - .actual_access:  read_only
        .address_space:  global
        .offset:         88
        .size:           8
        .value_kind:     global_buffer
      - .actual_access:  read_only
        .address_space:  global
        .offset:         96
        .size:           8
        .value_kind:     global_buffer
      - .actual_access:  read_only
        .address_space:  global
        .offset:         104
        .size:           8
        .value_kind:     global_buffer
      - .actual_access:  read_only
        .address_space:  global
        .offset:         112
        .size:           8
        .value_kind:     global_buffer
      - .actual_access:  read_only
        .address_space:  global
        .offset:         120
        .size:           8
        .value_kind:     global_buffer
      - .actual_access:  write_only
        .address_space:  global
        .offset:         128
        .size:           8
        .value_kind:     global_buffer
      - .offset:         136
        .size:           4
        .value_kind:     by_value
      - .offset:         140
        .size:           4
        .value_kind:     by_value
      - .offset:         144
        .size:           4
        .value_kind:     by_value
      - .offset:         148
        .size:           4
        .value_kind:     by_value
      - .offset:         152
        .size:           1
        .value_kind:     by_value
      - .offset:         153
        .size:           1
        .value_kind:     by_value
      - .offset:         154
        .size:           1
        .value_kind:     by_value
    .group_segment_fixed_size: 0
    .kernarg_segment_align: 8
    .kernarg_segment_size: 156
    .language:       OpenCL C
    .language_version:
      - 2
      - 0
    .max_flat_workgroup_size: 1024
    .name:           _ZN9rocsparseL41csrgemm_numeric_fill_block_per_row_kernelILj1024ELj32ELj2048ELj137ELj64Eii21rocsparse_complex_numIfEEEvT5_PKS3_S5_NS_24const_host_device_scalarIT6_EEPKT4_S5_PKS7_SB_S5_SD_S8_SB_S5_SD_SB_S5_PS7_21rocsparse_index_base_SF_SF_SF_bbb
    .private_segment_fixed_size: 0
    .sgpr_count:     59
    .sgpr_spill_count: 0
    .symbol:         _ZN9rocsparseL41csrgemm_numeric_fill_block_per_row_kernelILj1024ELj32ELj2048ELj137ELj64Eii21rocsparse_complex_numIfEEEvT5_PKS3_S5_NS_24const_host_device_scalarIT6_EEPKT4_S5_PKS7_SB_S5_SD_S8_SB_S5_SD_SB_S5_PS7_21rocsparse_index_base_SF_SF_SF_bbb.kd
    .uniform_work_group_size: 1
    .uses_dynamic_stack: false
    .vgpr_count:     22
    .vgpr_spill_count: 0
    .wavefront_size: 64
  - .agpr_count:     0
    .args:
      - .offset:         0
        .size:           4
        .value_kind:     by_value
      - .actual_access:  read_only
        .address_space:  global
        .offset:         8
        .size:           8
        .value_kind:     global_buffer
      - .actual_access:  read_only
        .address_space:  global
        .offset:         16
        .size:           8
        .value_kind:     global_buffer
      - .offset:         24
        .size:           8
        .value_kind:     by_value
      - .actual_access:  read_only
        .address_space:  global
        .offset:         32
        .size:           8
        .value_kind:     global_buffer
      - .actual_access:  read_only
        .address_space:  global
        .offset:         40
        .size:           8
        .value_kind:     global_buffer
      - .actual_access:  read_only
        .address_space:  global
        .offset:         48
        .size:           8
        .value_kind:     global_buffer
      - .actual_access:  read_only
        .address_space:  global
        .offset:         56
        .size:           8
        .value_kind:     global_buffer
      - .actual_access:  read_only
        .address_space:  global
        .offset:         64
        .size:           8
        .value_kind:     global_buffer
      - .actual_access:  read_only
        .address_space:  global
        .offset:         72
        .size:           8
        .value_kind:     global_buffer
      - .offset:         80
        .size:           8
        .value_kind:     by_value
      - .actual_access:  read_only
        .address_space:  global
        .offset:         88
        .size:           8
        .value_kind:     global_buffer
      - .actual_access:  read_only
        .address_space:  global
        .offset:         96
        .size:           8
        .value_kind:     global_buffer
      - .actual_access:  read_only
        .address_space:  global
        .offset:         104
        .size:           8
        .value_kind:     global_buffer
      - .actual_access:  read_only
        .address_space:  global
        .offset:         112
        .size:           8
        .value_kind:     global_buffer
      - .actual_access:  read_only
        .address_space:  global
        .offset:         120
        .size:           8
        .value_kind:     global_buffer
      - .actual_access:  write_only
        .address_space:  global
        .offset:         128
        .size:           8
        .value_kind:     global_buffer
      - .offset:         136
        .size:           4
        .value_kind:     by_value
      - .offset:         140
        .size:           4
        .value_kind:     by_value
      - .offset:         144
        .size:           4
        .value_kind:     by_value
      - .offset:         148
        .size:           4
        .value_kind:     by_value
      - .offset:         152
        .size:           1
        .value_kind:     by_value
      - .offset:         153
        .size:           1
        .value_kind:     by_value
      - .offset:         154
        .size:           1
        .value_kind:     by_value
    .group_segment_fixed_size: 0
    .kernarg_segment_align: 8
    .kernarg_segment_size: 156
    .language:       OpenCL C
    .language_version:
      - 2
      - 0
    .max_flat_workgroup_size: 1024
    .name:           _ZN9rocsparseL41csrgemm_numeric_fill_block_per_row_kernelILj1024ELj64ELj4096ELj137ELj32Eii21rocsparse_complex_numIfEEEvT5_PKS3_S5_NS_24const_host_device_scalarIT6_EEPKT4_S5_PKS7_SB_S5_SD_S8_SB_S5_SD_SB_S5_PS7_21rocsparse_index_base_SF_SF_SF_bbb
    .private_segment_fixed_size: 0
    .sgpr_count:     84
    .sgpr_spill_count: 0
    .symbol:         _ZN9rocsparseL41csrgemm_numeric_fill_block_per_row_kernelILj1024ELj64ELj4096ELj137ELj32Eii21rocsparse_complex_numIfEEEvT5_PKS3_S5_NS_24const_host_device_scalarIT6_EEPKT4_S5_PKS7_SB_S5_SD_S8_SB_S5_SD_SB_S5_PS7_21rocsparse_index_base_SF_SF_SF_bbb.kd
    .uniform_work_group_size: 1
    .uses_dynamic_stack: false
    .vgpr_count:     22
    .vgpr_spill_count: 0
    .wavefront_size: 64
  - .agpr_count:     0
    .args:
      - .offset:         0
        .size:           4
        .value_kind:     by_value
      - .actual_access:  read_only
        .address_space:  global
        .offset:         8
        .size:           8
        .value_kind:     global_buffer
      - .actual_access:  read_only
        .address_space:  global
        .offset:         16
        .size:           8
        .value_kind:     global_buffer
      - .offset:         24
        .size:           8
        .value_kind:     by_value
      - .actual_access:  read_only
        .address_space:  global
        .offset:         32
        .size:           8
        .value_kind:     global_buffer
      - .actual_access:  read_only
        .address_space:  global
        .offset:         40
        .size:           8
        .value_kind:     global_buffer
      - .actual_access:  read_only
        .address_space:  global
        .offset:         48
        .size:           8
        .value_kind:     global_buffer
      - .actual_access:  read_only
        .address_space:  global
        .offset:         56
        .size:           8
        .value_kind:     global_buffer
      - .actual_access:  read_only
        .address_space:  global
        .offset:         64
        .size:           8
        .value_kind:     global_buffer
      - .actual_access:  read_only
        .address_space:  global
        .offset:         72
        .size:           8
        .value_kind:     global_buffer
      - .offset:         80
        .size:           8
        .value_kind:     by_value
      - .actual_access:  read_only
        .address_space:  global
        .offset:         88
        .size:           8
        .value_kind:     global_buffer
      - .actual_access:  read_only
        .address_space:  global
        .offset:         96
        .size:           8
        .value_kind:     global_buffer
      - .actual_access:  read_only
        .address_space:  global
        .offset:         104
        .size:           8
        .value_kind:     global_buffer
      - .actual_access:  read_only
        .address_space:  global
        .offset:         112
        .size:           8
        .value_kind:     global_buffer
      - .actual_access:  read_only
        .address_space:  global
        .offset:         120
        .size:           8
        .value_kind:     global_buffer
      - .actual_access:  write_only
        .address_space:  global
        .offset:         128
        .size:           8
        .value_kind:     global_buffer
      - .offset:         136
        .size:           4
        .value_kind:     by_value
      - .offset:         140
        .size:           4
        .value_kind:     by_value
      - .offset:         144
        .size:           4
        .value_kind:     by_value
      - .offset:         148
        .size:           4
        .value_kind:     by_value
      - .offset:         152
        .size:           1
        .value_kind:     by_value
      - .offset:         153
        .size:           1
        .value_kind:     by_value
      - .offset:         154
        .size:           1
        .value_kind:     by_value
    .group_segment_fixed_size: 0
    .kernarg_segment_align: 8
    .kernarg_segment_size: 156
    .language:       OpenCL C
    .language_version:
      - 2
      - 0
    .max_flat_workgroup_size: 1024
    .name:           _ZN9rocsparseL41csrgemm_numeric_fill_block_per_row_kernelILj1024ELj64ELj4096ELj137ELj64Eii21rocsparse_complex_numIfEEEvT5_PKS3_S5_NS_24const_host_device_scalarIT6_EEPKT4_S5_PKS7_SB_S5_SD_S8_SB_S5_SD_SB_S5_PS7_21rocsparse_index_base_SF_SF_SF_bbb
    .private_segment_fixed_size: 0
    .sgpr_count:     59
    .sgpr_spill_count: 0
    .symbol:         _ZN9rocsparseL41csrgemm_numeric_fill_block_per_row_kernelILj1024ELj64ELj4096ELj137ELj64Eii21rocsparse_complex_numIfEEEvT5_PKS3_S5_NS_24const_host_device_scalarIT6_EEPKT4_S5_PKS7_SB_S5_SD_S8_SB_S5_SD_SB_S5_PS7_21rocsparse_index_base_SF_SF_SF_bbb.kd
    .uniform_work_group_size: 1
    .uses_dynamic_stack: false
    .vgpr_count:     22
    .vgpr_spill_count: 0
    .wavefront_size: 64
  - .agpr_count:     0
    .args:
      - .offset:         0
        .size:           4
        .value_kind:     by_value
      - .actual_access:  read_only
        .address_space:  global
        .offset:         8
        .size:           8
        .value_kind:     global_buffer
      - .actual_access:  read_only
        .address_space:  global
        .offset:         16
        .size:           8
        .value_kind:     global_buffer
      - .offset:         24
        .size:           8
        .value_kind:     by_value
      - .actual_access:  read_only
        .address_space:  global
        .offset:         32
        .size:           8
        .value_kind:     global_buffer
      - .actual_access:  read_only
        .address_space:  global
        .offset:         40
        .size:           8
        .value_kind:     global_buffer
      - .actual_access:  read_only
        .address_space:  global
        .offset:         48
        .size:           8
        .value_kind:     global_buffer
      - .actual_access:  read_only
        .address_space:  global
        .offset:         56
        .size:           8
        .value_kind:     global_buffer
      - .actual_access:  read_only
        .address_space:  global
        .offset:         64
        .size:           8
        .value_kind:     global_buffer
      - .actual_access:  read_only
        .address_space:  global
        .offset:         72
        .size:           8
        .value_kind:     global_buffer
      - .offset:         80
        .size:           8
        .value_kind:     by_value
      - .actual_access:  read_only
        .address_space:  global
        .offset:         88
        .size:           8
        .value_kind:     global_buffer
      - .actual_access:  read_only
        .address_space:  global
        .offset:         96
        .size:           8
        .value_kind:     global_buffer
      - .actual_access:  read_only
        .address_space:  global
        .offset:         104
        .size:           8
        .value_kind:     global_buffer
      - .actual_access:  read_only
        .address_space:  global
        .offset:         112
        .size:           8
        .value_kind:     global_buffer
      - .actual_access:  read_only
        .address_space:  global
        .offset:         120
        .size:           8
        .value_kind:     global_buffer
      - .actual_access:  write_only
        .address_space:  global
        .offset:         128
        .size:           8
        .value_kind:     global_buffer
      - .offset:         136
        .size:           4
        .value_kind:     by_value
      - .offset:         140
        .size:           4
        .value_kind:     by_value
      - .offset:         144
        .size:           4
        .value_kind:     by_value
      - .offset:         148
        .size:           4
        .value_kind:     by_value
      - .offset:         152
        .size:           1
        .value_kind:     by_value
      - .offset:         153
        .size:           1
        .value_kind:     by_value
      - .offset:         154
        .size:           1
        .value_kind:     by_value
    .group_segment_fixed_size: 0
    .kernarg_segment_align: 8
    .kernarg_segment_size: 156
    .language:       OpenCL C
    .language_version:
      - 2
      - 0
    .max_flat_workgroup_size: 1024
    .name:           _ZN9rocsparseL41csrgemm_numeric_fill_block_per_row_kernelILj1024ELj64ELj8192ELj137ELj32Eii21rocsparse_complex_numIfEEEvT5_PKS3_S5_NS_24const_host_device_scalarIT6_EEPKT4_S5_PKS7_SB_S5_SD_S8_SB_S5_SD_SB_S5_PS7_21rocsparse_index_base_SF_SF_SF_bbb
    .private_segment_fixed_size: 0
    .sgpr_count:     106
    .sgpr_spill_count: 11
    .symbol:         _ZN9rocsparseL41csrgemm_numeric_fill_block_per_row_kernelILj1024ELj64ELj8192ELj137ELj32Eii21rocsparse_complex_numIfEEEvT5_PKS3_S5_NS_24const_host_device_scalarIT6_EEPKT4_S5_PKS7_SB_S5_SD_S8_SB_S5_SD_SB_S5_PS7_21rocsparse_index_base_SF_SF_SF_bbb.kd
    .uniform_work_group_size: 1
    .uses_dynamic_stack: false
    .vgpr_count:     23
    .vgpr_spill_count: 0
    .wavefront_size: 64
  - .agpr_count:     0
    .args:
      - .offset:         0
        .size:           4
        .value_kind:     by_value
      - .actual_access:  read_only
        .address_space:  global
        .offset:         8
        .size:           8
        .value_kind:     global_buffer
      - .actual_access:  read_only
        .address_space:  global
        .offset:         16
        .size:           8
        .value_kind:     global_buffer
      - .offset:         24
        .size:           8
        .value_kind:     by_value
      - .actual_access:  read_only
        .address_space:  global
        .offset:         32
        .size:           8
        .value_kind:     global_buffer
      - .actual_access:  read_only
        .address_space:  global
        .offset:         40
        .size:           8
        .value_kind:     global_buffer
      - .actual_access:  read_only
        .address_space:  global
        .offset:         48
        .size:           8
        .value_kind:     global_buffer
      - .actual_access:  read_only
        .address_space:  global
        .offset:         56
        .size:           8
        .value_kind:     global_buffer
      - .actual_access:  read_only
        .address_space:  global
        .offset:         64
        .size:           8
        .value_kind:     global_buffer
      - .actual_access:  read_only
        .address_space:  global
        .offset:         72
        .size:           8
        .value_kind:     global_buffer
      - .offset:         80
        .size:           8
        .value_kind:     by_value
      - .actual_access:  read_only
        .address_space:  global
        .offset:         88
        .size:           8
        .value_kind:     global_buffer
      - .actual_access:  read_only
        .address_space:  global
        .offset:         96
        .size:           8
        .value_kind:     global_buffer
      - .actual_access:  read_only
        .address_space:  global
        .offset:         104
        .size:           8
        .value_kind:     global_buffer
      - .actual_access:  read_only
        .address_space:  global
        .offset:         112
        .size:           8
        .value_kind:     global_buffer
      - .actual_access:  read_only
        .address_space:  global
        .offset:         120
        .size:           8
        .value_kind:     global_buffer
      - .actual_access:  write_only
        .address_space:  global
        .offset:         128
        .size:           8
        .value_kind:     global_buffer
      - .offset:         136
        .size:           4
        .value_kind:     by_value
      - .offset:         140
        .size:           4
        .value_kind:     by_value
      - .offset:         144
        .size:           4
        .value_kind:     by_value
      - .offset:         148
        .size:           4
        .value_kind:     by_value
      - .offset:         152
        .size:           1
        .value_kind:     by_value
      - .offset:         153
        .size:           1
        .value_kind:     by_value
      - .offset:         154
        .size:           1
        .value_kind:     by_value
    .group_segment_fixed_size: 0
    .kernarg_segment_align: 8
    .kernarg_segment_size: 156
    .language:       OpenCL C
    .language_version:
      - 2
      - 0
    .max_flat_workgroup_size: 1024
    .name:           _ZN9rocsparseL41csrgemm_numeric_fill_block_per_row_kernelILj1024ELj64ELj8192ELj137ELj64Eii21rocsparse_complex_numIfEEEvT5_PKS3_S5_NS_24const_host_device_scalarIT6_EEPKT4_S5_PKS7_SB_S5_SD_S8_SB_S5_SD_SB_S5_PS7_21rocsparse_index_base_SF_SF_SF_bbb
    .private_segment_fixed_size: 0
    .sgpr_count:     67
    .sgpr_spill_count: 0
    .symbol:         _ZN9rocsparseL41csrgemm_numeric_fill_block_per_row_kernelILj1024ELj64ELj8192ELj137ELj64Eii21rocsparse_complex_numIfEEEvT5_PKS3_S5_NS_24const_host_device_scalarIT6_EEPKT4_S5_PKS7_SB_S5_SD_S8_SB_S5_SD_SB_S5_PS7_21rocsparse_index_base_SF_SF_SF_bbb.kd
    .uniform_work_group_size: 1
    .uses_dynamic_stack: false
    .vgpr_count:     22
    .vgpr_spill_count: 0
    .wavefront_size: 64
  - .agpr_count:     0
    .args:
      - .offset:         0
        .size:           4
        .value_kind:     by_value
      - .actual_access:  read_only
        .address_space:  global
        .offset:         8
        .size:           8
        .value_kind:     global_buffer
      - .actual_access:  read_only
        .address_space:  global
        .offset:         16
        .size:           8
        .value_kind:     global_buffer
      - .offset:         24
        .size:           8
        .value_kind:     by_value
      - .actual_access:  read_only
        .address_space:  global
        .offset:         32
        .size:           8
        .value_kind:     global_buffer
      - .actual_access:  read_only
        .address_space:  global
        .offset:         40
        .size:           8
        .value_kind:     global_buffer
      - .actual_access:  read_only
        .address_space:  global
        .offset:         48
        .size:           8
        .value_kind:     global_buffer
      - .actual_access:  read_only
        .address_space:  global
        .offset:         56
        .size:           8
        .value_kind:     global_buffer
      - .actual_access:  read_only
        .address_space:  global
        .offset:         64
        .size:           8
        .value_kind:     global_buffer
      - .actual_access:  read_only
        .address_space:  global
        .offset:         72
        .size:           8
        .value_kind:     global_buffer
      - .offset:         80
        .size:           8
        .value_kind:     by_value
      - .actual_access:  read_only
        .address_space:  global
        .offset:         88
        .size:           8
        .value_kind:     global_buffer
      - .actual_access:  read_only
        .address_space:  global
        .offset:         96
        .size:           8
        .value_kind:     global_buffer
      - .actual_access:  read_only
        .address_space:  global
        .offset:         104
        .size:           8
        .value_kind:     global_buffer
      - .actual_access:  read_only
        .address_space:  global
        .offset:         112
        .size:           8
        .value_kind:     global_buffer
      - .actual_access:  read_only
        .address_space:  global
        .offset:         120
        .size:           8
        .value_kind:     global_buffer
      - .actual_access:  write_only
        .address_space:  global
        .offset:         128
        .size:           8
        .value_kind:     global_buffer
      - .offset:         136
        .size:           4
        .value_kind:     by_value
      - .offset:         140
        .size:           4
        .value_kind:     by_value
      - .offset:         144
        .size:           4
        .value_kind:     by_value
      - .offset:         148
        .size:           4
        .value_kind:     by_value
      - .offset:         152
        .size:           1
        .value_kind:     by_value
      - .offset:         153
        .size:           1
        .value_kind:     by_value
      - .offset:         154
        .size:           1
        .value_kind:     by_value
    .group_segment_fixed_size: 0
    .kernarg_segment_align: 8
    .kernarg_segment_size: 156
    .language:       OpenCL C
    .language_version:
      - 2
      - 0
    .max_flat_workgroup_size: 1024
    .name:           _ZN9rocsparseL41csrgemm_numeric_fill_block_per_row_kernelILj1024ELj64ELj16384ELj137ELj32Eii21rocsparse_complex_numIfEEEvT5_PKS3_S5_NS_24const_host_device_scalarIT6_EEPKT4_S5_PKS7_SB_S5_SD_S8_SB_S5_SD_SB_S5_PS7_21rocsparse_index_base_SF_SF_SF_bbb
    .private_segment_fixed_size: 0
    .sgpr_count:     106
    .sgpr_spill_count: 11
    .symbol:         _ZN9rocsparseL41csrgemm_numeric_fill_block_per_row_kernelILj1024ELj64ELj16384ELj137ELj32Eii21rocsparse_complex_numIfEEEvT5_PKS3_S5_NS_24const_host_device_scalarIT6_EEPKT4_S5_PKS7_SB_S5_SD_S8_SB_S5_SD_SB_S5_PS7_21rocsparse_index_base_SF_SF_SF_bbb.kd
    .uniform_work_group_size: 1
    .uses_dynamic_stack: false
    .vgpr_count:     23
    .vgpr_spill_count: 0
    .wavefront_size: 64
  - .agpr_count:     0
    .args:
      - .offset:         0
        .size:           4
        .value_kind:     by_value
      - .actual_access:  read_only
        .address_space:  global
        .offset:         8
        .size:           8
        .value_kind:     global_buffer
      - .actual_access:  read_only
        .address_space:  global
        .offset:         16
        .size:           8
        .value_kind:     global_buffer
      - .offset:         24
        .size:           8
        .value_kind:     by_value
      - .actual_access:  read_only
        .address_space:  global
        .offset:         32
        .size:           8
        .value_kind:     global_buffer
      - .actual_access:  read_only
        .address_space:  global
        .offset:         40
        .size:           8
        .value_kind:     global_buffer
      - .actual_access:  read_only
        .address_space:  global
        .offset:         48
        .size:           8
        .value_kind:     global_buffer
      - .actual_access:  read_only
        .address_space:  global
        .offset:         56
        .size:           8
        .value_kind:     global_buffer
      - .actual_access:  read_only
        .address_space:  global
        .offset:         64
        .size:           8
        .value_kind:     global_buffer
      - .actual_access:  read_only
        .address_space:  global
        .offset:         72
        .size:           8
        .value_kind:     global_buffer
      - .offset:         80
        .size:           8
        .value_kind:     by_value
      - .actual_access:  read_only
        .address_space:  global
        .offset:         88
        .size:           8
        .value_kind:     global_buffer
      - .actual_access:  read_only
        .address_space:  global
        .offset:         96
        .size:           8
        .value_kind:     global_buffer
      - .actual_access:  read_only
        .address_space:  global
        .offset:         104
        .size:           8
        .value_kind:     global_buffer
      - .actual_access:  read_only
        .address_space:  global
        .offset:         112
        .size:           8
        .value_kind:     global_buffer
      - .actual_access:  read_only
        .address_space:  global
        .offset:         120
        .size:           8
        .value_kind:     global_buffer
      - .actual_access:  write_only
        .address_space:  global
        .offset:         128
        .size:           8
        .value_kind:     global_buffer
      - .offset:         136
        .size:           4
        .value_kind:     by_value
      - .offset:         140
        .size:           4
        .value_kind:     by_value
      - .offset:         144
        .size:           4
        .value_kind:     by_value
      - .offset:         148
        .size:           4
        .value_kind:     by_value
      - .offset:         152
        .size:           1
        .value_kind:     by_value
      - .offset:         153
        .size:           1
        .value_kind:     by_value
      - .offset:         154
        .size:           1
        .value_kind:     by_value
    .group_segment_fixed_size: 0
    .kernarg_segment_align: 8
    .kernarg_segment_size: 156
    .language:       OpenCL C
    .language_version:
      - 2
      - 0
    .max_flat_workgroup_size: 1024
    .name:           _ZN9rocsparseL41csrgemm_numeric_fill_block_per_row_kernelILj1024ELj64ELj16384ELj137ELj64Eii21rocsparse_complex_numIfEEEvT5_PKS3_S5_NS_24const_host_device_scalarIT6_EEPKT4_S5_PKS7_SB_S5_SD_S8_SB_S5_SD_SB_S5_PS7_21rocsparse_index_base_SF_SF_SF_bbb
    .private_segment_fixed_size: 0
    .sgpr_count:     67
    .sgpr_spill_count: 0
    .symbol:         _ZN9rocsparseL41csrgemm_numeric_fill_block_per_row_kernelILj1024ELj64ELj16384ELj137ELj64Eii21rocsparse_complex_numIfEEEvT5_PKS3_S5_NS_24const_host_device_scalarIT6_EEPKT4_S5_PKS7_SB_S5_SD_S8_SB_S5_SD_SB_S5_PS7_21rocsparse_index_base_SF_SF_SF_bbb.kd
    .uniform_work_group_size: 1
    .uses_dynamic_stack: false
    .vgpr_count:     22
    .vgpr_spill_count: 0
    .wavefront_size: 64
  - .agpr_count:     0
    .args:
      - .offset:         0
        .size:           4
        .value_kind:     by_value
      - .actual_access:  read_only
        .address_space:  global
        .offset:         8
        .size:           8
        .value_kind:     global_buffer
      - .actual_access:  read_only
        .address_space:  global
        .offset:         16
        .size:           8
        .value_kind:     global_buffer
      - .offset:         24
        .size:           8
        .value_kind:     by_value
      - .actual_access:  read_only
        .address_space:  global
        .offset:         32
        .size:           8
        .value_kind:     global_buffer
      - .actual_access:  read_only
        .address_space:  global
        .offset:         40
        .size:           8
        .value_kind:     global_buffer
      - .actual_access:  read_only
        .address_space:  global
        .offset:         48
        .size:           8
        .value_kind:     global_buffer
      - .actual_access:  read_only
        .address_space:  global
        .offset:         56
        .size:           8
        .value_kind:     global_buffer
      - .actual_access:  read_only
        .address_space:  global
        .offset:         64
        .size:           8
        .value_kind:     global_buffer
      - .actual_access:  read_only
        .address_space:  global
        .offset:         72
        .size:           8
        .value_kind:     global_buffer
      - .offset:         80
        .size:           8
        .value_kind:     by_value
      - .actual_access:  read_only
        .address_space:  global
        .offset:         88
        .size:           8
        .value_kind:     global_buffer
      - .actual_access:  read_only
        .address_space:  global
        .offset:         96
        .size:           8
        .value_kind:     global_buffer
      - .actual_access:  read_only
        .address_space:  global
        .offset:         104
        .size:           8
        .value_kind:     global_buffer
      - .actual_access:  read_only
        .address_space:  global
        .offset:         112
        .size:           8
        .value_kind:     global_buffer
      - .actual_access:  read_only
        .address_space:  global
        .offset:         120
        .size:           8
        .value_kind:     global_buffer
      - .actual_access:  write_only
        .address_space:  global
        .offset:         128
        .size:           8
        .value_kind:     global_buffer
      - .offset:         136
        .size:           4
        .value_kind:     by_value
      - .offset:         140
        .size:           4
        .value_kind:     by_value
      - .offset:         144
        .size:           4
        .value_kind:     by_value
      - .offset:         148
        .size:           4
        .value_kind:     by_value
      - .offset:         152
        .size:           1
        .value_kind:     by_value
      - .offset:         153
        .size:           1
        .value_kind:     by_value
      - .offset:         154
        .size:           1
        .value_kind:     by_value
    .group_segment_fixed_size: 0
    .kernarg_segment_align: 8
    .kernarg_segment_size: 156
    .language:       OpenCL C
    .language_version:
      - 2
      - 0
    .max_flat_workgroup_size: 1024
    .name:           _ZN9rocsparseL41csrgemm_numeric_fill_block_per_row_kernelILj1024ELj64ELj32768ELj137ELj32Eii21rocsparse_complex_numIfEEEvT5_PKS3_S5_NS_24const_host_device_scalarIT6_EEPKT4_S5_PKS7_SB_S5_SD_S8_SB_S5_SD_SB_S5_PS7_21rocsparse_index_base_SF_SF_SF_bbb
    .private_segment_fixed_size: 0
    .sgpr_count:     106
    .sgpr_spill_count: 11
    .symbol:         _ZN9rocsparseL41csrgemm_numeric_fill_block_per_row_kernelILj1024ELj64ELj32768ELj137ELj32Eii21rocsparse_complex_numIfEEEvT5_PKS3_S5_NS_24const_host_device_scalarIT6_EEPKT4_S5_PKS7_SB_S5_SD_S8_SB_S5_SD_SB_S5_PS7_21rocsparse_index_base_SF_SF_SF_bbb.kd
    .uniform_work_group_size: 1
    .uses_dynamic_stack: false
    .vgpr_count:     23
    .vgpr_spill_count: 0
    .wavefront_size: 64
  - .agpr_count:     0
    .args:
      - .offset:         0
        .size:           4
        .value_kind:     by_value
      - .actual_access:  read_only
        .address_space:  global
        .offset:         8
        .size:           8
        .value_kind:     global_buffer
      - .actual_access:  read_only
        .address_space:  global
        .offset:         16
        .size:           8
        .value_kind:     global_buffer
      - .offset:         24
        .size:           8
        .value_kind:     by_value
      - .actual_access:  read_only
        .address_space:  global
        .offset:         32
        .size:           8
        .value_kind:     global_buffer
      - .actual_access:  read_only
        .address_space:  global
        .offset:         40
        .size:           8
        .value_kind:     global_buffer
      - .actual_access:  read_only
        .address_space:  global
        .offset:         48
        .size:           8
        .value_kind:     global_buffer
      - .actual_access:  read_only
        .address_space:  global
        .offset:         56
        .size:           8
        .value_kind:     global_buffer
      - .actual_access:  read_only
        .address_space:  global
        .offset:         64
        .size:           8
        .value_kind:     global_buffer
      - .actual_access:  read_only
        .address_space:  global
        .offset:         72
        .size:           8
        .value_kind:     global_buffer
      - .offset:         80
        .size:           8
        .value_kind:     by_value
      - .actual_access:  read_only
        .address_space:  global
        .offset:         88
        .size:           8
        .value_kind:     global_buffer
      - .actual_access:  read_only
        .address_space:  global
        .offset:         96
        .size:           8
        .value_kind:     global_buffer
      - .actual_access:  read_only
        .address_space:  global
        .offset:         104
        .size:           8
        .value_kind:     global_buffer
      - .actual_access:  read_only
        .address_space:  global
        .offset:         112
        .size:           8
        .value_kind:     global_buffer
      - .actual_access:  read_only
        .address_space:  global
        .offset:         120
        .size:           8
        .value_kind:     global_buffer
      - .actual_access:  write_only
        .address_space:  global
        .offset:         128
        .size:           8
        .value_kind:     global_buffer
      - .offset:         136
        .size:           4
        .value_kind:     by_value
      - .offset:         140
        .size:           4
        .value_kind:     by_value
      - .offset:         144
        .size:           4
        .value_kind:     by_value
      - .offset:         148
        .size:           4
        .value_kind:     by_value
      - .offset:         152
        .size:           1
        .value_kind:     by_value
      - .offset:         153
        .size:           1
        .value_kind:     by_value
      - .offset:         154
        .size:           1
        .value_kind:     by_value
    .group_segment_fixed_size: 0
    .kernarg_segment_align: 8
    .kernarg_segment_size: 156
    .language:       OpenCL C
    .language_version:
      - 2
      - 0
    .max_flat_workgroup_size: 1024
    .name:           _ZN9rocsparseL41csrgemm_numeric_fill_block_per_row_kernelILj1024ELj64ELj32768ELj137ELj64Eii21rocsparse_complex_numIfEEEvT5_PKS3_S5_NS_24const_host_device_scalarIT6_EEPKT4_S5_PKS7_SB_S5_SD_S8_SB_S5_SD_SB_S5_PS7_21rocsparse_index_base_SF_SF_SF_bbb
    .private_segment_fixed_size: 0
    .sgpr_count:     67
    .sgpr_spill_count: 0
    .symbol:         _ZN9rocsparseL41csrgemm_numeric_fill_block_per_row_kernelILj1024ELj64ELj32768ELj137ELj64Eii21rocsparse_complex_numIfEEEvT5_PKS3_S5_NS_24const_host_device_scalarIT6_EEPKT4_S5_PKS7_SB_S5_SD_S8_SB_S5_SD_SB_S5_PS7_21rocsparse_index_base_SF_SF_SF_bbb.kd
    .uniform_work_group_size: 1
    .uses_dynamic_stack: false
    .vgpr_count:     22
    .vgpr_spill_count: 0
    .wavefront_size: 64
  - .agpr_count:     0
    .args:
      - .offset:         0
        .size:           4
        .value_kind:     by_value
      - .actual_access:  read_only
        .address_space:  global
        .offset:         8
        .size:           8
        .value_kind:     global_buffer
      - .actual_access:  read_only
        .address_space:  global
        .offset:         16
        .size:           8
        .value_kind:     global_buffer
      - .offset:         24
        .size:           8
        .value_kind:     by_value
      - .actual_access:  read_only
        .address_space:  global
        .offset:         32
        .size:           8
        .value_kind:     global_buffer
      - .actual_access:  read_only
        .address_space:  global
        .offset:         40
        .size:           8
        .value_kind:     global_buffer
      - .actual_access:  read_only
        .address_space:  global
        .offset:         48
        .size:           8
        .value_kind:     global_buffer
      - .actual_access:  read_only
        .address_space:  global
        .offset:         56
        .size:           8
        .value_kind:     global_buffer
      - .actual_access:  read_only
        .address_space:  global
        .offset:         64
        .size:           8
        .value_kind:     global_buffer
      - .actual_access:  read_only
        .address_space:  global
        .offset:         72
        .size:           8
        .value_kind:     global_buffer
      - .offset:         80
        .size:           8
        .value_kind:     by_value
      - .actual_access:  read_only
        .address_space:  global
        .offset:         88
        .size:           8
        .value_kind:     global_buffer
      - .actual_access:  read_only
        .address_space:  global
        .offset:         96
        .size:           8
        .value_kind:     global_buffer
      - .actual_access:  read_only
        .address_space:  global
        .offset:         104
        .size:           8
        .value_kind:     global_buffer
      - .actual_access:  read_only
        .address_space:  global
        .offset:         112
        .size:           8
        .value_kind:     global_buffer
      - .actual_access:  read_only
        .address_space:  global
        .offset:         120
        .size:           8
        .value_kind:     global_buffer
      - .actual_access:  write_only
        .address_space:  global
        .offset:         128
        .size:           8
        .value_kind:     global_buffer
      - .address_space:  global
        .offset:         136
        .size:           8
        .value_kind:     global_buffer
      - .offset:         144
        .size:           4
        .value_kind:     by_value
      - .offset:         148
        .size:           4
        .value_kind:     by_value
      - .offset:         152
        .size:           4
        .value_kind:     by_value
      - .offset:         156
        .size:           4
        .value_kind:     by_value
      - .offset:         160
        .size:           1
        .value_kind:     by_value
      - .offset:         161
        .size:           1
        .value_kind:     by_value
      - .offset:         162
        .size:           1
        .value_kind:     by_value
    .group_segment_fixed_size: 18436
    .kernarg_segment_align: 8
    .kernarg_segment_size: 164
    .language:       OpenCL C
    .language_version:
      - 2
      - 0
    .max_flat_workgroup_size: 512
    .name:           _ZN9rocsparseL51csrgemm_numeric_fill_block_per_row_multipass_kernelILj512ELj16ELj2048ELj32Eii21rocsparse_complex_numIfEEEvT4_PKS3_S5_NS_24const_host_device_scalarIT5_EEPKT3_S5_PKS7_SB_S5_SD_S8_SB_S5_SD_SB_S5_PS7_PS9_21rocsparse_index_base_SG_SG_SG_bbb
    .private_segment_fixed_size: 0
    .sgpr_count:     97
    .sgpr_spill_count: 0
    .symbol:         _ZN9rocsparseL51csrgemm_numeric_fill_block_per_row_multipass_kernelILj512ELj16ELj2048ELj32Eii21rocsparse_complex_numIfEEEvT4_PKS3_S5_NS_24const_host_device_scalarIT5_EEPKT3_S5_PKS7_SB_S5_SD_S8_SB_S5_SD_SB_S5_PS7_PS9_21rocsparse_index_base_SG_SG_SG_bbb.kd
    .uniform_work_group_size: 1
    .uses_dynamic_stack: false
    .vgpr_count:     34
    .vgpr_spill_count: 0
    .wavefront_size: 64
  - .agpr_count:     0
    .args:
      - .offset:         0
        .size:           4
        .value_kind:     by_value
      - .actual_access:  read_only
        .address_space:  global
        .offset:         8
        .size:           8
        .value_kind:     global_buffer
      - .actual_access:  read_only
        .address_space:  global
        .offset:         16
        .size:           8
        .value_kind:     global_buffer
      - .offset:         24
        .size:           8
        .value_kind:     by_value
      - .actual_access:  read_only
        .address_space:  global
        .offset:         32
        .size:           8
        .value_kind:     global_buffer
      - .actual_access:  read_only
        .address_space:  global
        .offset:         40
        .size:           8
        .value_kind:     global_buffer
      - .actual_access:  read_only
        .address_space:  global
        .offset:         48
        .size:           8
        .value_kind:     global_buffer
      - .actual_access:  read_only
        .address_space:  global
        .offset:         56
        .size:           8
        .value_kind:     global_buffer
      - .actual_access:  read_only
        .address_space:  global
        .offset:         64
        .size:           8
        .value_kind:     global_buffer
      - .actual_access:  read_only
        .address_space:  global
        .offset:         72
        .size:           8
        .value_kind:     global_buffer
      - .offset:         80
        .size:           8
        .value_kind:     by_value
      - .actual_access:  read_only
        .address_space:  global
        .offset:         88
        .size:           8
        .value_kind:     global_buffer
      - .actual_access:  read_only
        .address_space:  global
        .offset:         96
        .size:           8
        .value_kind:     global_buffer
      - .actual_access:  read_only
        .address_space:  global
        .offset:         104
        .size:           8
        .value_kind:     global_buffer
      - .actual_access:  read_only
        .address_space:  global
        .offset:         112
        .size:           8
        .value_kind:     global_buffer
      - .actual_access:  read_only
        .address_space:  global
        .offset:         120
        .size:           8
        .value_kind:     global_buffer
      - .actual_access:  write_only
        .address_space:  global
        .offset:         128
        .size:           8
        .value_kind:     global_buffer
      - .address_space:  global
        .offset:         136
        .size:           8
        .value_kind:     global_buffer
      - .offset:         144
        .size:           4
        .value_kind:     by_value
      - .offset:         148
        .size:           4
        .value_kind:     by_value
      - .offset:         152
        .size:           4
        .value_kind:     by_value
      - .offset:         156
        .size:           4
        .value_kind:     by_value
      - .offset:         160
        .size:           1
        .value_kind:     by_value
      - .offset:         161
        .size:           1
        .value_kind:     by_value
      - .offset:         162
        .size:           1
        .value_kind:     by_value
    .group_segment_fixed_size: 18436
    .kernarg_segment_align: 8
    .kernarg_segment_size: 164
    .language:       OpenCL C
    .language_version:
      - 2
      - 0
    .max_flat_workgroup_size: 512
    .name:           _ZN9rocsparseL51csrgemm_numeric_fill_block_per_row_multipass_kernelILj512ELj16ELj2048ELj64Eii21rocsparse_complex_numIfEEEvT4_PKS3_S5_NS_24const_host_device_scalarIT5_EEPKT3_S5_PKS7_SB_S5_SD_S8_SB_S5_SD_SB_S5_PS7_PS9_21rocsparse_index_base_SG_SG_SG_bbb
    .private_segment_fixed_size: 0
    .sgpr_count:     81
    .sgpr_spill_count: 0
    .symbol:         _ZN9rocsparseL51csrgemm_numeric_fill_block_per_row_multipass_kernelILj512ELj16ELj2048ELj64Eii21rocsparse_complex_numIfEEEvT4_PKS3_S5_NS_24const_host_device_scalarIT5_EEPKT3_S5_PKS7_SB_S5_SD_S8_SB_S5_SD_SB_S5_PS7_PS9_21rocsparse_index_base_SG_SG_SG_bbb.kd
    .uniform_work_group_size: 1
    .uses_dynamic_stack: false
    .vgpr_count:     29
    .vgpr_spill_count: 0
    .wavefront_size: 64
  - .agpr_count:     0
    .args:
      - .offset:         0
        .size:           4
        .value_kind:     by_value
      - .offset:         4
        .size:           4
        .value_kind:     by_value
      - .actual_access:  read_only
        .address_space:  global
        .offset:         8
        .size:           8
        .value_kind:     global_buffer
      - .actual_access:  read_only
        .address_space:  global
        .offset:         16
        .size:           8
        .value_kind:     global_buffer
      - .offset:         24
        .size:           16
        .value_kind:     by_value
      - .actual_access:  read_only
        .address_space:  global
        .offset:         40
        .size:           8
        .value_kind:     global_buffer
      - .actual_access:  read_only
        .address_space:  global
        .offset:         48
        .size:           8
        .value_kind:     global_buffer
      - .actual_access:  read_only
        .address_space:  global
        .offset:         56
        .size:           8
        .value_kind:     global_buffer
      - .actual_access:  read_only
        .address_space:  global
        .offset:         64
        .size:           8
        .value_kind:     global_buffer
      - .actual_access:  read_only
        .address_space:  global
        .offset:         72
        .size:           8
        .value_kind:     global_buffer
      - .actual_access:  read_only
        .address_space:  global
        .offset:         80
        .size:           8
        .value_kind:     global_buffer
      - .offset:         88
        .size:           16
        .value_kind:     by_value
      - .actual_access:  read_only
        .address_space:  global
        .offset:         104
        .size:           8
        .value_kind:     global_buffer
      - .actual_access:  read_only
        .address_space:  global
        .offset:         112
        .size:           8
        .value_kind:     global_buffer
      - .actual_access:  read_only
        .address_space:  global
        .offset:         120
        .size:           8
        .value_kind:     global_buffer
      - .actual_access:  read_only
        .address_space:  global
        .offset:         128
        .size:           8
        .value_kind:     global_buffer
      - .actual_access:  read_only
        .address_space:  global
        .offset:         136
        .size:           8
        .value_kind:     global_buffer
      - .actual_access:  write_only
        .address_space:  global
        .offset:         144
        .size:           8
        .value_kind:     global_buffer
      - .offset:         152
        .size:           4
        .value_kind:     by_value
      - .offset:         156
        .size:           4
        .value_kind:     by_value
      - .offset:         160
        .size:           4
        .value_kind:     by_value
      - .offset:         164
        .size:           4
        .value_kind:     by_value
      - .offset:         168
        .size:           1
        .value_kind:     by_value
      - .offset:         169
        .size:           1
        .value_kind:     by_value
      - .offset:         170
        .size:           1
        .value_kind:     by_value
    .group_segment_fixed_size: 10240
    .kernarg_segment_align: 8
    .kernarg_segment_size: 172
    .language:       OpenCL C
    .language_version:
      - 2
      - 0
    .max_flat_workgroup_size: 256
    .name:           _ZN9rocsparseL38csrgemm_numeric_fill_wf_per_row_kernelILj256ELj8ELj16ELj137Eii21rocsparse_complex_numIdEEEvT4_S3_PKS3_S5_NS_24const_host_device_scalarIT5_EEPKT3_S5_PKS7_SB_S5_SD_S8_SB_S5_SD_SB_S5_PS7_21rocsparse_index_base_SF_SF_SF_bbb
    .private_segment_fixed_size: 24
    .sgpr_count:     56
    .sgpr_spill_count: 0
    .symbol:         _ZN9rocsparseL38csrgemm_numeric_fill_wf_per_row_kernelILj256ELj8ELj16ELj137Eii21rocsparse_complex_numIdEEEvT4_S3_PKS3_S5_NS_24const_host_device_scalarIT5_EEPKT3_S5_PKS7_SB_S5_SD_S8_SB_S5_SD_SB_S5_PS7_21rocsparse_index_base_SF_SF_SF_bbb.kd
    .uniform_work_group_size: 1
    .uses_dynamic_stack: false
    .vgpr_count:     34
    .vgpr_spill_count: 0
    .wavefront_size: 64
  - .agpr_count:     0
    .args:
      - .offset:         0
        .size:           4
        .value_kind:     by_value
      - .offset:         4
        .size:           4
        .value_kind:     by_value
      - .actual_access:  read_only
        .address_space:  global
        .offset:         8
        .size:           8
        .value_kind:     global_buffer
      - .actual_access:  read_only
        .address_space:  global
        .offset:         16
        .size:           8
        .value_kind:     global_buffer
      - .offset:         24
        .size:           16
        .value_kind:     by_value
      - .actual_access:  read_only
        .address_space:  global
        .offset:         40
        .size:           8
        .value_kind:     global_buffer
      - .actual_access:  read_only
        .address_space:  global
        .offset:         48
        .size:           8
        .value_kind:     global_buffer
      - .actual_access:  read_only
        .address_space:  global
        .offset:         56
        .size:           8
        .value_kind:     global_buffer
      - .actual_access:  read_only
        .address_space:  global
        .offset:         64
        .size:           8
        .value_kind:     global_buffer
      - .actual_access:  read_only
        .address_space:  global
        .offset:         72
        .size:           8
        .value_kind:     global_buffer
      - .actual_access:  read_only
        .address_space:  global
        .offset:         80
        .size:           8
        .value_kind:     global_buffer
      - .offset:         88
        .size:           16
        .value_kind:     by_value
      - .actual_access:  read_only
        .address_space:  global
        .offset:         104
        .size:           8
        .value_kind:     global_buffer
      - .actual_access:  read_only
        .address_space:  global
        .offset:         112
        .size:           8
        .value_kind:     global_buffer
      - .actual_access:  read_only
        .address_space:  global
        .offset:         120
        .size:           8
        .value_kind:     global_buffer
      - .actual_access:  read_only
        .address_space:  global
        .offset:         128
        .size:           8
        .value_kind:     global_buffer
      - .actual_access:  read_only
        .address_space:  global
        .offset:         136
        .size:           8
        .value_kind:     global_buffer
      - .actual_access:  write_only
        .address_space:  global
        .offset:         144
        .size:           8
        .value_kind:     global_buffer
      - .offset:         152
        .size:           4
        .value_kind:     by_value
      - .offset:         156
        .size:           4
        .value_kind:     by_value
      - .offset:         160
        .size:           4
        .value_kind:     by_value
      - .offset:         164
        .size:           4
        .value_kind:     by_value
      - .offset:         168
        .size:           1
        .value_kind:     by_value
      - .offset:         169
        .size:           1
        .value_kind:     by_value
      - .offset:         170
        .size:           1
        .value_kind:     by_value
    .group_segment_fixed_size: 10240
    .kernarg_segment_align: 8
    .kernarg_segment_size: 172
    .language:       OpenCL C
    .language_version:
      - 2
      - 0
    .max_flat_workgroup_size: 256
    .name:           _ZN9rocsparseL38csrgemm_numeric_fill_wf_per_row_kernelILj256ELj16ELj32ELj137Eii21rocsparse_complex_numIdEEEvT4_S3_PKS3_S5_NS_24const_host_device_scalarIT5_EEPKT3_S5_PKS7_SB_S5_SD_S8_SB_S5_SD_SB_S5_PS7_21rocsparse_index_base_SF_SF_SF_bbb
    .private_segment_fixed_size: 24
    .sgpr_count:     56
    .sgpr_spill_count: 0
    .symbol:         _ZN9rocsparseL38csrgemm_numeric_fill_wf_per_row_kernelILj256ELj16ELj32ELj137Eii21rocsparse_complex_numIdEEEvT4_S3_PKS3_S5_NS_24const_host_device_scalarIT5_EEPKT3_S5_PKS7_SB_S5_SD_S8_SB_S5_SD_SB_S5_PS7_21rocsparse_index_base_SF_SF_SF_bbb.kd
    .uniform_work_group_size: 1
    .uses_dynamic_stack: false
    .vgpr_count:     34
    .vgpr_spill_count: 0
    .wavefront_size: 64
  - .agpr_count:     0
    .args:
      - .offset:         0
        .size:           4
        .value_kind:     by_value
      - .actual_access:  read_only
        .address_space:  global
        .offset:         8
        .size:           8
        .value_kind:     global_buffer
      - .actual_access:  read_only
        .address_space:  global
        .offset:         16
        .size:           8
        .value_kind:     global_buffer
      - .offset:         24
        .size:           16
        .value_kind:     by_value
      - .actual_access:  read_only
        .address_space:  global
        .offset:         40
        .size:           8
        .value_kind:     global_buffer
      - .actual_access:  read_only
        .address_space:  global
        .offset:         48
        .size:           8
        .value_kind:     global_buffer
      - .actual_access:  read_only
        .address_space:  global
        .offset:         56
        .size:           8
        .value_kind:     global_buffer
      - .actual_access:  read_only
        .address_space:  global
        .offset:         64
        .size:           8
        .value_kind:     global_buffer
      - .actual_access:  read_only
        .address_space:  global
        .offset:         72
        .size:           8
        .value_kind:     global_buffer
      - .actual_access:  read_only
        .address_space:  global
        .offset:         80
        .size:           8
        .value_kind:     global_buffer
      - .offset:         88
        .size:           16
        .value_kind:     by_value
      - .actual_access:  read_only
        .address_space:  global
        .offset:         104
        .size:           8
        .value_kind:     global_buffer
      - .actual_access:  read_only
        .address_space:  global
        .offset:         112
        .size:           8
        .value_kind:     global_buffer
      - .actual_access:  read_only
        .address_space:  global
        .offset:         120
        .size:           8
        .value_kind:     global_buffer
      - .actual_access:  read_only
        .address_space:  global
        .offset:         128
        .size:           8
        .value_kind:     global_buffer
      - .actual_access:  read_only
        .address_space:  global
        .offset:         136
        .size:           8
        .value_kind:     global_buffer
      - .actual_access:  write_only
        .address_space:  global
        .offset:         144
        .size:           8
        .value_kind:     global_buffer
      - .offset:         152
        .size:           4
        .value_kind:     by_value
      - .offset:         156
        .size:           4
        .value_kind:     by_value
      - .offset:         160
        .size:           4
        .value_kind:     by_value
      - .offset:         164
        .size:           4
        .value_kind:     by_value
      - .offset:         168
        .size:           1
        .value_kind:     by_value
      - .offset:         169
        .size:           1
        .value_kind:     by_value
      - .offset:         170
        .size:           1
        .value_kind:     by_value
    .group_segment_fixed_size: 0
    .kernarg_segment_align: 8
    .kernarg_segment_size: 172
    .language:       OpenCL C
    .language_version:
      - 2
      - 0
    .max_flat_workgroup_size: 128
    .name:           _ZN9rocsparseL41csrgemm_numeric_fill_block_per_row_kernelILj128ELj16ELj256ELj137ELj32Eii21rocsparse_complex_numIdEEEvT5_PKS3_S5_NS_24const_host_device_scalarIT6_EEPKT4_S5_PKS7_SB_S5_SD_S8_SB_S5_SD_SB_S5_PS7_21rocsparse_index_base_SF_SF_SF_bbb
    .private_segment_fixed_size: 40
    .sgpr_count:     57
    .sgpr_spill_count: 0
    .symbol:         _ZN9rocsparseL41csrgemm_numeric_fill_block_per_row_kernelILj128ELj16ELj256ELj137ELj32Eii21rocsparse_complex_numIdEEEvT5_PKS3_S5_NS_24const_host_device_scalarIT6_EEPKT4_S5_PKS7_SB_S5_SD_S8_SB_S5_SD_SB_S5_PS7_21rocsparse_index_base_SF_SF_SF_bbb.kd
    .uniform_work_group_size: 1
    .uses_dynamic_stack: false
    .vgpr_count:     28
    .vgpr_spill_count: 0
    .wavefront_size: 64
  - .agpr_count:     0
    .args:
      - .offset:         0
        .size:           4
        .value_kind:     by_value
      - .actual_access:  read_only
        .address_space:  global
        .offset:         8
        .size:           8
        .value_kind:     global_buffer
      - .actual_access:  read_only
        .address_space:  global
        .offset:         16
        .size:           8
        .value_kind:     global_buffer
      - .offset:         24
        .size:           16
        .value_kind:     by_value
      - .actual_access:  read_only
        .address_space:  global
        .offset:         40
        .size:           8
        .value_kind:     global_buffer
      - .actual_access:  read_only
        .address_space:  global
        .offset:         48
        .size:           8
        .value_kind:     global_buffer
      - .actual_access:  read_only
        .address_space:  global
        .offset:         56
        .size:           8
        .value_kind:     global_buffer
      - .actual_access:  read_only
        .address_space:  global
        .offset:         64
        .size:           8
        .value_kind:     global_buffer
      - .actual_access:  read_only
        .address_space:  global
        .offset:         72
        .size:           8
        .value_kind:     global_buffer
      - .actual_access:  read_only
        .address_space:  global
        .offset:         80
        .size:           8
        .value_kind:     global_buffer
      - .offset:         88
        .size:           16
        .value_kind:     by_value
      - .actual_access:  read_only
        .address_space:  global
        .offset:         104
        .size:           8
        .value_kind:     global_buffer
      - .actual_access:  read_only
        .address_space:  global
        .offset:         112
        .size:           8
        .value_kind:     global_buffer
      - .actual_access:  read_only
        .address_space:  global
        .offset:         120
        .size:           8
        .value_kind:     global_buffer
      - .actual_access:  read_only
        .address_space:  global
        .offset:         128
        .size:           8
        .value_kind:     global_buffer
      - .actual_access:  read_only
        .address_space:  global
        .offset:         136
        .size:           8
        .value_kind:     global_buffer
      - .actual_access:  write_only
        .address_space:  global
        .offset:         144
        .size:           8
        .value_kind:     global_buffer
      - .offset:         152
        .size:           4
        .value_kind:     by_value
      - .offset:         156
        .size:           4
        .value_kind:     by_value
      - .offset:         160
        .size:           4
        .value_kind:     by_value
      - .offset:         164
        .size:           4
        .value_kind:     by_value
      - .offset:         168
        .size:           1
        .value_kind:     by_value
      - .offset:         169
        .size:           1
        .value_kind:     by_value
      - .offset:         170
        .size:           1
        .value_kind:     by_value
    .group_segment_fixed_size: 0
    .kernarg_segment_align: 8
    .kernarg_segment_size: 172
    .language:       OpenCL C
    .language_version:
      - 2
      - 0
    .max_flat_workgroup_size: 128
    .name:           _ZN9rocsparseL41csrgemm_numeric_fill_block_per_row_kernelILj128ELj16ELj256ELj137ELj64Eii21rocsparse_complex_numIdEEEvT5_PKS3_S5_NS_24const_host_device_scalarIT6_EEPKT4_S5_PKS7_SB_S5_SD_S8_SB_S5_SD_SB_S5_PS7_21rocsparse_index_base_SF_SF_SF_bbb
    .private_segment_fixed_size: 40
    .sgpr_count:     57
    .sgpr_spill_count: 0
    .symbol:         _ZN9rocsparseL41csrgemm_numeric_fill_block_per_row_kernelILj128ELj16ELj256ELj137ELj64Eii21rocsparse_complex_numIdEEEvT5_PKS3_S5_NS_24const_host_device_scalarIT6_EEPKT4_S5_PKS7_SB_S5_SD_S8_SB_S5_SD_SB_S5_PS7_21rocsparse_index_base_SF_SF_SF_bbb.kd
    .uniform_work_group_size: 1
    .uses_dynamic_stack: false
    .vgpr_count:     28
    .vgpr_spill_count: 0
    .wavefront_size: 64
  - .agpr_count:     0
    .args:
      - .offset:         0
        .size:           4
        .value_kind:     by_value
      - .actual_access:  read_only
        .address_space:  global
        .offset:         8
        .size:           8
        .value_kind:     global_buffer
      - .actual_access:  read_only
        .address_space:  global
        .offset:         16
        .size:           8
        .value_kind:     global_buffer
      - .offset:         24
        .size:           16
        .value_kind:     by_value
      - .actual_access:  read_only
        .address_space:  global
        .offset:         40
        .size:           8
        .value_kind:     global_buffer
      - .actual_access:  read_only
        .address_space:  global
        .offset:         48
        .size:           8
        .value_kind:     global_buffer
      - .actual_access:  read_only
        .address_space:  global
        .offset:         56
        .size:           8
        .value_kind:     global_buffer
      - .actual_access:  read_only
        .address_space:  global
        .offset:         64
        .size:           8
        .value_kind:     global_buffer
      - .actual_access:  read_only
        .address_space:  global
        .offset:         72
        .size:           8
        .value_kind:     global_buffer
      - .actual_access:  read_only
        .address_space:  global
        .offset:         80
        .size:           8
        .value_kind:     global_buffer
      - .offset:         88
        .size:           16
        .value_kind:     by_value
      - .actual_access:  read_only
        .address_space:  global
        .offset:         104
        .size:           8
        .value_kind:     global_buffer
      - .actual_access:  read_only
        .address_space:  global
        .offset:         112
        .size:           8
        .value_kind:     global_buffer
      - .actual_access:  read_only
        .address_space:  global
        .offset:         120
        .size:           8
        .value_kind:     global_buffer
      - .actual_access:  read_only
        .address_space:  global
        .offset:         128
        .size:           8
        .value_kind:     global_buffer
      - .actual_access:  read_only
        .address_space:  global
        .offset:         136
        .size:           8
        .value_kind:     global_buffer
      - .actual_access:  write_only
        .address_space:  global
        .offset:         144
        .size:           8
        .value_kind:     global_buffer
      - .offset:         152
        .size:           4
        .value_kind:     by_value
      - .offset:         156
        .size:           4
        .value_kind:     by_value
      - .offset:         160
        .size:           4
        .value_kind:     by_value
      - .offset:         164
        .size:           4
        .value_kind:     by_value
      - .offset:         168
        .size:           1
        .value_kind:     by_value
      - .offset:         169
        .size:           1
        .value_kind:     by_value
      - .offset:         170
        .size:           1
        .value_kind:     by_value
    .group_segment_fixed_size: 0
    .kernarg_segment_align: 8
    .kernarg_segment_size: 172
    .language:       OpenCL C
    .language_version:
      - 2
      - 0
    .max_flat_workgroup_size: 256
    .name:           _ZN9rocsparseL41csrgemm_numeric_fill_block_per_row_kernelILj256ELj32ELj512ELj137ELj32Eii21rocsparse_complex_numIdEEEvT5_PKS3_S5_NS_24const_host_device_scalarIT6_EEPKT4_S5_PKS7_SB_S5_SD_S8_SB_S5_SD_SB_S5_PS7_21rocsparse_index_base_SF_SF_SF_bbb
    .private_segment_fixed_size: 40
    .sgpr_count:     57
    .sgpr_spill_count: 0
    .symbol:         _ZN9rocsparseL41csrgemm_numeric_fill_block_per_row_kernelILj256ELj32ELj512ELj137ELj32Eii21rocsparse_complex_numIdEEEvT5_PKS3_S5_NS_24const_host_device_scalarIT6_EEPKT4_S5_PKS7_SB_S5_SD_S8_SB_S5_SD_SB_S5_PS7_21rocsparse_index_base_SF_SF_SF_bbb.kd
    .uniform_work_group_size: 1
    .uses_dynamic_stack: false
    .vgpr_count:     28
    .vgpr_spill_count: 0
    .wavefront_size: 64
  - .agpr_count:     0
    .args:
      - .offset:         0
        .size:           4
        .value_kind:     by_value
      - .actual_access:  read_only
        .address_space:  global
        .offset:         8
        .size:           8
        .value_kind:     global_buffer
      - .actual_access:  read_only
        .address_space:  global
        .offset:         16
        .size:           8
        .value_kind:     global_buffer
      - .offset:         24
        .size:           16
        .value_kind:     by_value
      - .actual_access:  read_only
        .address_space:  global
        .offset:         40
        .size:           8
        .value_kind:     global_buffer
      - .actual_access:  read_only
        .address_space:  global
        .offset:         48
        .size:           8
        .value_kind:     global_buffer
      - .actual_access:  read_only
        .address_space:  global
        .offset:         56
        .size:           8
        .value_kind:     global_buffer
      - .actual_access:  read_only
        .address_space:  global
        .offset:         64
        .size:           8
        .value_kind:     global_buffer
      - .actual_access:  read_only
        .address_space:  global
        .offset:         72
        .size:           8
        .value_kind:     global_buffer
      - .actual_access:  read_only
        .address_space:  global
        .offset:         80
        .size:           8
        .value_kind:     global_buffer
      - .offset:         88
        .size:           16
        .value_kind:     by_value
      - .actual_access:  read_only
        .address_space:  global
        .offset:         104
        .size:           8
        .value_kind:     global_buffer
      - .actual_access:  read_only
        .address_space:  global
        .offset:         112
        .size:           8
        .value_kind:     global_buffer
      - .actual_access:  read_only
        .address_space:  global
        .offset:         120
        .size:           8
        .value_kind:     global_buffer
      - .actual_access:  read_only
        .address_space:  global
        .offset:         128
        .size:           8
        .value_kind:     global_buffer
      - .actual_access:  read_only
        .address_space:  global
        .offset:         136
        .size:           8
        .value_kind:     global_buffer
      - .actual_access:  write_only
        .address_space:  global
        .offset:         144
        .size:           8
        .value_kind:     global_buffer
      - .offset:         152
        .size:           4
        .value_kind:     by_value
      - .offset:         156
        .size:           4
        .value_kind:     by_value
      - .offset:         160
        .size:           4
        .value_kind:     by_value
      - .offset:         164
        .size:           4
        .value_kind:     by_value
      - .offset:         168
        .size:           1
        .value_kind:     by_value
      - .offset:         169
        .size:           1
        .value_kind:     by_value
      - .offset:         170
        .size:           1
        .value_kind:     by_value
    .group_segment_fixed_size: 0
    .kernarg_segment_align: 8
    .kernarg_segment_size: 172
    .language:       OpenCL C
    .language_version:
      - 2
      - 0
    .max_flat_workgroup_size: 256
    .name:           _ZN9rocsparseL41csrgemm_numeric_fill_block_per_row_kernelILj256ELj32ELj512ELj137ELj64Eii21rocsparse_complex_numIdEEEvT5_PKS3_S5_NS_24const_host_device_scalarIT6_EEPKT4_S5_PKS7_SB_S5_SD_S8_SB_S5_SD_SB_S5_PS7_21rocsparse_index_base_SF_SF_SF_bbb
    .private_segment_fixed_size: 40
    .sgpr_count:     57
    .sgpr_spill_count: 0
    .symbol:         _ZN9rocsparseL41csrgemm_numeric_fill_block_per_row_kernelILj256ELj32ELj512ELj137ELj64Eii21rocsparse_complex_numIdEEEvT5_PKS3_S5_NS_24const_host_device_scalarIT6_EEPKT4_S5_PKS7_SB_S5_SD_S8_SB_S5_SD_SB_S5_PS7_21rocsparse_index_base_SF_SF_SF_bbb.kd
    .uniform_work_group_size: 1
    .uses_dynamic_stack: false
    .vgpr_count:     28
    .vgpr_spill_count: 0
    .wavefront_size: 64
  - .agpr_count:     0
    .args:
      - .offset:         0
        .size:           4
        .value_kind:     by_value
      - .actual_access:  read_only
        .address_space:  global
        .offset:         8
        .size:           8
        .value_kind:     global_buffer
      - .actual_access:  read_only
        .address_space:  global
        .offset:         16
        .size:           8
        .value_kind:     global_buffer
      - .offset:         24
        .size:           16
        .value_kind:     by_value
      - .actual_access:  read_only
        .address_space:  global
        .offset:         40
        .size:           8
        .value_kind:     global_buffer
      - .actual_access:  read_only
        .address_space:  global
        .offset:         48
        .size:           8
        .value_kind:     global_buffer
      - .actual_access:  read_only
        .address_space:  global
        .offset:         56
        .size:           8
        .value_kind:     global_buffer
      - .actual_access:  read_only
        .address_space:  global
        .offset:         64
        .size:           8
        .value_kind:     global_buffer
      - .actual_access:  read_only
        .address_space:  global
        .offset:         72
        .size:           8
        .value_kind:     global_buffer
      - .actual_access:  read_only
        .address_space:  global
        .offset:         80
        .size:           8
        .value_kind:     global_buffer
      - .offset:         88
        .size:           16
        .value_kind:     by_value
      - .actual_access:  read_only
        .address_space:  global
        .offset:         104
        .size:           8
        .value_kind:     global_buffer
      - .actual_access:  read_only
        .address_space:  global
        .offset:         112
        .size:           8
        .value_kind:     global_buffer
      - .actual_access:  read_only
        .address_space:  global
        .offset:         120
        .size:           8
        .value_kind:     global_buffer
      - .actual_access:  read_only
        .address_space:  global
        .offset:         128
        .size:           8
        .value_kind:     global_buffer
      - .actual_access:  read_only
        .address_space:  global
        .offset:         136
        .size:           8
        .value_kind:     global_buffer
      - .actual_access:  write_only
        .address_space:  global
        .offset:         144
        .size:           8
        .value_kind:     global_buffer
      - .offset:         152
        .size:           4
        .value_kind:     by_value
      - .offset:         156
        .size:           4
        .value_kind:     by_value
      - .offset:         160
        .size:           4
        .value_kind:     by_value
      - .offset:         164
        .size:           4
        .value_kind:     by_value
      - .offset:         168
        .size:           1
        .value_kind:     by_value
      - .offset:         169
        .size:           1
        .value_kind:     by_value
      - .offset:         170
        .size:           1
        .value_kind:     by_value
    .group_segment_fixed_size: 0
    .kernarg_segment_align: 8
    .kernarg_segment_size: 172
    .language:       OpenCL C
    .language_version:
      - 2
      - 0
    .max_flat_workgroup_size: 512
    .name:           _ZN9rocsparseL41csrgemm_numeric_fill_block_per_row_kernelILj512ELj32ELj1024ELj137ELj32Eii21rocsparse_complex_numIdEEEvT5_PKS3_S5_NS_24const_host_device_scalarIT6_EEPKT4_S5_PKS7_SB_S5_SD_S8_SB_S5_SD_SB_S5_PS7_21rocsparse_index_base_SF_SF_SF_bbb
    .private_segment_fixed_size: 40
    .sgpr_count:     56
    .sgpr_spill_count: 0
    .symbol:         _ZN9rocsparseL41csrgemm_numeric_fill_block_per_row_kernelILj512ELj32ELj1024ELj137ELj32Eii21rocsparse_complex_numIdEEEvT5_PKS3_S5_NS_24const_host_device_scalarIT6_EEPKT4_S5_PKS7_SB_S5_SD_S8_SB_S5_SD_SB_S5_PS7_21rocsparse_index_base_SF_SF_SF_bbb.kd
    .uniform_work_group_size: 1
    .uses_dynamic_stack: false
    .vgpr_count:     30
    .vgpr_spill_count: 0
    .wavefront_size: 64
  - .agpr_count:     0
    .args:
      - .offset:         0
        .size:           4
        .value_kind:     by_value
      - .actual_access:  read_only
        .address_space:  global
        .offset:         8
        .size:           8
        .value_kind:     global_buffer
      - .actual_access:  read_only
        .address_space:  global
        .offset:         16
        .size:           8
        .value_kind:     global_buffer
      - .offset:         24
        .size:           16
        .value_kind:     by_value
      - .actual_access:  read_only
        .address_space:  global
        .offset:         40
        .size:           8
        .value_kind:     global_buffer
      - .actual_access:  read_only
        .address_space:  global
        .offset:         48
        .size:           8
        .value_kind:     global_buffer
      - .actual_access:  read_only
        .address_space:  global
        .offset:         56
        .size:           8
        .value_kind:     global_buffer
      - .actual_access:  read_only
        .address_space:  global
        .offset:         64
        .size:           8
        .value_kind:     global_buffer
      - .actual_access:  read_only
        .address_space:  global
        .offset:         72
        .size:           8
        .value_kind:     global_buffer
      - .actual_access:  read_only
        .address_space:  global
        .offset:         80
        .size:           8
        .value_kind:     global_buffer
      - .offset:         88
        .size:           16
        .value_kind:     by_value
      - .actual_access:  read_only
        .address_space:  global
        .offset:         104
        .size:           8
        .value_kind:     global_buffer
      - .actual_access:  read_only
        .address_space:  global
        .offset:         112
        .size:           8
        .value_kind:     global_buffer
      - .actual_access:  read_only
        .address_space:  global
        .offset:         120
        .size:           8
        .value_kind:     global_buffer
      - .actual_access:  read_only
        .address_space:  global
        .offset:         128
        .size:           8
        .value_kind:     global_buffer
      - .actual_access:  read_only
        .address_space:  global
        .offset:         136
        .size:           8
        .value_kind:     global_buffer
      - .actual_access:  write_only
        .address_space:  global
        .offset:         144
        .size:           8
        .value_kind:     global_buffer
      - .offset:         152
        .size:           4
        .value_kind:     by_value
      - .offset:         156
        .size:           4
        .value_kind:     by_value
      - .offset:         160
        .size:           4
        .value_kind:     by_value
      - .offset:         164
        .size:           4
        .value_kind:     by_value
      - .offset:         168
        .size:           1
        .value_kind:     by_value
      - .offset:         169
        .size:           1
        .value_kind:     by_value
      - .offset:         170
        .size:           1
        .value_kind:     by_value
    .group_segment_fixed_size: 0
    .kernarg_segment_align: 8
    .kernarg_segment_size: 172
    .language:       OpenCL C
    .language_version:
      - 2
      - 0
    .max_flat_workgroup_size: 512
    .name:           _ZN9rocsparseL41csrgemm_numeric_fill_block_per_row_kernelILj512ELj32ELj1024ELj137ELj64Eii21rocsparse_complex_numIdEEEvT5_PKS3_S5_NS_24const_host_device_scalarIT6_EEPKT4_S5_PKS7_SB_S5_SD_S8_SB_S5_SD_SB_S5_PS7_21rocsparse_index_base_SF_SF_SF_bbb
    .private_segment_fixed_size: 40
    .sgpr_count:     56
    .sgpr_spill_count: 0
    .symbol:         _ZN9rocsparseL41csrgemm_numeric_fill_block_per_row_kernelILj512ELj32ELj1024ELj137ELj64Eii21rocsparse_complex_numIdEEEvT5_PKS3_S5_NS_24const_host_device_scalarIT6_EEPKT4_S5_PKS7_SB_S5_SD_S8_SB_S5_SD_SB_S5_PS7_21rocsparse_index_base_SF_SF_SF_bbb.kd
    .uniform_work_group_size: 1
    .uses_dynamic_stack: false
    .vgpr_count:     28
    .vgpr_spill_count: 0
    .wavefront_size: 64
  - .agpr_count:     0
    .args:
      - .offset:         0
        .size:           4
        .value_kind:     by_value
      - .actual_access:  read_only
        .address_space:  global
        .offset:         8
        .size:           8
        .value_kind:     global_buffer
      - .actual_access:  read_only
        .address_space:  global
        .offset:         16
        .size:           8
        .value_kind:     global_buffer
      - .offset:         24
        .size:           16
        .value_kind:     by_value
      - .actual_access:  read_only
        .address_space:  global
        .offset:         40
        .size:           8
        .value_kind:     global_buffer
      - .actual_access:  read_only
        .address_space:  global
        .offset:         48
        .size:           8
        .value_kind:     global_buffer
      - .actual_access:  read_only
        .address_space:  global
        .offset:         56
        .size:           8
        .value_kind:     global_buffer
      - .actual_access:  read_only
        .address_space:  global
        .offset:         64
        .size:           8
        .value_kind:     global_buffer
      - .actual_access:  read_only
        .address_space:  global
        .offset:         72
        .size:           8
        .value_kind:     global_buffer
      - .actual_access:  read_only
        .address_space:  global
        .offset:         80
        .size:           8
        .value_kind:     global_buffer
      - .offset:         88
        .size:           16
        .value_kind:     by_value
      - .actual_access:  read_only
        .address_space:  global
        .offset:         104
        .size:           8
        .value_kind:     global_buffer
      - .actual_access:  read_only
        .address_space:  global
        .offset:         112
        .size:           8
        .value_kind:     global_buffer
      - .actual_access:  read_only
        .address_space:  global
        .offset:         120
        .size:           8
        .value_kind:     global_buffer
      - .actual_access:  read_only
        .address_space:  global
        .offset:         128
        .size:           8
        .value_kind:     global_buffer
      - .actual_access:  read_only
        .address_space:  global
        .offset:         136
        .size:           8
        .value_kind:     global_buffer
      - .actual_access:  write_only
        .address_space:  global
        .offset:         144
        .size:           8
        .value_kind:     global_buffer
      - .offset:         152
        .size:           4
        .value_kind:     by_value
      - .offset:         156
        .size:           4
        .value_kind:     by_value
      - .offset:         160
        .size:           4
        .value_kind:     by_value
      - .offset:         164
        .size:           4
        .value_kind:     by_value
      - .offset:         168
        .size:           1
        .value_kind:     by_value
      - .offset:         169
        .size:           1
        .value_kind:     by_value
      - .offset:         170
        .size:           1
        .value_kind:     by_value
    .group_segment_fixed_size: 0
    .kernarg_segment_align: 8
    .kernarg_segment_size: 172
    .language:       OpenCL C
    .language_version:
      - 2
      - 0
    .max_flat_workgroup_size: 1024
    .name:           _ZN9rocsparseL41csrgemm_numeric_fill_block_per_row_kernelILj1024ELj32ELj2048ELj137ELj32Eii21rocsparse_complex_numIdEEEvT5_PKS3_S5_NS_24const_host_device_scalarIT6_EEPKT4_S5_PKS7_SB_S5_SD_S8_SB_S5_SD_SB_S5_PS7_21rocsparse_index_base_SF_SF_SF_bbb
    .private_segment_fixed_size: 40
    .sgpr_count:     84
    .sgpr_spill_count: 0
    .symbol:         _ZN9rocsparseL41csrgemm_numeric_fill_block_per_row_kernelILj1024ELj32ELj2048ELj137ELj32Eii21rocsparse_complex_numIdEEEvT5_PKS3_S5_NS_24const_host_device_scalarIT6_EEPKT4_S5_PKS7_SB_S5_SD_S8_SB_S5_SD_SB_S5_PS7_21rocsparse_index_base_SF_SF_SF_bbb.kd
    .uniform_work_group_size: 1
    .uses_dynamic_stack: false
    .vgpr_count:     30
    .vgpr_spill_count: 0
    .wavefront_size: 64
  - .agpr_count:     0
    .args:
      - .offset:         0
        .size:           4
        .value_kind:     by_value
      - .actual_access:  read_only
        .address_space:  global
        .offset:         8
        .size:           8
        .value_kind:     global_buffer
      - .actual_access:  read_only
        .address_space:  global
        .offset:         16
        .size:           8
        .value_kind:     global_buffer
      - .offset:         24
        .size:           16
        .value_kind:     by_value
      - .actual_access:  read_only
        .address_space:  global
        .offset:         40
        .size:           8
        .value_kind:     global_buffer
      - .actual_access:  read_only
        .address_space:  global
        .offset:         48
        .size:           8
        .value_kind:     global_buffer
      - .actual_access:  read_only
        .address_space:  global
        .offset:         56
        .size:           8
        .value_kind:     global_buffer
      - .actual_access:  read_only
        .address_space:  global
        .offset:         64
        .size:           8
        .value_kind:     global_buffer
      - .actual_access:  read_only
        .address_space:  global
        .offset:         72
        .size:           8
        .value_kind:     global_buffer
      - .actual_access:  read_only
        .address_space:  global
        .offset:         80
        .size:           8
        .value_kind:     global_buffer
      - .offset:         88
        .size:           16
        .value_kind:     by_value
      - .actual_access:  read_only
        .address_space:  global
        .offset:         104
        .size:           8
        .value_kind:     global_buffer
      - .actual_access:  read_only
        .address_space:  global
        .offset:         112
        .size:           8
        .value_kind:     global_buffer
      - .actual_access:  read_only
        .address_space:  global
        .offset:         120
        .size:           8
        .value_kind:     global_buffer
      - .actual_access:  read_only
        .address_space:  global
        .offset:         128
        .size:           8
        .value_kind:     global_buffer
      - .actual_access:  read_only
        .address_space:  global
        .offset:         136
        .size:           8
        .value_kind:     global_buffer
      - .actual_access:  write_only
        .address_space:  global
        .offset:         144
        .size:           8
        .value_kind:     global_buffer
      - .offset:         152
        .size:           4
        .value_kind:     by_value
      - .offset:         156
        .size:           4
        .value_kind:     by_value
      - .offset:         160
        .size:           4
        .value_kind:     by_value
      - .offset:         164
        .size:           4
        .value_kind:     by_value
      - .offset:         168
        .size:           1
        .value_kind:     by_value
      - .offset:         169
        .size:           1
        .value_kind:     by_value
      - .offset:         170
        .size:           1
        .value_kind:     by_value
    .group_segment_fixed_size: 0
    .kernarg_segment_align: 8
    .kernarg_segment_size: 172
    .language:       OpenCL C
    .language_version:
      - 2
      - 0
    .max_flat_workgroup_size: 1024
    .name:           _ZN9rocsparseL41csrgemm_numeric_fill_block_per_row_kernelILj1024ELj32ELj2048ELj137ELj64Eii21rocsparse_complex_numIdEEEvT5_PKS3_S5_NS_24const_host_device_scalarIT6_EEPKT4_S5_PKS7_SB_S5_SD_S8_SB_S5_SD_SB_S5_PS7_21rocsparse_index_base_SF_SF_SF_bbb
    .private_segment_fixed_size: 40
    .sgpr_count:     56
    .sgpr_spill_count: 0
    .symbol:         _ZN9rocsparseL41csrgemm_numeric_fill_block_per_row_kernelILj1024ELj32ELj2048ELj137ELj64Eii21rocsparse_complex_numIdEEEvT5_PKS3_S5_NS_24const_host_device_scalarIT6_EEPKT4_S5_PKS7_SB_S5_SD_S8_SB_S5_SD_SB_S5_PS7_21rocsparse_index_base_SF_SF_SF_bbb.kd
    .uniform_work_group_size: 1
    .uses_dynamic_stack: false
    .vgpr_count:     28
    .vgpr_spill_count: 0
    .wavefront_size: 64
  - .agpr_count:     0
    .args:
      - .offset:         0
        .size:           4
        .value_kind:     by_value
      - .actual_access:  read_only
        .address_space:  global
        .offset:         8
        .size:           8
        .value_kind:     global_buffer
      - .actual_access:  read_only
        .address_space:  global
        .offset:         16
        .size:           8
        .value_kind:     global_buffer
      - .offset:         24
        .size:           16
        .value_kind:     by_value
      - .actual_access:  read_only
        .address_space:  global
        .offset:         40
        .size:           8
        .value_kind:     global_buffer
      - .actual_access:  read_only
        .address_space:  global
        .offset:         48
        .size:           8
        .value_kind:     global_buffer
      - .actual_access:  read_only
        .address_space:  global
        .offset:         56
        .size:           8
        .value_kind:     global_buffer
      - .actual_access:  read_only
        .address_space:  global
        .offset:         64
        .size:           8
        .value_kind:     global_buffer
      - .actual_access:  read_only
        .address_space:  global
        .offset:         72
        .size:           8
        .value_kind:     global_buffer
      - .actual_access:  read_only
        .address_space:  global
        .offset:         80
        .size:           8
        .value_kind:     global_buffer
      - .offset:         88
        .size:           16
        .value_kind:     by_value
      - .actual_access:  read_only
        .address_space:  global
        .offset:         104
        .size:           8
        .value_kind:     global_buffer
      - .actual_access:  read_only
        .address_space:  global
        .offset:         112
        .size:           8
        .value_kind:     global_buffer
      - .actual_access:  read_only
        .address_space:  global
        .offset:         120
        .size:           8
        .value_kind:     global_buffer
      - .actual_access:  read_only
        .address_space:  global
        .offset:         128
        .size:           8
        .value_kind:     global_buffer
      - .actual_access:  read_only
        .address_space:  global
        .offset:         136
        .size:           8
        .value_kind:     global_buffer
      - .actual_access:  write_only
        .address_space:  global
        .offset:         144
        .size:           8
        .value_kind:     global_buffer
      - .offset:         152
        .size:           4
        .value_kind:     by_value
      - .offset:         156
        .size:           4
        .value_kind:     by_value
      - .offset:         160
        .size:           4
        .value_kind:     by_value
      - .offset:         164
        .size:           4
        .value_kind:     by_value
      - .offset:         168
        .size:           1
        .value_kind:     by_value
      - .offset:         169
        .size:           1
        .value_kind:     by_value
      - .offset:         170
        .size:           1
        .value_kind:     by_value
    .group_segment_fixed_size: 0
    .kernarg_segment_align: 8
    .kernarg_segment_size: 172
    .language:       OpenCL C
    .language_version:
      - 2
      - 0
    .max_flat_workgroup_size: 1024
    .name:           _ZN9rocsparseL41csrgemm_numeric_fill_block_per_row_kernelILj1024ELj64ELj4096ELj137ELj32Eii21rocsparse_complex_numIdEEEvT5_PKS3_S5_NS_24const_host_device_scalarIT6_EEPKT4_S5_PKS7_SB_S5_SD_S8_SB_S5_SD_SB_S5_PS7_21rocsparse_index_base_SF_SF_SF_bbb
    .private_segment_fixed_size: 40
    .sgpr_count:     106
    .sgpr_spill_count: 21
    .symbol:         _ZN9rocsparseL41csrgemm_numeric_fill_block_per_row_kernelILj1024ELj64ELj4096ELj137ELj32Eii21rocsparse_complex_numIdEEEvT5_PKS3_S5_NS_24const_host_device_scalarIT6_EEPKT4_S5_PKS7_SB_S5_SD_S8_SB_S5_SD_SB_S5_PS7_21rocsparse_index_base_SF_SF_SF_bbb.kd
    .uniform_work_group_size: 1
    .uses_dynamic_stack: false
    .vgpr_count:     29
    .vgpr_spill_count: 0
    .wavefront_size: 64
  - .agpr_count:     0
    .args:
      - .offset:         0
        .size:           4
        .value_kind:     by_value
      - .actual_access:  read_only
        .address_space:  global
        .offset:         8
        .size:           8
        .value_kind:     global_buffer
      - .actual_access:  read_only
        .address_space:  global
        .offset:         16
        .size:           8
        .value_kind:     global_buffer
      - .offset:         24
        .size:           16
        .value_kind:     by_value
      - .actual_access:  read_only
        .address_space:  global
        .offset:         40
        .size:           8
        .value_kind:     global_buffer
      - .actual_access:  read_only
        .address_space:  global
        .offset:         48
        .size:           8
        .value_kind:     global_buffer
      - .actual_access:  read_only
        .address_space:  global
        .offset:         56
        .size:           8
        .value_kind:     global_buffer
      - .actual_access:  read_only
        .address_space:  global
        .offset:         64
        .size:           8
        .value_kind:     global_buffer
      - .actual_access:  read_only
        .address_space:  global
        .offset:         72
        .size:           8
        .value_kind:     global_buffer
      - .actual_access:  read_only
        .address_space:  global
        .offset:         80
        .size:           8
        .value_kind:     global_buffer
      - .offset:         88
        .size:           16
        .value_kind:     by_value
      - .actual_access:  read_only
        .address_space:  global
        .offset:         104
        .size:           8
        .value_kind:     global_buffer
      - .actual_access:  read_only
        .address_space:  global
        .offset:         112
        .size:           8
        .value_kind:     global_buffer
      - .actual_access:  read_only
        .address_space:  global
        .offset:         120
        .size:           8
        .value_kind:     global_buffer
      - .actual_access:  read_only
        .address_space:  global
        .offset:         128
        .size:           8
        .value_kind:     global_buffer
      - .actual_access:  read_only
        .address_space:  global
        .offset:         136
        .size:           8
        .value_kind:     global_buffer
      - .actual_access:  write_only
        .address_space:  global
        .offset:         144
        .size:           8
        .value_kind:     global_buffer
      - .offset:         152
        .size:           4
        .value_kind:     by_value
      - .offset:         156
        .size:           4
        .value_kind:     by_value
      - .offset:         160
        .size:           4
        .value_kind:     by_value
      - .offset:         164
        .size:           4
        .value_kind:     by_value
      - .offset:         168
        .size:           1
        .value_kind:     by_value
      - .offset:         169
        .size:           1
        .value_kind:     by_value
      - .offset:         170
        .size:           1
        .value_kind:     by_value
    .group_segment_fixed_size: 0
    .kernarg_segment_align: 8
    .kernarg_segment_size: 172
    .language:       OpenCL C
    .language_version:
      - 2
      - 0
    .max_flat_workgroup_size: 1024
    .name:           _ZN9rocsparseL41csrgemm_numeric_fill_block_per_row_kernelILj1024ELj64ELj4096ELj137ELj64Eii21rocsparse_complex_numIdEEEvT5_PKS3_S5_NS_24const_host_device_scalarIT6_EEPKT4_S5_PKS7_SB_S5_SD_S8_SB_S5_SD_SB_S5_PS7_21rocsparse_index_base_SF_SF_SF_bbb
    .private_segment_fixed_size: 40
    .sgpr_count:     67
    .sgpr_spill_count: 0
    .symbol:         _ZN9rocsparseL41csrgemm_numeric_fill_block_per_row_kernelILj1024ELj64ELj4096ELj137ELj64Eii21rocsparse_complex_numIdEEEvT5_PKS3_S5_NS_24const_host_device_scalarIT6_EEPKT4_S5_PKS7_SB_S5_SD_S8_SB_S5_SD_SB_S5_PS7_21rocsparse_index_base_SF_SF_SF_bbb.kd
    .uniform_work_group_size: 1
    .uses_dynamic_stack: false
    .vgpr_count:     30
    .vgpr_spill_count: 0
    .wavefront_size: 64
  - .agpr_count:     0
    .args:
      - .offset:         0
        .size:           4
        .value_kind:     by_value
      - .actual_access:  read_only
        .address_space:  global
        .offset:         8
        .size:           8
        .value_kind:     global_buffer
      - .actual_access:  read_only
        .address_space:  global
        .offset:         16
        .size:           8
        .value_kind:     global_buffer
      - .offset:         24
        .size:           16
        .value_kind:     by_value
      - .actual_access:  read_only
        .address_space:  global
        .offset:         40
        .size:           8
        .value_kind:     global_buffer
      - .actual_access:  read_only
        .address_space:  global
        .offset:         48
        .size:           8
        .value_kind:     global_buffer
      - .actual_access:  read_only
        .address_space:  global
        .offset:         56
        .size:           8
        .value_kind:     global_buffer
      - .actual_access:  read_only
        .address_space:  global
        .offset:         64
        .size:           8
        .value_kind:     global_buffer
      - .actual_access:  read_only
        .address_space:  global
        .offset:         72
        .size:           8
        .value_kind:     global_buffer
      - .actual_access:  read_only
        .address_space:  global
        .offset:         80
        .size:           8
        .value_kind:     global_buffer
      - .offset:         88
        .size:           16
        .value_kind:     by_value
      - .actual_access:  read_only
        .address_space:  global
        .offset:         104
        .size:           8
        .value_kind:     global_buffer
      - .actual_access:  read_only
        .address_space:  global
        .offset:         112
        .size:           8
        .value_kind:     global_buffer
      - .actual_access:  read_only
        .address_space:  global
        .offset:         120
        .size:           8
        .value_kind:     global_buffer
      - .actual_access:  read_only
        .address_space:  global
        .offset:         128
        .size:           8
        .value_kind:     global_buffer
      - .actual_access:  read_only
        .address_space:  global
        .offset:         136
        .size:           8
        .value_kind:     global_buffer
      - .actual_access:  write_only
        .address_space:  global
        .offset:         144
        .size:           8
        .value_kind:     global_buffer
      - .offset:         152
        .size:           4
        .value_kind:     by_value
      - .offset:         156
        .size:           4
        .value_kind:     by_value
      - .offset:         160
        .size:           4
        .value_kind:     by_value
      - .offset:         164
        .size:           4
        .value_kind:     by_value
      - .offset:         168
        .size:           1
        .value_kind:     by_value
      - .offset:         169
        .size:           1
        .value_kind:     by_value
      - .offset:         170
        .size:           1
        .value_kind:     by_value
    .group_segment_fixed_size: 0
    .kernarg_segment_align: 8
    .kernarg_segment_size: 172
    .language:       OpenCL C
    .language_version:
      - 2
      - 0
    .max_flat_workgroup_size: 1024
    .name:           _ZN9rocsparseL41csrgemm_numeric_fill_block_per_row_kernelILj1024ELj64ELj8192ELj137ELj32Eii21rocsparse_complex_numIdEEEvT5_PKS3_S5_NS_24const_host_device_scalarIT6_EEPKT4_S5_PKS7_SB_S5_SD_S8_SB_S5_SD_SB_S5_PS7_21rocsparse_index_base_SF_SF_SF_bbb
    .private_segment_fixed_size: 40
    .sgpr_count:     106
    .sgpr_spill_count: 15
    .symbol:         _ZN9rocsparseL41csrgemm_numeric_fill_block_per_row_kernelILj1024ELj64ELj8192ELj137ELj32Eii21rocsparse_complex_numIdEEEvT5_PKS3_S5_NS_24const_host_device_scalarIT6_EEPKT4_S5_PKS7_SB_S5_SD_S8_SB_S5_SD_SB_S5_PS7_21rocsparse_index_base_SF_SF_SF_bbb.kd
    .uniform_work_group_size: 1
    .uses_dynamic_stack: false
    .vgpr_count:     27
    .vgpr_spill_count: 0
    .wavefront_size: 64
  - .agpr_count:     0
    .args:
      - .offset:         0
        .size:           4
        .value_kind:     by_value
      - .actual_access:  read_only
        .address_space:  global
        .offset:         8
        .size:           8
        .value_kind:     global_buffer
      - .actual_access:  read_only
        .address_space:  global
        .offset:         16
        .size:           8
        .value_kind:     global_buffer
      - .offset:         24
        .size:           16
        .value_kind:     by_value
      - .actual_access:  read_only
        .address_space:  global
        .offset:         40
        .size:           8
        .value_kind:     global_buffer
      - .actual_access:  read_only
        .address_space:  global
        .offset:         48
        .size:           8
        .value_kind:     global_buffer
      - .actual_access:  read_only
        .address_space:  global
        .offset:         56
        .size:           8
        .value_kind:     global_buffer
      - .actual_access:  read_only
        .address_space:  global
        .offset:         64
        .size:           8
        .value_kind:     global_buffer
      - .actual_access:  read_only
        .address_space:  global
        .offset:         72
        .size:           8
        .value_kind:     global_buffer
      - .actual_access:  read_only
        .address_space:  global
        .offset:         80
        .size:           8
        .value_kind:     global_buffer
      - .offset:         88
        .size:           16
        .value_kind:     by_value
      - .actual_access:  read_only
        .address_space:  global
        .offset:         104
        .size:           8
        .value_kind:     global_buffer
      - .actual_access:  read_only
        .address_space:  global
        .offset:         112
        .size:           8
        .value_kind:     global_buffer
      - .actual_access:  read_only
        .address_space:  global
        .offset:         120
        .size:           8
        .value_kind:     global_buffer
      - .actual_access:  read_only
        .address_space:  global
        .offset:         128
        .size:           8
        .value_kind:     global_buffer
      - .actual_access:  read_only
        .address_space:  global
        .offset:         136
        .size:           8
        .value_kind:     global_buffer
      - .actual_access:  write_only
        .address_space:  global
        .offset:         144
        .size:           8
        .value_kind:     global_buffer
      - .offset:         152
        .size:           4
        .value_kind:     by_value
      - .offset:         156
        .size:           4
        .value_kind:     by_value
      - .offset:         160
        .size:           4
        .value_kind:     by_value
      - .offset:         164
        .size:           4
        .value_kind:     by_value
      - .offset:         168
        .size:           1
        .value_kind:     by_value
      - .offset:         169
        .size:           1
        .value_kind:     by_value
      - .offset:         170
        .size:           1
        .value_kind:     by_value
    .group_segment_fixed_size: 0
    .kernarg_segment_align: 8
    .kernarg_segment_size: 172
    .language:       OpenCL C
    .language_version:
      - 2
      - 0
    .max_flat_workgroup_size: 1024
    .name:           _ZN9rocsparseL41csrgemm_numeric_fill_block_per_row_kernelILj1024ELj64ELj8192ELj137ELj64Eii21rocsparse_complex_numIdEEEvT5_PKS3_S5_NS_24const_host_device_scalarIT6_EEPKT4_S5_PKS7_SB_S5_SD_S8_SB_S5_SD_SB_S5_PS7_21rocsparse_index_base_SF_SF_SF_bbb
    .private_segment_fixed_size: 40
    .sgpr_count:     67
    .sgpr_spill_count: 0
    .symbol:         _ZN9rocsparseL41csrgemm_numeric_fill_block_per_row_kernelILj1024ELj64ELj8192ELj137ELj64Eii21rocsparse_complex_numIdEEEvT5_PKS3_S5_NS_24const_host_device_scalarIT6_EEPKT4_S5_PKS7_SB_S5_SD_S8_SB_S5_SD_SB_S5_PS7_21rocsparse_index_base_SF_SF_SF_bbb.kd
    .uniform_work_group_size: 1
    .uses_dynamic_stack: false
    .vgpr_count:     28
    .vgpr_spill_count: 0
    .wavefront_size: 64
  - .agpr_count:     0
    .args:
      - .offset:         0
        .size:           4
        .value_kind:     by_value
      - .actual_access:  read_only
        .address_space:  global
        .offset:         8
        .size:           8
        .value_kind:     global_buffer
      - .actual_access:  read_only
        .address_space:  global
        .offset:         16
        .size:           8
        .value_kind:     global_buffer
      - .offset:         24
        .size:           16
        .value_kind:     by_value
      - .actual_access:  read_only
        .address_space:  global
        .offset:         40
        .size:           8
        .value_kind:     global_buffer
      - .actual_access:  read_only
        .address_space:  global
        .offset:         48
        .size:           8
        .value_kind:     global_buffer
      - .actual_access:  read_only
        .address_space:  global
        .offset:         56
        .size:           8
        .value_kind:     global_buffer
      - .actual_access:  read_only
        .address_space:  global
        .offset:         64
        .size:           8
        .value_kind:     global_buffer
      - .actual_access:  read_only
        .address_space:  global
        .offset:         72
        .size:           8
        .value_kind:     global_buffer
      - .actual_access:  read_only
        .address_space:  global
        .offset:         80
        .size:           8
        .value_kind:     global_buffer
      - .offset:         88
        .size:           16
        .value_kind:     by_value
      - .actual_access:  read_only
        .address_space:  global
        .offset:         104
        .size:           8
        .value_kind:     global_buffer
      - .actual_access:  read_only
        .address_space:  global
        .offset:         112
        .size:           8
        .value_kind:     global_buffer
      - .actual_access:  read_only
        .address_space:  global
        .offset:         120
        .size:           8
        .value_kind:     global_buffer
      - .actual_access:  read_only
        .address_space:  global
        .offset:         128
        .size:           8
        .value_kind:     global_buffer
      - .actual_access:  read_only
        .address_space:  global
        .offset:         136
        .size:           8
        .value_kind:     global_buffer
      - .actual_access:  write_only
        .address_space:  global
        .offset:         144
        .size:           8
        .value_kind:     global_buffer
      - .offset:         152
        .size:           4
        .value_kind:     by_value
      - .offset:         156
        .size:           4
        .value_kind:     by_value
      - .offset:         160
        .size:           4
        .value_kind:     by_value
      - .offset:         164
        .size:           4
        .value_kind:     by_value
      - .offset:         168
        .size:           1
        .value_kind:     by_value
      - .offset:         169
        .size:           1
        .value_kind:     by_value
      - .offset:         170
        .size:           1
        .value_kind:     by_value
    .group_segment_fixed_size: 0
    .kernarg_segment_align: 8
    .kernarg_segment_size: 172
    .language:       OpenCL C
    .language_version:
      - 2
      - 0
    .max_flat_workgroup_size: 1024
    .name:           _ZN9rocsparseL41csrgemm_numeric_fill_block_per_row_kernelILj1024ELj64ELj16384ELj137ELj32Eii21rocsparse_complex_numIdEEEvT5_PKS3_S5_NS_24const_host_device_scalarIT6_EEPKT4_S5_PKS7_SB_S5_SD_S8_SB_S5_SD_SB_S5_PS7_21rocsparse_index_base_SF_SF_SF_bbb
    .private_segment_fixed_size: 40
    .sgpr_count:     106
    .sgpr_spill_count: 21
    .symbol:         _ZN9rocsparseL41csrgemm_numeric_fill_block_per_row_kernelILj1024ELj64ELj16384ELj137ELj32Eii21rocsparse_complex_numIdEEEvT5_PKS3_S5_NS_24const_host_device_scalarIT6_EEPKT4_S5_PKS7_SB_S5_SD_S8_SB_S5_SD_SB_S5_PS7_21rocsparse_index_base_SF_SF_SF_bbb.kd
    .uniform_work_group_size: 1
    .uses_dynamic_stack: false
    .vgpr_count:     29
    .vgpr_spill_count: 0
    .wavefront_size: 64
  - .agpr_count:     0
    .args:
      - .offset:         0
        .size:           4
        .value_kind:     by_value
      - .actual_access:  read_only
        .address_space:  global
        .offset:         8
        .size:           8
        .value_kind:     global_buffer
      - .actual_access:  read_only
        .address_space:  global
        .offset:         16
        .size:           8
        .value_kind:     global_buffer
      - .offset:         24
        .size:           16
        .value_kind:     by_value
      - .actual_access:  read_only
        .address_space:  global
        .offset:         40
        .size:           8
        .value_kind:     global_buffer
      - .actual_access:  read_only
        .address_space:  global
        .offset:         48
        .size:           8
        .value_kind:     global_buffer
      - .actual_access:  read_only
        .address_space:  global
        .offset:         56
        .size:           8
        .value_kind:     global_buffer
      - .actual_access:  read_only
        .address_space:  global
        .offset:         64
        .size:           8
        .value_kind:     global_buffer
      - .actual_access:  read_only
        .address_space:  global
        .offset:         72
        .size:           8
        .value_kind:     global_buffer
      - .actual_access:  read_only
        .address_space:  global
        .offset:         80
        .size:           8
        .value_kind:     global_buffer
      - .offset:         88
        .size:           16
        .value_kind:     by_value
      - .actual_access:  read_only
        .address_space:  global
        .offset:         104
        .size:           8
        .value_kind:     global_buffer
      - .actual_access:  read_only
        .address_space:  global
        .offset:         112
        .size:           8
        .value_kind:     global_buffer
      - .actual_access:  read_only
        .address_space:  global
        .offset:         120
        .size:           8
        .value_kind:     global_buffer
      - .actual_access:  read_only
        .address_space:  global
        .offset:         128
        .size:           8
        .value_kind:     global_buffer
      - .actual_access:  read_only
        .address_space:  global
        .offset:         136
        .size:           8
        .value_kind:     global_buffer
      - .actual_access:  write_only
        .address_space:  global
        .offset:         144
        .size:           8
        .value_kind:     global_buffer
      - .offset:         152
        .size:           4
        .value_kind:     by_value
      - .offset:         156
        .size:           4
        .value_kind:     by_value
      - .offset:         160
        .size:           4
        .value_kind:     by_value
      - .offset:         164
        .size:           4
        .value_kind:     by_value
      - .offset:         168
        .size:           1
        .value_kind:     by_value
      - .offset:         169
        .size:           1
        .value_kind:     by_value
      - .offset:         170
        .size:           1
        .value_kind:     by_value
    .group_segment_fixed_size: 0
    .kernarg_segment_align: 8
    .kernarg_segment_size: 172
    .language:       OpenCL C
    .language_version:
      - 2
      - 0
    .max_flat_workgroup_size: 1024
    .name:           _ZN9rocsparseL41csrgemm_numeric_fill_block_per_row_kernelILj1024ELj64ELj16384ELj137ELj64Eii21rocsparse_complex_numIdEEEvT5_PKS3_S5_NS_24const_host_device_scalarIT6_EEPKT4_S5_PKS7_SB_S5_SD_S8_SB_S5_SD_SB_S5_PS7_21rocsparse_index_base_SF_SF_SF_bbb
    .private_segment_fixed_size: 40
    .sgpr_count:     67
    .sgpr_spill_count: 0
    .symbol:         _ZN9rocsparseL41csrgemm_numeric_fill_block_per_row_kernelILj1024ELj64ELj16384ELj137ELj64Eii21rocsparse_complex_numIdEEEvT5_PKS3_S5_NS_24const_host_device_scalarIT6_EEPKT4_S5_PKS7_SB_S5_SD_S8_SB_S5_SD_SB_S5_PS7_21rocsparse_index_base_SF_SF_SF_bbb.kd
    .uniform_work_group_size: 1
    .uses_dynamic_stack: false
    .vgpr_count:     30
    .vgpr_spill_count: 0
    .wavefront_size: 64
  - .agpr_count:     0
    .args:
      - .offset:         0
        .size:           4
        .value_kind:     by_value
      - .actual_access:  read_only
        .address_space:  global
        .offset:         8
        .size:           8
        .value_kind:     global_buffer
      - .actual_access:  read_only
        .address_space:  global
        .offset:         16
        .size:           8
        .value_kind:     global_buffer
      - .offset:         24
        .size:           16
        .value_kind:     by_value
      - .actual_access:  read_only
        .address_space:  global
        .offset:         40
        .size:           8
        .value_kind:     global_buffer
      - .actual_access:  read_only
        .address_space:  global
        .offset:         48
        .size:           8
        .value_kind:     global_buffer
      - .actual_access:  read_only
        .address_space:  global
        .offset:         56
        .size:           8
        .value_kind:     global_buffer
      - .actual_access:  read_only
        .address_space:  global
        .offset:         64
        .size:           8
        .value_kind:     global_buffer
      - .actual_access:  read_only
        .address_space:  global
        .offset:         72
        .size:           8
        .value_kind:     global_buffer
      - .actual_access:  read_only
        .address_space:  global
        .offset:         80
        .size:           8
        .value_kind:     global_buffer
      - .offset:         88
        .size:           16
        .value_kind:     by_value
      - .actual_access:  read_only
        .address_space:  global
        .offset:         104
        .size:           8
        .value_kind:     global_buffer
      - .actual_access:  read_only
        .address_space:  global
        .offset:         112
        .size:           8
        .value_kind:     global_buffer
      - .actual_access:  read_only
        .address_space:  global
        .offset:         120
        .size:           8
        .value_kind:     global_buffer
      - .actual_access:  read_only
        .address_space:  global
        .offset:         128
        .size:           8
        .value_kind:     global_buffer
      - .actual_access:  read_only
        .address_space:  global
        .offset:         136
        .size:           8
        .value_kind:     global_buffer
      - .actual_access:  write_only
        .address_space:  global
        .offset:         144
        .size:           8
        .value_kind:     global_buffer
      - .offset:         152
        .size:           4
        .value_kind:     by_value
      - .offset:         156
        .size:           4
        .value_kind:     by_value
      - .offset:         160
        .size:           4
        .value_kind:     by_value
      - .offset:         164
        .size:           4
        .value_kind:     by_value
      - .offset:         168
        .size:           1
        .value_kind:     by_value
      - .offset:         169
        .size:           1
        .value_kind:     by_value
      - .offset:         170
        .size:           1
        .value_kind:     by_value
    .group_segment_fixed_size: 0
    .kernarg_segment_align: 8
    .kernarg_segment_size: 172
    .language:       OpenCL C
    .language_version:
      - 2
      - 0
    .max_flat_workgroup_size: 1024
    .name:           _ZN9rocsparseL41csrgemm_numeric_fill_block_per_row_kernelILj1024ELj64ELj32768ELj137ELj32Eii21rocsparse_complex_numIdEEEvT5_PKS3_S5_NS_24const_host_device_scalarIT6_EEPKT4_S5_PKS7_SB_S5_SD_S8_SB_S5_SD_SB_S5_PS7_21rocsparse_index_base_SF_SF_SF_bbb
    .private_segment_fixed_size: 40
    .sgpr_count:     106
    .sgpr_spill_count: 21
    .symbol:         _ZN9rocsparseL41csrgemm_numeric_fill_block_per_row_kernelILj1024ELj64ELj32768ELj137ELj32Eii21rocsparse_complex_numIdEEEvT5_PKS3_S5_NS_24const_host_device_scalarIT6_EEPKT4_S5_PKS7_SB_S5_SD_S8_SB_S5_SD_SB_S5_PS7_21rocsparse_index_base_SF_SF_SF_bbb.kd
    .uniform_work_group_size: 1
    .uses_dynamic_stack: false
    .vgpr_count:     29
    .vgpr_spill_count: 0
    .wavefront_size: 64
  - .agpr_count:     0
    .args:
      - .offset:         0
        .size:           4
        .value_kind:     by_value
      - .actual_access:  read_only
        .address_space:  global
        .offset:         8
        .size:           8
        .value_kind:     global_buffer
      - .actual_access:  read_only
        .address_space:  global
        .offset:         16
        .size:           8
        .value_kind:     global_buffer
      - .offset:         24
        .size:           16
        .value_kind:     by_value
      - .actual_access:  read_only
        .address_space:  global
        .offset:         40
        .size:           8
        .value_kind:     global_buffer
      - .actual_access:  read_only
        .address_space:  global
        .offset:         48
        .size:           8
        .value_kind:     global_buffer
      - .actual_access:  read_only
        .address_space:  global
        .offset:         56
        .size:           8
        .value_kind:     global_buffer
      - .actual_access:  read_only
        .address_space:  global
        .offset:         64
        .size:           8
        .value_kind:     global_buffer
      - .actual_access:  read_only
        .address_space:  global
        .offset:         72
        .size:           8
        .value_kind:     global_buffer
      - .actual_access:  read_only
        .address_space:  global
        .offset:         80
        .size:           8
        .value_kind:     global_buffer
      - .offset:         88
        .size:           16
        .value_kind:     by_value
      - .actual_access:  read_only
        .address_space:  global
        .offset:         104
        .size:           8
        .value_kind:     global_buffer
      - .actual_access:  read_only
        .address_space:  global
        .offset:         112
        .size:           8
        .value_kind:     global_buffer
      - .actual_access:  read_only
        .address_space:  global
        .offset:         120
        .size:           8
        .value_kind:     global_buffer
      - .actual_access:  read_only
        .address_space:  global
        .offset:         128
        .size:           8
        .value_kind:     global_buffer
      - .actual_access:  read_only
        .address_space:  global
        .offset:         136
        .size:           8
        .value_kind:     global_buffer
      - .actual_access:  write_only
        .address_space:  global
        .offset:         144
        .size:           8
        .value_kind:     global_buffer
      - .offset:         152
        .size:           4
        .value_kind:     by_value
      - .offset:         156
        .size:           4
        .value_kind:     by_value
      - .offset:         160
        .size:           4
        .value_kind:     by_value
      - .offset:         164
        .size:           4
        .value_kind:     by_value
      - .offset:         168
        .size:           1
        .value_kind:     by_value
      - .offset:         169
        .size:           1
        .value_kind:     by_value
      - .offset:         170
        .size:           1
        .value_kind:     by_value
    .group_segment_fixed_size: 0
    .kernarg_segment_align: 8
    .kernarg_segment_size: 172
    .language:       OpenCL C
    .language_version:
      - 2
      - 0
    .max_flat_workgroup_size: 1024
    .name:           _ZN9rocsparseL41csrgemm_numeric_fill_block_per_row_kernelILj1024ELj64ELj32768ELj137ELj64Eii21rocsparse_complex_numIdEEEvT5_PKS3_S5_NS_24const_host_device_scalarIT6_EEPKT4_S5_PKS7_SB_S5_SD_S8_SB_S5_SD_SB_S5_PS7_21rocsparse_index_base_SF_SF_SF_bbb
    .private_segment_fixed_size: 40
    .sgpr_count:     67
    .sgpr_spill_count: 0
    .symbol:         _ZN9rocsparseL41csrgemm_numeric_fill_block_per_row_kernelILj1024ELj64ELj32768ELj137ELj64Eii21rocsparse_complex_numIdEEEvT5_PKS3_S5_NS_24const_host_device_scalarIT6_EEPKT4_S5_PKS7_SB_S5_SD_S8_SB_S5_SD_SB_S5_PS7_21rocsparse_index_base_SF_SF_SF_bbb.kd
    .uniform_work_group_size: 1
    .uses_dynamic_stack: false
    .vgpr_count:     30
    .vgpr_spill_count: 0
    .wavefront_size: 64
  - .agpr_count:     0
    .args:
      - .offset:         0
        .size:           4
        .value_kind:     by_value
      - .actual_access:  read_only
        .address_space:  global
        .offset:         8
        .size:           8
        .value_kind:     global_buffer
      - .actual_access:  read_only
        .address_space:  global
        .offset:         16
        .size:           8
        .value_kind:     global_buffer
      - .offset:         24
        .size:           16
        .value_kind:     by_value
      - .actual_access:  read_only
        .address_space:  global
        .offset:         40
        .size:           8
        .value_kind:     global_buffer
      - .actual_access:  read_only
        .address_space:  global
        .offset:         48
        .size:           8
        .value_kind:     global_buffer
      - .actual_access:  read_only
        .address_space:  global
        .offset:         56
        .size:           8
        .value_kind:     global_buffer
      - .actual_access:  read_only
        .address_space:  global
        .offset:         64
        .size:           8
        .value_kind:     global_buffer
      - .actual_access:  read_only
        .address_space:  global
        .offset:         72
        .size:           8
        .value_kind:     global_buffer
      - .actual_access:  read_only
        .address_space:  global
        .offset:         80
        .size:           8
        .value_kind:     global_buffer
      - .offset:         88
        .size:           16
        .value_kind:     by_value
      - .actual_access:  read_only
        .address_space:  global
        .offset:         104
        .size:           8
        .value_kind:     global_buffer
      - .actual_access:  read_only
        .address_space:  global
        .offset:         112
        .size:           8
        .value_kind:     global_buffer
      - .actual_access:  read_only
        .address_space:  global
        .offset:         120
        .size:           8
        .value_kind:     global_buffer
      - .actual_access:  read_only
        .address_space:  global
        .offset:         128
        .size:           8
        .value_kind:     global_buffer
      - .actual_access:  read_only
        .address_space:  global
        .offset:         136
        .size:           8
        .value_kind:     global_buffer
      - .actual_access:  write_only
        .address_space:  global
        .offset:         144
        .size:           8
        .value_kind:     global_buffer
      - .address_space:  global
        .offset:         152
        .size:           8
        .value_kind:     global_buffer
      - .offset:         160
        .size:           4
        .value_kind:     by_value
      - .offset:         164
        .size:           4
        .value_kind:     by_value
      - .offset:         168
        .size:           4
        .value_kind:     by_value
      - .offset:         172
        .size:           4
        .value_kind:     by_value
      - .offset:         176
        .size:           1
        .value_kind:     by_value
      - .offset:         177
        .size:           1
        .value_kind:     by_value
      - .offset:         178
        .size:           1
        .value_kind:     by_value
    .group_segment_fixed_size: 34824
    .kernarg_segment_align: 8
    .kernarg_segment_size: 180
    .language:       OpenCL C
    .language_version:
      - 2
      - 0
    .max_flat_workgroup_size: 512
    .name:           _ZN9rocsparseL51csrgemm_numeric_fill_block_per_row_multipass_kernelILj512ELj16ELj2048ELj32Eii21rocsparse_complex_numIdEEEvT4_PKS3_S5_NS_24const_host_device_scalarIT5_EEPKT3_S5_PKS7_SB_S5_SD_S8_SB_S5_SD_SB_S5_PS7_PS9_21rocsparse_index_base_SG_SG_SG_bbb
    .private_segment_fixed_size: 40
    .sgpr_count:     94
    .sgpr_spill_count: 0
    .symbol:         _ZN9rocsparseL51csrgemm_numeric_fill_block_per_row_multipass_kernelILj512ELj16ELj2048ELj32Eii21rocsparse_complex_numIdEEEvT4_PKS3_S5_NS_24const_host_device_scalarIT5_EEPKT3_S5_PKS7_SB_S5_SD_S8_SB_S5_SD_SB_S5_PS7_PS9_21rocsparse_index_base_SG_SG_SG_bbb.kd
    .uniform_work_group_size: 1
    .uses_dynamic_stack: false
    .vgpr_count:     44
    .vgpr_spill_count: 0
    .wavefront_size: 64
  - .agpr_count:     0
    .args:
      - .offset:         0
        .size:           4
        .value_kind:     by_value
      - .actual_access:  read_only
        .address_space:  global
        .offset:         8
        .size:           8
        .value_kind:     global_buffer
      - .actual_access:  read_only
        .address_space:  global
        .offset:         16
        .size:           8
        .value_kind:     global_buffer
      - .offset:         24
        .size:           16
        .value_kind:     by_value
      - .actual_access:  read_only
        .address_space:  global
        .offset:         40
        .size:           8
        .value_kind:     global_buffer
      - .actual_access:  read_only
        .address_space:  global
        .offset:         48
        .size:           8
        .value_kind:     global_buffer
      - .actual_access:  read_only
        .address_space:  global
        .offset:         56
        .size:           8
        .value_kind:     global_buffer
      - .actual_access:  read_only
        .address_space:  global
        .offset:         64
        .size:           8
        .value_kind:     global_buffer
      - .actual_access:  read_only
        .address_space:  global
        .offset:         72
        .size:           8
        .value_kind:     global_buffer
      - .actual_access:  read_only
        .address_space:  global
        .offset:         80
        .size:           8
        .value_kind:     global_buffer
      - .offset:         88
        .size:           16
        .value_kind:     by_value
      - .actual_access:  read_only
        .address_space:  global
        .offset:         104
        .size:           8
        .value_kind:     global_buffer
      - .actual_access:  read_only
        .address_space:  global
        .offset:         112
        .size:           8
        .value_kind:     global_buffer
      - .actual_access:  read_only
        .address_space:  global
        .offset:         120
        .size:           8
        .value_kind:     global_buffer
      - .actual_access:  read_only
        .address_space:  global
        .offset:         128
        .size:           8
        .value_kind:     global_buffer
      - .actual_access:  read_only
        .address_space:  global
        .offset:         136
        .size:           8
        .value_kind:     global_buffer
      - .actual_access:  write_only
        .address_space:  global
        .offset:         144
        .size:           8
        .value_kind:     global_buffer
      - .address_space:  global
        .offset:         152
        .size:           8
        .value_kind:     global_buffer
      - .offset:         160
        .size:           4
        .value_kind:     by_value
      - .offset:         164
        .size:           4
        .value_kind:     by_value
      - .offset:         168
        .size:           4
        .value_kind:     by_value
      - .offset:         172
        .size:           4
        .value_kind:     by_value
      - .offset:         176
        .size:           1
        .value_kind:     by_value
      - .offset:         177
        .size:           1
        .value_kind:     by_value
      - .offset:         178
        .size:           1
        .value_kind:     by_value
    .group_segment_fixed_size: 34824
    .kernarg_segment_align: 8
    .kernarg_segment_size: 180
    .language:       OpenCL C
    .language_version:
      - 2
      - 0
    .max_flat_workgroup_size: 512
    .name:           _ZN9rocsparseL51csrgemm_numeric_fill_block_per_row_multipass_kernelILj512ELj16ELj2048ELj64Eii21rocsparse_complex_numIdEEEvT4_PKS3_S5_NS_24const_host_device_scalarIT5_EEPKT3_S5_PKS7_SB_S5_SD_S8_SB_S5_SD_SB_S5_PS7_PS9_21rocsparse_index_base_SG_SG_SG_bbb
    .private_segment_fixed_size: 40
    .sgpr_count:     78
    .sgpr_spill_count: 0
    .symbol:         _ZN9rocsparseL51csrgemm_numeric_fill_block_per_row_multipass_kernelILj512ELj16ELj2048ELj64Eii21rocsparse_complex_numIdEEEvT4_PKS3_S5_NS_24const_host_device_scalarIT5_EEPKT3_S5_PKS7_SB_S5_SD_S8_SB_S5_SD_SB_S5_PS7_PS9_21rocsparse_index_base_SG_SG_SG_bbb.kd
    .uniform_work_group_size: 1
    .uses_dynamic_stack: false
    .vgpr_count:     44
    .vgpr_spill_count: 0
    .wavefront_size: 64
  - .agpr_count:     0
    .args:
      - .offset:         0
        .size:           8
        .value_kind:     by_value
      - .offset:         8
        .size:           8
        .value_kind:     by_value
      - .actual_access:  read_only
        .address_space:  global
        .offset:         16
        .size:           8
        .value_kind:     global_buffer
      - .actual_access:  read_only
        .address_space:  global
        .offset:         24
        .size:           8
        .value_kind:     global_buffer
      - .offset:         32
        .size:           8
        .value_kind:     by_value
      - .actual_access:  read_only
        .address_space:  global
        .offset:         40
        .size:           8
        .value_kind:     global_buffer
      - .actual_access:  read_only
        .address_space:  global
        .offset:         48
        .size:           8
        .value_kind:     global_buffer
      - .actual_access:  read_only
        .address_space:  global
        .offset:         56
        .size:           8
        .value_kind:     global_buffer
      - .actual_access:  read_only
        .address_space:  global
        .offset:         64
        .size:           8
        .value_kind:     global_buffer
      - .actual_access:  read_only
        .address_space:  global
        .offset:         72
        .size:           8
        .value_kind:     global_buffer
      - .actual_access:  read_only
        .address_space:  global
        .offset:         80
        .size:           8
        .value_kind:     global_buffer
      - .offset:         88
        .size:           8
        .value_kind:     by_value
      - .actual_access:  read_only
        .address_space:  global
        .offset:         96
        .size:           8
        .value_kind:     global_buffer
      - .actual_access:  read_only
        .address_space:  global
        .offset:         104
        .size:           8
        .value_kind:     global_buffer
      - .actual_access:  read_only
        .address_space:  global
        .offset:         112
        .size:           8
        .value_kind:     global_buffer
      - .actual_access:  read_only
        .address_space:  global
        .offset:         120
        .size:           8
        .value_kind:     global_buffer
      - .actual_access:  read_only
        .address_space:  global
        .offset:         128
        .size:           8
        .value_kind:     global_buffer
      - .actual_access:  write_only
        .address_space:  global
        .offset:         136
        .size:           8
        .value_kind:     global_buffer
      - .offset:         144
        .size:           4
        .value_kind:     by_value
      - .offset:         148
        .size:           4
        .value_kind:     by_value
      - .offset:         152
        .size:           4
        .value_kind:     by_value
      - .offset:         156
        .size:           4
        .value_kind:     by_value
      - .offset:         160
        .size:           1
        .value_kind:     by_value
      - .offset:         161
        .size:           1
        .value_kind:     by_value
      - .offset:         162
        .size:           1
        .value_kind:     by_value
    .group_segment_fixed_size: 6144
    .kernarg_segment_align: 8
    .kernarg_segment_size: 164
    .language:       OpenCL C
    .language_version:
      - 2
      - 0
    .max_flat_workgroup_size: 256
    .name:           _ZN9rocsparseL38csrgemm_numeric_fill_wf_per_row_kernelILj256ELj8ELj16ELj137EllfEEvT4_S1_PKS1_S3_NS_24const_host_device_scalarIT5_EEPKT3_S3_PKS5_S9_S3_SB_S6_S9_S3_SB_S9_S3_PS5_21rocsparse_index_base_SD_SD_SD_bbb
    .private_segment_fixed_size: 0
    .sgpr_count:     58
    .sgpr_spill_count: 0
    .symbol:         _ZN9rocsparseL38csrgemm_numeric_fill_wf_per_row_kernelILj256ELj8ELj16ELj137EllfEEvT4_S1_PKS1_S3_NS_24const_host_device_scalarIT5_EEPKT3_S3_PKS5_S9_S3_SB_S6_S9_S3_SB_S9_S3_PS5_21rocsparse_index_base_SD_SD_SD_bbb.kd
    .uniform_work_group_size: 1
    .uses_dynamic_stack: false
    .vgpr_count:     43
    .vgpr_spill_count: 0
    .wavefront_size: 64
  - .agpr_count:     0
    .args:
      - .offset:         0
        .size:           8
        .value_kind:     by_value
      - .offset:         8
        .size:           8
        .value_kind:     by_value
      - .actual_access:  read_only
        .address_space:  global
        .offset:         16
        .size:           8
        .value_kind:     global_buffer
      - .actual_access:  read_only
        .address_space:  global
        .offset:         24
        .size:           8
        .value_kind:     global_buffer
      - .offset:         32
        .size:           8
        .value_kind:     by_value
      - .actual_access:  read_only
        .address_space:  global
        .offset:         40
        .size:           8
        .value_kind:     global_buffer
      - .actual_access:  read_only
        .address_space:  global
        .offset:         48
        .size:           8
        .value_kind:     global_buffer
      - .actual_access:  read_only
        .address_space:  global
        .offset:         56
        .size:           8
        .value_kind:     global_buffer
      - .actual_access:  read_only
        .address_space:  global
        .offset:         64
        .size:           8
        .value_kind:     global_buffer
      - .actual_access:  read_only
        .address_space:  global
        .offset:         72
        .size:           8
        .value_kind:     global_buffer
      - .actual_access:  read_only
        .address_space:  global
        .offset:         80
        .size:           8
        .value_kind:     global_buffer
      - .offset:         88
        .size:           8
        .value_kind:     by_value
      - .actual_access:  read_only
        .address_space:  global
        .offset:         96
        .size:           8
        .value_kind:     global_buffer
      - .actual_access:  read_only
        .address_space:  global
        .offset:         104
        .size:           8
        .value_kind:     global_buffer
      - .actual_access:  read_only
        .address_space:  global
        .offset:         112
        .size:           8
        .value_kind:     global_buffer
      - .actual_access:  read_only
        .address_space:  global
        .offset:         120
        .size:           8
        .value_kind:     global_buffer
      - .actual_access:  read_only
        .address_space:  global
        .offset:         128
        .size:           8
        .value_kind:     global_buffer
      - .actual_access:  write_only
        .address_space:  global
        .offset:         136
        .size:           8
        .value_kind:     global_buffer
      - .offset:         144
        .size:           4
        .value_kind:     by_value
      - .offset:         148
        .size:           4
        .value_kind:     by_value
      - .offset:         152
        .size:           4
        .value_kind:     by_value
      - .offset:         156
        .size:           4
        .value_kind:     by_value
      - .offset:         160
        .size:           1
        .value_kind:     by_value
      - .offset:         161
        .size:           1
        .value_kind:     by_value
      - .offset:         162
        .size:           1
        .value_kind:     by_value
    .group_segment_fixed_size: 6144
    .kernarg_segment_align: 8
    .kernarg_segment_size: 164
    .language:       OpenCL C
    .language_version:
      - 2
      - 0
    .max_flat_workgroup_size: 256
    .name:           _ZN9rocsparseL38csrgemm_numeric_fill_wf_per_row_kernelILj256ELj16ELj32ELj137EllfEEvT4_S1_PKS1_S3_NS_24const_host_device_scalarIT5_EEPKT3_S3_PKS5_S9_S3_SB_S6_S9_S3_SB_S9_S3_PS5_21rocsparse_index_base_SD_SD_SD_bbb
    .private_segment_fixed_size: 0
    .sgpr_count:     58
    .sgpr_spill_count: 0
    .symbol:         _ZN9rocsparseL38csrgemm_numeric_fill_wf_per_row_kernelILj256ELj16ELj32ELj137EllfEEvT4_S1_PKS1_S3_NS_24const_host_device_scalarIT5_EEPKT3_S3_PKS5_S9_S3_SB_S6_S9_S3_SB_S9_S3_PS5_21rocsparse_index_base_SD_SD_SD_bbb.kd
    .uniform_work_group_size: 1
    .uses_dynamic_stack: false
    .vgpr_count:     61
    .vgpr_spill_count: 0
    .wavefront_size: 64
  - .agpr_count:     0
    .args:
      - .offset:         0
        .size:           8
        .value_kind:     by_value
      - .actual_access:  read_only
        .address_space:  global
        .offset:         8
        .size:           8
        .value_kind:     global_buffer
      - .actual_access:  read_only
        .address_space:  global
        .offset:         16
        .size:           8
        .value_kind:     global_buffer
      - .offset:         24
        .size:           8
        .value_kind:     by_value
      - .actual_access:  read_only
        .address_space:  global
        .offset:         32
        .size:           8
        .value_kind:     global_buffer
      - .actual_access:  read_only
        .address_space:  global
        .offset:         40
        .size:           8
        .value_kind:     global_buffer
      - .actual_access:  read_only
        .address_space:  global
        .offset:         48
        .size:           8
        .value_kind:     global_buffer
      - .actual_access:  read_only
        .address_space:  global
        .offset:         56
        .size:           8
        .value_kind:     global_buffer
      - .actual_access:  read_only
        .address_space:  global
        .offset:         64
        .size:           8
        .value_kind:     global_buffer
      - .actual_access:  read_only
        .address_space:  global
        .offset:         72
        .size:           8
        .value_kind:     global_buffer
      - .offset:         80
        .size:           8
        .value_kind:     by_value
      - .actual_access:  read_only
        .address_space:  global
        .offset:         88
        .size:           8
        .value_kind:     global_buffer
      - .actual_access:  read_only
        .address_space:  global
        .offset:         96
        .size:           8
        .value_kind:     global_buffer
      - .actual_access:  read_only
        .address_space:  global
        .offset:         104
        .size:           8
        .value_kind:     global_buffer
      - .actual_access:  read_only
        .address_space:  global
        .offset:         112
        .size:           8
        .value_kind:     global_buffer
      - .actual_access:  read_only
        .address_space:  global
        .offset:         120
        .size:           8
        .value_kind:     global_buffer
      - .actual_access:  write_only
        .address_space:  global
        .offset:         128
        .size:           8
        .value_kind:     global_buffer
      - .offset:         136
        .size:           4
        .value_kind:     by_value
      - .offset:         140
        .size:           4
        .value_kind:     by_value
      - .offset:         144
        .size:           4
        .value_kind:     by_value
      - .offset:         148
        .size:           4
        .value_kind:     by_value
      - .offset:         152
        .size:           1
        .value_kind:     by_value
      - .offset:         153
        .size:           1
        .value_kind:     by_value
      - .offset:         154
        .size:           1
        .value_kind:     by_value
    .group_segment_fixed_size: 0
    .kernarg_segment_align: 8
    .kernarg_segment_size: 156
    .language:       OpenCL C
    .language_version:
      - 2
      - 0
    .max_flat_workgroup_size: 128
    .name:           _ZN9rocsparseL41csrgemm_numeric_fill_block_per_row_kernelILj128ELj16ELj256ELj137ELj32EllfEEvT5_PKS1_S3_NS_24const_host_device_scalarIT6_EEPKT4_S3_PKS5_S9_S3_SB_S6_S9_S3_SB_S9_S3_PS5_21rocsparse_index_base_SD_SD_SD_bbb
    .private_segment_fixed_size: 0
    .sgpr_count:     64
    .sgpr_spill_count: 0
    .symbol:         _ZN9rocsparseL41csrgemm_numeric_fill_block_per_row_kernelILj128ELj16ELj256ELj137ELj32EllfEEvT5_PKS1_S3_NS_24const_host_device_scalarIT6_EEPKT4_S3_PKS5_S9_S3_SB_S6_S9_S3_SB_S9_S3_PS5_21rocsparse_index_base_SD_SD_SD_bbb.kd
    .uniform_work_group_size: 1
    .uses_dynamic_stack: false
    .vgpr_count:     40
    .vgpr_spill_count: 0
    .wavefront_size: 64
  - .agpr_count:     0
    .args:
      - .offset:         0
        .size:           8
        .value_kind:     by_value
      - .actual_access:  read_only
        .address_space:  global
        .offset:         8
        .size:           8
        .value_kind:     global_buffer
      - .actual_access:  read_only
        .address_space:  global
        .offset:         16
        .size:           8
        .value_kind:     global_buffer
      - .offset:         24
        .size:           8
        .value_kind:     by_value
      - .actual_access:  read_only
        .address_space:  global
        .offset:         32
        .size:           8
        .value_kind:     global_buffer
      - .actual_access:  read_only
        .address_space:  global
        .offset:         40
        .size:           8
        .value_kind:     global_buffer
      - .actual_access:  read_only
        .address_space:  global
        .offset:         48
        .size:           8
        .value_kind:     global_buffer
      - .actual_access:  read_only
        .address_space:  global
        .offset:         56
        .size:           8
        .value_kind:     global_buffer
      - .actual_access:  read_only
        .address_space:  global
        .offset:         64
        .size:           8
        .value_kind:     global_buffer
      - .actual_access:  read_only
        .address_space:  global
        .offset:         72
        .size:           8
        .value_kind:     global_buffer
      - .offset:         80
        .size:           8
        .value_kind:     by_value
      - .actual_access:  read_only
        .address_space:  global
        .offset:         88
        .size:           8
        .value_kind:     global_buffer
      - .actual_access:  read_only
        .address_space:  global
        .offset:         96
        .size:           8
        .value_kind:     global_buffer
      - .actual_access:  read_only
        .address_space:  global
        .offset:         104
        .size:           8
        .value_kind:     global_buffer
      - .actual_access:  read_only
        .address_space:  global
        .offset:         112
        .size:           8
        .value_kind:     global_buffer
      - .actual_access:  read_only
        .address_space:  global
        .offset:         120
        .size:           8
        .value_kind:     global_buffer
      - .actual_access:  write_only
        .address_space:  global
        .offset:         128
        .size:           8
        .value_kind:     global_buffer
      - .offset:         136
        .size:           4
        .value_kind:     by_value
      - .offset:         140
        .size:           4
        .value_kind:     by_value
      - .offset:         144
        .size:           4
        .value_kind:     by_value
      - .offset:         148
        .size:           4
        .value_kind:     by_value
      - .offset:         152
        .size:           1
        .value_kind:     by_value
      - .offset:         153
        .size:           1
        .value_kind:     by_value
      - .offset:         154
        .size:           1
        .value_kind:     by_value
    .group_segment_fixed_size: 0
    .kernarg_segment_align: 8
    .kernarg_segment_size: 156
    .language:       OpenCL C
    .language_version:
      - 2
      - 0
    .max_flat_workgroup_size: 128
    .name:           _ZN9rocsparseL41csrgemm_numeric_fill_block_per_row_kernelILj128ELj16ELj256ELj137ELj64EllfEEvT5_PKS1_S3_NS_24const_host_device_scalarIT6_EEPKT4_S3_PKS5_S9_S3_SB_S6_S9_S3_SB_S9_S3_PS5_21rocsparse_index_base_SD_SD_SD_bbb
    .private_segment_fixed_size: 0
    .sgpr_count:     64
    .sgpr_spill_count: 0
    .symbol:         _ZN9rocsparseL41csrgemm_numeric_fill_block_per_row_kernelILj128ELj16ELj256ELj137ELj64EllfEEvT5_PKS1_S3_NS_24const_host_device_scalarIT6_EEPKT4_S3_PKS5_S9_S3_SB_S6_S9_S3_SB_S9_S3_PS5_21rocsparse_index_base_SD_SD_SD_bbb.kd
    .uniform_work_group_size: 1
    .uses_dynamic_stack: false
    .vgpr_count:     40
    .vgpr_spill_count: 0
    .wavefront_size: 64
  - .agpr_count:     0
    .args:
      - .offset:         0
        .size:           8
        .value_kind:     by_value
      - .actual_access:  read_only
        .address_space:  global
        .offset:         8
        .size:           8
        .value_kind:     global_buffer
      - .actual_access:  read_only
        .address_space:  global
        .offset:         16
        .size:           8
        .value_kind:     global_buffer
      - .offset:         24
        .size:           8
        .value_kind:     by_value
      - .actual_access:  read_only
        .address_space:  global
        .offset:         32
        .size:           8
        .value_kind:     global_buffer
      - .actual_access:  read_only
        .address_space:  global
        .offset:         40
        .size:           8
        .value_kind:     global_buffer
      - .actual_access:  read_only
        .address_space:  global
        .offset:         48
        .size:           8
        .value_kind:     global_buffer
      - .actual_access:  read_only
        .address_space:  global
        .offset:         56
        .size:           8
        .value_kind:     global_buffer
      - .actual_access:  read_only
        .address_space:  global
        .offset:         64
        .size:           8
        .value_kind:     global_buffer
      - .actual_access:  read_only
        .address_space:  global
        .offset:         72
        .size:           8
        .value_kind:     global_buffer
      - .offset:         80
        .size:           8
        .value_kind:     by_value
      - .actual_access:  read_only
        .address_space:  global
        .offset:         88
        .size:           8
        .value_kind:     global_buffer
      - .actual_access:  read_only
        .address_space:  global
        .offset:         96
        .size:           8
        .value_kind:     global_buffer
      - .actual_access:  read_only
        .address_space:  global
        .offset:         104
        .size:           8
        .value_kind:     global_buffer
      - .actual_access:  read_only
        .address_space:  global
        .offset:         112
        .size:           8
        .value_kind:     global_buffer
      - .actual_access:  read_only
        .address_space:  global
        .offset:         120
        .size:           8
        .value_kind:     global_buffer
      - .actual_access:  write_only
        .address_space:  global
        .offset:         128
        .size:           8
        .value_kind:     global_buffer
      - .offset:         136
        .size:           4
        .value_kind:     by_value
      - .offset:         140
        .size:           4
        .value_kind:     by_value
      - .offset:         144
        .size:           4
        .value_kind:     by_value
      - .offset:         148
        .size:           4
        .value_kind:     by_value
      - .offset:         152
        .size:           1
        .value_kind:     by_value
      - .offset:         153
        .size:           1
        .value_kind:     by_value
      - .offset:         154
        .size:           1
        .value_kind:     by_value
    .group_segment_fixed_size: 0
    .kernarg_segment_align: 8
    .kernarg_segment_size: 156
    .language:       OpenCL C
    .language_version:
      - 2
      - 0
    .max_flat_workgroup_size: 256
    .name:           _ZN9rocsparseL41csrgemm_numeric_fill_block_per_row_kernelILj256ELj32ELj512ELj137ELj32EllfEEvT5_PKS1_S3_NS_24const_host_device_scalarIT6_EEPKT4_S3_PKS5_S9_S3_SB_S6_S9_S3_SB_S9_S3_PS5_21rocsparse_index_base_SD_SD_SD_bbb
    .private_segment_fixed_size: 0
    .sgpr_count:     64
    .sgpr_spill_count: 0
    .symbol:         _ZN9rocsparseL41csrgemm_numeric_fill_block_per_row_kernelILj256ELj32ELj512ELj137ELj32EllfEEvT5_PKS1_S3_NS_24const_host_device_scalarIT6_EEPKT4_S3_PKS5_S9_S3_SB_S6_S9_S3_SB_S9_S3_PS5_21rocsparse_index_base_SD_SD_SD_bbb.kd
    .uniform_work_group_size: 1
    .uses_dynamic_stack: false
    .vgpr_count:     40
    .vgpr_spill_count: 0
    .wavefront_size: 64
  - .agpr_count:     0
    .args:
      - .offset:         0
        .size:           8
        .value_kind:     by_value
      - .actual_access:  read_only
        .address_space:  global
        .offset:         8
        .size:           8
        .value_kind:     global_buffer
      - .actual_access:  read_only
        .address_space:  global
        .offset:         16
        .size:           8
        .value_kind:     global_buffer
      - .offset:         24
        .size:           8
        .value_kind:     by_value
      - .actual_access:  read_only
        .address_space:  global
        .offset:         32
        .size:           8
        .value_kind:     global_buffer
      - .actual_access:  read_only
        .address_space:  global
        .offset:         40
        .size:           8
        .value_kind:     global_buffer
      - .actual_access:  read_only
        .address_space:  global
        .offset:         48
        .size:           8
        .value_kind:     global_buffer
      - .actual_access:  read_only
        .address_space:  global
        .offset:         56
        .size:           8
        .value_kind:     global_buffer
      - .actual_access:  read_only
        .address_space:  global
        .offset:         64
        .size:           8
        .value_kind:     global_buffer
      - .actual_access:  read_only
        .address_space:  global
        .offset:         72
        .size:           8
        .value_kind:     global_buffer
      - .offset:         80
        .size:           8
        .value_kind:     by_value
      - .actual_access:  read_only
        .address_space:  global
        .offset:         88
        .size:           8
        .value_kind:     global_buffer
      - .actual_access:  read_only
        .address_space:  global
        .offset:         96
        .size:           8
        .value_kind:     global_buffer
      - .actual_access:  read_only
        .address_space:  global
        .offset:         104
        .size:           8
        .value_kind:     global_buffer
      - .actual_access:  read_only
        .address_space:  global
        .offset:         112
        .size:           8
        .value_kind:     global_buffer
      - .actual_access:  read_only
        .address_space:  global
        .offset:         120
        .size:           8
        .value_kind:     global_buffer
      - .actual_access:  write_only
        .address_space:  global
        .offset:         128
        .size:           8
        .value_kind:     global_buffer
      - .offset:         136
        .size:           4
        .value_kind:     by_value
      - .offset:         140
        .size:           4
        .value_kind:     by_value
      - .offset:         144
        .size:           4
        .value_kind:     by_value
      - .offset:         148
        .size:           4
        .value_kind:     by_value
      - .offset:         152
        .size:           1
        .value_kind:     by_value
      - .offset:         153
        .size:           1
        .value_kind:     by_value
      - .offset:         154
        .size:           1
        .value_kind:     by_value
    .group_segment_fixed_size: 0
    .kernarg_segment_align: 8
    .kernarg_segment_size: 156
    .language:       OpenCL C
    .language_version:
      - 2
      - 0
    .max_flat_workgroup_size: 256
    .name:           _ZN9rocsparseL41csrgemm_numeric_fill_block_per_row_kernelILj256ELj32ELj512ELj137ELj64EllfEEvT5_PKS1_S3_NS_24const_host_device_scalarIT6_EEPKT4_S3_PKS5_S9_S3_SB_S6_S9_S3_SB_S9_S3_PS5_21rocsparse_index_base_SD_SD_SD_bbb
    .private_segment_fixed_size: 0
    .sgpr_count:     64
    .sgpr_spill_count: 0
    .symbol:         _ZN9rocsparseL41csrgemm_numeric_fill_block_per_row_kernelILj256ELj32ELj512ELj137ELj64EllfEEvT5_PKS1_S3_NS_24const_host_device_scalarIT6_EEPKT4_S3_PKS5_S9_S3_SB_S6_S9_S3_SB_S9_S3_PS5_21rocsparse_index_base_SD_SD_SD_bbb.kd
    .uniform_work_group_size: 1
    .uses_dynamic_stack: false
    .vgpr_count:     40
    .vgpr_spill_count: 0
    .wavefront_size: 64
  - .agpr_count:     0
    .args:
      - .offset:         0
        .size:           8
        .value_kind:     by_value
      - .actual_access:  read_only
        .address_space:  global
        .offset:         8
        .size:           8
        .value_kind:     global_buffer
      - .actual_access:  read_only
        .address_space:  global
        .offset:         16
        .size:           8
        .value_kind:     global_buffer
      - .offset:         24
        .size:           8
        .value_kind:     by_value
      - .actual_access:  read_only
        .address_space:  global
        .offset:         32
        .size:           8
        .value_kind:     global_buffer
      - .actual_access:  read_only
        .address_space:  global
        .offset:         40
        .size:           8
        .value_kind:     global_buffer
      - .actual_access:  read_only
        .address_space:  global
        .offset:         48
        .size:           8
        .value_kind:     global_buffer
      - .actual_access:  read_only
        .address_space:  global
        .offset:         56
        .size:           8
        .value_kind:     global_buffer
      - .actual_access:  read_only
        .address_space:  global
        .offset:         64
        .size:           8
        .value_kind:     global_buffer
      - .actual_access:  read_only
        .address_space:  global
        .offset:         72
        .size:           8
        .value_kind:     global_buffer
      - .offset:         80
        .size:           8
        .value_kind:     by_value
      - .actual_access:  read_only
        .address_space:  global
        .offset:         88
        .size:           8
        .value_kind:     global_buffer
      - .actual_access:  read_only
        .address_space:  global
        .offset:         96
        .size:           8
        .value_kind:     global_buffer
      - .actual_access:  read_only
        .address_space:  global
        .offset:         104
        .size:           8
        .value_kind:     global_buffer
      - .actual_access:  read_only
        .address_space:  global
        .offset:         112
        .size:           8
        .value_kind:     global_buffer
      - .actual_access:  read_only
        .address_space:  global
        .offset:         120
        .size:           8
        .value_kind:     global_buffer
      - .actual_access:  write_only
        .address_space:  global
        .offset:         128
        .size:           8
        .value_kind:     global_buffer
      - .offset:         136
        .size:           4
        .value_kind:     by_value
      - .offset:         140
        .size:           4
        .value_kind:     by_value
      - .offset:         144
        .size:           4
        .value_kind:     by_value
      - .offset:         148
        .size:           4
        .value_kind:     by_value
      - .offset:         152
        .size:           1
        .value_kind:     by_value
      - .offset:         153
        .size:           1
        .value_kind:     by_value
      - .offset:         154
        .size:           1
        .value_kind:     by_value
    .group_segment_fixed_size: 0
    .kernarg_segment_align: 8
    .kernarg_segment_size: 156
    .language:       OpenCL C
    .language_version:
      - 2
      - 0
    .max_flat_workgroup_size: 512
    .name:           _ZN9rocsparseL41csrgemm_numeric_fill_block_per_row_kernelILj512ELj32ELj1024ELj137ELj32EllfEEvT5_PKS1_S3_NS_24const_host_device_scalarIT6_EEPKT4_S3_PKS5_S9_S3_SB_S6_S9_S3_SB_S9_S3_PS5_21rocsparse_index_base_SD_SD_SD_bbb
    .private_segment_fixed_size: 0
    .sgpr_count:     62
    .sgpr_spill_count: 0
    .symbol:         _ZN9rocsparseL41csrgemm_numeric_fill_block_per_row_kernelILj512ELj32ELj1024ELj137ELj32EllfEEvT5_PKS1_S3_NS_24const_host_device_scalarIT6_EEPKT4_S3_PKS5_S9_S3_SB_S6_S9_S3_SB_S9_S3_PS5_21rocsparse_index_base_SD_SD_SD_bbb.kd
    .uniform_work_group_size: 1
    .uses_dynamic_stack: false
    .vgpr_count:     40
    .vgpr_spill_count: 0
    .wavefront_size: 64
  - .agpr_count:     0
    .args:
      - .offset:         0
        .size:           8
        .value_kind:     by_value
      - .actual_access:  read_only
        .address_space:  global
        .offset:         8
        .size:           8
        .value_kind:     global_buffer
      - .actual_access:  read_only
        .address_space:  global
        .offset:         16
        .size:           8
        .value_kind:     global_buffer
      - .offset:         24
        .size:           8
        .value_kind:     by_value
      - .actual_access:  read_only
        .address_space:  global
        .offset:         32
        .size:           8
        .value_kind:     global_buffer
      - .actual_access:  read_only
        .address_space:  global
        .offset:         40
        .size:           8
        .value_kind:     global_buffer
      - .actual_access:  read_only
        .address_space:  global
        .offset:         48
        .size:           8
        .value_kind:     global_buffer
      - .actual_access:  read_only
        .address_space:  global
        .offset:         56
        .size:           8
        .value_kind:     global_buffer
      - .actual_access:  read_only
        .address_space:  global
        .offset:         64
        .size:           8
        .value_kind:     global_buffer
      - .actual_access:  read_only
        .address_space:  global
        .offset:         72
        .size:           8
        .value_kind:     global_buffer
      - .offset:         80
        .size:           8
        .value_kind:     by_value
      - .actual_access:  read_only
        .address_space:  global
        .offset:         88
        .size:           8
        .value_kind:     global_buffer
      - .actual_access:  read_only
        .address_space:  global
        .offset:         96
        .size:           8
        .value_kind:     global_buffer
      - .actual_access:  read_only
        .address_space:  global
        .offset:         104
        .size:           8
        .value_kind:     global_buffer
      - .actual_access:  read_only
        .address_space:  global
        .offset:         112
        .size:           8
        .value_kind:     global_buffer
      - .actual_access:  read_only
        .address_space:  global
        .offset:         120
        .size:           8
        .value_kind:     global_buffer
      - .actual_access:  write_only
        .address_space:  global
        .offset:         128
        .size:           8
        .value_kind:     global_buffer
      - .offset:         136
        .size:           4
        .value_kind:     by_value
      - .offset:         140
        .size:           4
        .value_kind:     by_value
      - .offset:         144
        .size:           4
        .value_kind:     by_value
      - .offset:         148
        .size:           4
        .value_kind:     by_value
      - .offset:         152
        .size:           1
        .value_kind:     by_value
      - .offset:         153
        .size:           1
        .value_kind:     by_value
      - .offset:         154
        .size:           1
        .value_kind:     by_value
    .group_segment_fixed_size: 0
    .kernarg_segment_align: 8
    .kernarg_segment_size: 156
    .language:       OpenCL C
    .language_version:
      - 2
      - 0
    .max_flat_workgroup_size: 512
    .name:           _ZN9rocsparseL41csrgemm_numeric_fill_block_per_row_kernelILj512ELj32ELj1024ELj137ELj64EllfEEvT5_PKS1_S3_NS_24const_host_device_scalarIT6_EEPKT4_S3_PKS5_S9_S3_SB_S6_S9_S3_SB_S9_S3_PS5_21rocsparse_index_base_SD_SD_SD_bbb
    .private_segment_fixed_size: 0
    .sgpr_count:     62
    .sgpr_spill_count: 0
    .symbol:         _ZN9rocsparseL41csrgemm_numeric_fill_block_per_row_kernelILj512ELj32ELj1024ELj137ELj64EllfEEvT5_PKS1_S3_NS_24const_host_device_scalarIT6_EEPKT4_S3_PKS5_S9_S3_SB_S6_S9_S3_SB_S9_S3_PS5_21rocsparse_index_base_SD_SD_SD_bbb.kd
    .uniform_work_group_size: 1
    .uses_dynamic_stack: false
    .vgpr_count:     40
    .vgpr_spill_count: 0
    .wavefront_size: 64
  - .agpr_count:     0
    .args:
      - .offset:         0
        .size:           8
        .value_kind:     by_value
      - .actual_access:  read_only
        .address_space:  global
        .offset:         8
        .size:           8
        .value_kind:     global_buffer
      - .actual_access:  read_only
        .address_space:  global
        .offset:         16
        .size:           8
        .value_kind:     global_buffer
      - .offset:         24
        .size:           8
        .value_kind:     by_value
      - .actual_access:  read_only
        .address_space:  global
        .offset:         32
        .size:           8
        .value_kind:     global_buffer
      - .actual_access:  read_only
        .address_space:  global
        .offset:         40
        .size:           8
        .value_kind:     global_buffer
      - .actual_access:  read_only
        .address_space:  global
        .offset:         48
        .size:           8
        .value_kind:     global_buffer
      - .actual_access:  read_only
        .address_space:  global
        .offset:         56
        .size:           8
        .value_kind:     global_buffer
      - .actual_access:  read_only
        .address_space:  global
        .offset:         64
        .size:           8
        .value_kind:     global_buffer
      - .actual_access:  read_only
        .address_space:  global
        .offset:         72
        .size:           8
        .value_kind:     global_buffer
      - .offset:         80
        .size:           8
        .value_kind:     by_value
      - .actual_access:  read_only
        .address_space:  global
        .offset:         88
        .size:           8
        .value_kind:     global_buffer
      - .actual_access:  read_only
        .address_space:  global
        .offset:         96
        .size:           8
        .value_kind:     global_buffer
      - .actual_access:  read_only
        .address_space:  global
        .offset:         104
        .size:           8
        .value_kind:     global_buffer
      - .actual_access:  read_only
        .address_space:  global
        .offset:         112
        .size:           8
        .value_kind:     global_buffer
      - .actual_access:  read_only
        .address_space:  global
        .offset:         120
        .size:           8
        .value_kind:     global_buffer
      - .actual_access:  write_only
        .address_space:  global
        .offset:         128
        .size:           8
        .value_kind:     global_buffer
      - .offset:         136
        .size:           4
        .value_kind:     by_value
      - .offset:         140
        .size:           4
        .value_kind:     by_value
      - .offset:         144
        .size:           4
        .value_kind:     by_value
      - .offset:         148
        .size:           4
        .value_kind:     by_value
      - .offset:         152
        .size:           1
        .value_kind:     by_value
      - .offset:         153
        .size:           1
        .value_kind:     by_value
      - .offset:         154
        .size:           1
        .value_kind:     by_value
    .group_segment_fixed_size: 0
    .kernarg_segment_align: 8
    .kernarg_segment_size: 156
    .language:       OpenCL C
    .language_version:
      - 2
      - 0
    .max_flat_workgroup_size: 1024
    .name:           _ZN9rocsparseL41csrgemm_numeric_fill_block_per_row_kernelILj1024ELj32ELj2048ELj137ELj32EllfEEvT5_PKS1_S3_NS_24const_host_device_scalarIT6_EEPKT4_S3_PKS5_S9_S3_SB_S6_S9_S3_SB_S9_S3_PS5_21rocsparse_index_base_SD_SD_SD_bbb
    .private_segment_fixed_size: 0
    .sgpr_count:     86
    .sgpr_spill_count: 0
    .symbol:         _ZN9rocsparseL41csrgemm_numeric_fill_block_per_row_kernelILj1024ELj32ELj2048ELj137ELj32EllfEEvT5_PKS1_S3_NS_24const_host_device_scalarIT6_EEPKT4_S3_PKS5_S9_S3_SB_S6_S9_S3_SB_S9_S3_PS5_21rocsparse_index_base_SD_SD_SD_bbb.kd
    .uniform_work_group_size: 1
    .uses_dynamic_stack: false
    .vgpr_count:     40
    .vgpr_spill_count: 0
    .wavefront_size: 64
  - .agpr_count:     0
    .args:
      - .offset:         0
        .size:           8
        .value_kind:     by_value
      - .actual_access:  read_only
        .address_space:  global
        .offset:         8
        .size:           8
        .value_kind:     global_buffer
      - .actual_access:  read_only
        .address_space:  global
        .offset:         16
        .size:           8
        .value_kind:     global_buffer
      - .offset:         24
        .size:           8
        .value_kind:     by_value
      - .actual_access:  read_only
        .address_space:  global
        .offset:         32
        .size:           8
        .value_kind:     global_buffer
      - .actual_access:  read_only
        .address_space:  global
        .offset:         40
        .size:           8
        .value_kind:     global_buffer
      - .actual_access:  read_only
        .address_space:  global
        .offset:         48
        .size:           8
        .value_kind:     global_buffer
      - .actual_access:  read_only
        .address_space:  global
        .offset:         56
        .size:           8
        .value_kind:     global_buffer
      - .actual_access:  read_only
        .address_space:  global
        .offset:         64
        .size:           8
        .value_kind:     global_buffer
      - .actual_access:  read_only
        .address_space:  global
        .offset:         72
        .size:           8
        .value_kind:     global_buffer
      - .offset:         80
        .size:           8
        .value_kind:     by_value
      - .actual_access:  read_only
        .address_space:  global
        .offset:         88
        .size:           8
        .value_kind:     global_buffer
      - .actual_access:  read_only
        .address_space:  global
        .offset:         96
        .size:           8
        .value_kind:     global_buffer
      - .actual_access:  read_only
        .address_space:  global
        .offset:         104
        .size:           8
        .value_kind:     global_buffer
      - .actual_access:  read_only
        .address_space:  global
        .offset:         112
        .size:           8
        .value_kind:     global_buffer
      - .actual_access:  read_only
        .address_space:  global
        .offset:         120
        .size:           8
        .value_kind:     global_buffer
      - .actual_access:  write_only
        .address_space:  global
        .offset:         128
        .size:           8
        .value_kind:     global_buffer
      - .offset:         136
        .size:           4
        .value_kind:     by_value
      - .offset:         140
        .size:           4
        .value_kind:     by_value
      - .offset:         144
        .size:           4
        .value_kind:     by_value
      - .offset:         148
        .size:           4
        .value_kind:     by_value
      - .offset:         152
        .size:           1
        .value_kind:     by_value
      - .offset:         153
        .size:           1
        .value_kind:     by_value
      - .offset:         154
        .size:           1
        .value_kind:     by_value
    .group_segment_fixed_size: 0
    .kernarg_segment_align: 8
    .kernarg_segment_size: 156
    .language:       OpenCL C
    .language_version:
      - 2
      - 0
    .max_flat_workgroup_size: 1024
    .name:           _ZN9rocsparseL41csrgemm_numeric_fill_block_per_row_kernelILj1024ELj32ELj2048ELj137ELj64EllfEEvT5_PKS1_S3_NS_24const_host_device_scalarIT6_EEPKT4_S3_PKS5_S9_S3_SB_S6_S9_S3_SB_S9_S3_PS5_21rocsparse_index_base_SD_SD_SD_bbb
    .private_segment_fixed_size: 0
    .sgpr_count:     62
    .sgpr_spill_count: 0
    .symbol:         _ZN9rocsparseL41csrgemm_numeric_fill_block_per_row_kernelILj1024ELj32ELj2048ELj137ELj64EllfEEvT5_PKS1_S3_NS_24const_host_device_scalarIT6_EEPKT4_S3_PKS5_S9_S3_SB_S6_S9_S3_SB_S9_S3_PS5_21rocsparse_index_base_SD_SD_SD_bbb.kd
    .uniform_work_group_size: 1
    .uses_dynamic_stack: false
    .vgpr_count:     40
    .vgpr_spill_count: 0
    .wavefront_size: 64
  - .agpr_count:     0
    .args:
      - .offset:         0
        .size:           8
        .value_kind:     by_value
      - .actual_access:  read_only
        .address_space:  global
        .offset:         8
        .size:           8
        .value_kind:     global_buffer
      - .actual_access:  read_only
        .address_space:  global
        .offset:         16
        .size:           8
        .value_kind:     global_buffer
      - .offset:         24
        .size:           8
        .value_kind:     by_value
      - .actual_access:  read_only
        .address_space:  global
        .offset:         32
        .size:           8
        .value_kind:     global_buffer
      - .actual_access:  read_only
        .address_space:  global
        .offset:         40
        .size:           8
        .value_kind:     global_buffer
      - .actual_access:  read_only
        .address_space:  global
        .offset:         48
        .size:           8
        .value_kind:     global_buffer
      - .actual_access:  read_only
        .address_space:  global
        .offset:         56
        .size:           8
        .value_kind:     global_buffer
      - .actual_access:  read_only
        .address_space:  global
        .offset:         64
        .size:           8
        .value_kind:     global_buffer
      - .actual_access:  read_only
        .address_space:  global
        .offset:         72
        .size:           8
        .value_kind:     global_buffer
      - .offset:         80
        .size:           8
        .value_kind:     by_value
      - .actual_access:  read_only
        .address_space:  global
        .offset:         88
        .size:           8
        .value_kind:     global_buffer
      - .actual_access:  read_only
        .address_space:  global
        .offset:         96
        .size:           8
        .value_kind:     global_buffer
      - .actual_access:  read_only
        .address_space:  global
        .offset:         104
        .size:           8
        .value_kind:     global_buffer
      - .actual_access:  read_only
        .address_space:  global
        .offset:         112
        .size:           8
        .value_kind:     global_buffer
      - .actual_access:  read_only
        .address_space:  global
        .offset:         120
        .size:           8
        .value_kind:     global_buffer
      - .actual_access:  write_only
        .address_space:  global
        .offset:         128
        .size:           8
        .value_kind:     global_buffer
      - .offset:         136
        .size:           4
        .value_kind:     by_value
      - .offset:         140
        .size:           4
        .value_kind:     by_value
      - .offset:         144
        .size:           4
        .value_kind:     by_value
      - .offset:         148
        .size:           4
        .value_kind:     by_value
      - .offset:         152
        .size:           1
        .value_kind:     by_value
      - .offset:         153
        .size:           1
        .value_kind:     by_value
      - .offset:         154
        .size:           1
        .value_kind:     by_value
    .group_segment_fixed_size: 0
    .kernarg_segment_align: 8
    .kernarg_segment_size: 156
    .language:       OpenCL C
    .language_version:
      - 2
      - 0
    .max_flat_workgroup_size: 1024
    .name:           _ZN9rocsparseL41csrgemm_numeric_fill_block_per_row_kernelILj1024ELj64ELj4096ELj137ELj32EllfEEvT5_PKS1_S3_NS_24const_host_device_scalarIT6_EEPKT4_S3_PKS5_S9_S3_SB_S6_S9_S3_SB_S9_S3_PS5_21rocsparse_index_base_SD_SD_SD_bbb
    .private_segment_fixed_size: 0
    .sgpr_count:     86
    .sgpr_spill_count: 0
    .symbol:         _ZN9rocsparseL41csrgemm_numeric_fill_block_per_row_kernelILj1024ELj64ELj4096ELj137ELj32EllfEEvT5_PKS1_S3_NS_24const_host_device_scalarIT6_EEPKT4_S3_PKS5_S9_S3_SB_S6_S9_S3_SB_S9_S3_PS5_21rocsparse_index_base_SD_SD_SD_bbb.kd
    .uniform_work_group_size: 1
    .uses_dynamic_stack: false
    .vgpr_count:     40
    .vgpr_spill_count: 0
    .wavefront_size: 64
  - .agpr_count:     0
    .args:
      - .offset:         0
        .size:           8
        .value_kind:     by_value
      - .actual_access:  read_only
        .address_space:  global
        .offset:         8
        .size:           8
        .value_kind:     global_buffer
      - .actual_access:  read_only
        .address_space:  global
        .offset:         16
        .size:           8
        .value_kind:     global_buffer
      - .offset:         24
        .size:           8
        .value_kind:     by_value
      - .actual_access:  read_only
        .address_space:  global
        .offset:         32
        .size:           8
        .value_kind:     global_buffer
      - .actual_access:  read_only
        .address_space:  global
        .offset:         40
        .size:           8
        .value_kind:     global_buffer
      - .actual_access:  read_only
        .address_space:  global
        .offset:         48
        .size:           8
        .value_kind:     global_buffer
      - .actual_access:  read_only
        .address_space:  global
        .offset:         56
        .size:           8
        .value_kind:     global_buffer
      - .actual_access:  read_only
        .address_space:  global
        .offset:         64
        .size:           8
        .value_kind:     global_buffer
      - .actual_access:  read_only
        .address_space:  global
        .offset:         72
        .size:           8
        .value_kind:     global_buffer
      - .offset:         80
        .size:           8
        .value_kind:     by_value
      - .actual_access:  read_only
        .address_space:  global
        .offset:         88
        .size:           8
        .value_kind:     global_buffer
      - .actual_access:  read_only
        .address_space:  global
        .offset:         96
        .size:           8
        .value_kind:     global_buffer
      - .actual_access:  read_only
        .address_space:  global
        .offset:         104
        .size:           8
        .value_kind:     global_buffer
      - .actual_access:  read_only
        .address_space:  global
        .offset:         112
        .size:           8
        .value_kind:     global_buffer
      - .actual_access:  read_only
        .address_space:  global
        .offset:         120
        .size:           8
        .value_kind:     global_buffer
      - .actual_access:  write_only
        .address_space:  global
        .offset:         128
        .size:           8
        .value_kind:     global_buffer
      - .offset:         136
        .size:           4
        .value_kind:     by_value
      - .offset:         140
        .size:           4
        .value_kind:     by_value
      - .offset:         144
        .size:           4
        .value_kind:     by_value
      - .offset:         148
        .size:           4
        .value_kind:     by_value
      - .offset:         152
        .size:           1
        .value_kind:     by_value
      - .offset:         153
        .size:           1
        .value_kind:     by_value
      - .offset:         154
        .size:           1
        .value_kind:     by_value
    .group_segment_fixed_size: 0
    .kernarg_segment_align: 8
    .kernarg_segment_size: 156
    .language:       OpenCL C
    .language_version:
      - 2
      - 0
    .max_flat_workgroup_size: 1024
    .name:           _ZN9rocsparseL41csrgemm_numeric_fill_block_per_row_kernelILj1024ELj64ELj4096ELj137ELj64EllfEEvT5_PKS1_S3_NS_24const_host_device_scalarIT6_EEPKT4_S3_PKS5_S9_S3_SB_S6_S9_S3_SB_S9_S3_PS5_21rocsparse_index_base_SD_SD_SD_bbb
    .private_segment_fixed_size: 0
    .sgpr_count:     62
    .sgpr_spill_count: 0
    .symbol:         _ZN9rocsparseL41csrgemm_numeric_fill_block_per_row_kernelILj1024ELj64ELj4096ELj137ELj64EllfEEvT5_PKS1_S3_NS_24const_host_device_scalarIT6_EEPKT4_S3_PKS5_S9_S3_SB_S6_S9_S3_SB_S9_S3_PS5_21rocsparse_index_base_SD_SD_SD_bbb.kd
    .uniform_work_group_size: 1
    .uses_dynamic_stack: false
    .vgpr_count:     40
    .vgpr_spill_count: 0
    .wavefront_size: 64
  - .agpr_count:     0
    .args:
      - .offset:         0
        .size:           8
        .value_kind:     by_value
      - .actual_access:  read_only
        .address_space:  global
        .offset:         8
        .size:           8
        .value_kind:     global_buffer
      - .actual_access:  read_only
        .address_space:  global
        .offset:         16
        .size:           8
        .value_kind:     global_buffer
      - .offset:         24
        .size:           8
        .value_kind:     by_value
      - .actual_access:  read_only
        .address_space:  global
        .offset:         32
        .size:           8
        .value_kind:     global_buffer
      - .actual_access:  read_only
        .address_space:  global
        .offset:         40
        .size:           8
        .value_kind:     global_buffer
      - .actual_access:  read_only
        .address_space:  global
        .offset:         48
        .size:           8
        .value_kind:     global_buffer
      - .actual_access:  read_only
        .address_space:  global
        .offset:         56
        .size:           8
        .value_kind:     global_buffer
      - .actual_access:  read_only
        .address_space:  global
        .offset:         64
        .size:           8
        .value_kind:     global_buffer
      - .actual_access:  read_only
        .address_space:  global
        .offset:         72
        .size:           8
        .value_kind:     global_buffer
      - .offset:         80
        .size:           8
        .value_kind:     by_value
      - .actual_access:  read_only
        .address_space:  global
        .offset:         88
        .size:           8
        .value_kind:     global_buffer
      - .actual_access:  read_only
        .address_space:  global
        .offset:         96
        .size:           8
        .value_kind:     global_buffer
      - .actual_access:  read_only
        .address_space:  global
        .offset:         104
        .size:           8
        .value_kind:     global_buffer
      - .actual_access:  read_only
        .address_space:  global
        .offset:         112
        .size:           8
        .value_kind:     global_buffer
      - .actual_access:  read_only
        .address_space:  global
        .offset:         120
        .size:           8
        .value_kind:     global_buffer
      - .actual_access:  write_only
        .address_space:  global
        .offset:         128
        .size:           8
        .value_kind:     global_buffer
      - .offset:         136
        .size:           4
        .value_kind:     by_value
      - .offset:         140
        .size:           4
        .value_kind:     by_value
      - .offset:         144
        .size:           4
        .value_kind:     by_value
      - .offset:         148
        .size:           4
        .value_kind:     by_value
      - .offset:         152
        .size:           1
        .value_kind:     by_value
      - .offset:         153
        .size:           1
        .value_kind:     by_value
      - .offset:         154
        .size:           1
        .value_kind:     by_value
    .group_segment_fixed_size: 0
    .kernarg_segment_align: 8
    .kernarg_segment_size: 156
    .language:       OpenCL C
    .language_version:
      - 2
      - 0
    .max_flat_workgroup_size: 1024
    .name:           _ZN9rocsparseL41csrgemm_numeric_fill_block_per_row_kernelILj1024ELj64ELj8192ELj137ELj32EllfEEvT5_PKS1_S3_NS_24const_host_device_scalarIT6_EEPKT4_S3_PKS5_S9_S3_SB_S6_S9_S3_SB_S9_S3_PS5_21rocsparse_index_base_SD_SD_SD_bbb
    .private_segment_fixed_size: 0
    .sgpr_count:     106
    .sgpr_spill_count: 15
    .symbol:         _ZN9rocsparseL41csrgemm_numeric_fill_block_per_row_kernelILj1024ELj64ELj8192ELj137ELj32EllfEEvT5_PKS1_S3_NS_24const_host_device_scalarIT6_EEPKT4_S3_PKS5_S9_S3_SB_S6_S9_S3_SB_S9_S3_PS5_21rocsparse_index_base_SD_SD_SD_bbb.kd
    .uniform_work_group_size: 1
    .uses_dynamic_stack: false
    .vgpr_count:     41
    .vgpr_spill_count: 0
    .wavefront_size: 64
  - .agpr_count:     0
    .args:
      - .offset:         0
        .size:           8
        .value_kind:     by_value
      - .actual_access:  read_only
        .address_space:  global
        .offset:         8
        .size:           8
        .value_kind:     global_buffer
      - .actual_access:  read_only
        .address_space:  global
        .offset:         16
        .size:           8
        .value_kind:     global_buffer
      - .offset:         24
        .size:           8
        .value_kind:     by_value
      - .actual_access:  read_only
        .address_space:  global
        .offset:         32
        .size:           8
        .value_kind:     global_buffer
      - .actual_access:  read_only
        .address_space:  global
        .offset:         40
        .size:           8
        .value_kind:     global_buffer
      - .actual_access:  read_only
        .address_space:  global
        .offset:         48
        .size:           8
        .value_kind:     global_buffer
      - .actual_access:  read_only
        .address_space:  global
        .offset:         56
        .size:           8
        .value_kind:     global_buffer
      - .actual_access:  read_only
        .address_space:  global
        .offset:         64
        .size:           8
        .value_kind:     global_buffer
      - .actual_access:  read_only
        .address_space:  global
        .offset:         72
        .size:           8
        .value_kind:     global_buffer
      - .offset:         80
        .size:           8
        .value_kind:     by_value
      - .actual_access:  read_only
        .address_space:  global
        .offset:         88
        .size:           8
        .value_kind:     global_buffer
      - .actual_access:  read_only
        .address_space:  global
        .offset:         96
        .size:           8
        .value_kind:     global_buffer
      - .actual_access:  read_only
        .address_space:  global
        .offset:         104
        .size:           8
        .value_kind:     global_buffer
      - .actual_access:  read_only
        .address_space:  global
        .offset:         112
        .size:           8
        .value_kind:     global_buffer
      - .actual_access:  read_only
        .address_space:  global
        .offset:         120
        .size:           8
        .value_kind:     global_buffer
      - .actual_access:  write_only
        .address_space:  global
        .offset:         128
        .size:           8
        .value_kind:     global_buffer
      - .offset:         136
        .size:           4
        .value_kind:     by_value
      - .offset:         140
        .size:           4
        .value_kind:     by_value
      - .offset:         144
        .size:           4
        .value_kind:     by_value
      - .offset:         148
        .size:           4
        .value_kind:     by_value
      - .offset:         152
        .size:           1
        .value_kind:     by_value
      - .offset:         153
        .size:           1
        .value_kind:     by_value
      - .offset:         154
        .size:           1
        .value_kind:     by_value
    .group_segment_fixed_size: 0
    .kernarg_segment_align: 8
    .kernarg_segment_size: 156
    .language:       OpenCL C
    .language_version:
      - 2
      - 0
    .max_flat_workgroup_size: 1024
    .name:           _ZN9rocsparseL41csrgemm_numeric_fill_block_per_row_kernelILj1024ELj64ELj8192ELj137ELj64EllfEEvT5_PKS1_S3_NS_24const_host_device_scalarIT6_EEPKT4_S3_PKS5_S9_S3_SB_S6_S9_S3_SB_S9_S3_PS5_21rocsparse_index_base_SD_SD_SD_bbb
    .private_segment_fixed_size: 0
    .sgpr_count:     69
    .sgpr_spill_count: 0
    .symbol:         _ZN9rocsparseL41csrgemm_numeric_fill_block_per_row_kernelILj1024ELj64ELj8192ELj137ELj64EllfEEvT5_PKS1_S3_NS_24const_host_device_scalarIT6_EEPKT4_S3_PKS5_S9_S3_SB_S6_S9_S3_SB_S9_S3_PS5_21rocsparse_index_base_SD_SD_SD_bbb.kd
    .uniform_work_group_size: 1
    .uses_dynamic_stack: false
    .vgpr_count:     40
    .vgpr_spill_count: 0
    .wavefront_size: 64
  - .agpr_count:     0
    .args:
      - .offset:         0
        .size:           8
        .value_kind:     by_value
      - .actual_access:  read_only
        .address_space:  global
        .offset:         8
        .size:           8
        .value_kind:     global_buffer
      - .actual_access:  read_only
        .address_space:  global
        .offset:         16
        .size:           8
        .value_kind:     global_buffer
      - .offset:         24
        .size:           8
        .value_kind:     by_value
      - .actual_access:  read_only
        .address_space:  global
        .offset:         32
        .size:           8
        .value_kind:     global_buffer
      - .actual_access:  read_only
        .address_space:  global
        .offset:         40
        .size:           8
        .value_kind:     global_buffer
      - .actual_access:  read_only
        .address_space:  global
        .offset:         48
        .size:           8
        .value_kind:     global_buffer
      - .actual_access:  read_only
        .address_space:  global
        .offset:         56
        .size:           8
        .value_kind:     global_buffer
      - .actual_access:  read_only
        .address_space:  global
        .offset:         64
        .size:           8
        .value_kind:     global_buffer
      - .actual_access:  read_only
        .address_space:  global
        .offset:         72
        .size:           8
        .value_kind:     global_buffer
      - .offset:         80
        .size:           8
        .value_kind:     by_value
      - .actual_access:  read_only
        .address_space:  global
        .offset:         88
        .size:           8
        .value_kind:     global_buffer
      - .actual_access:  read_only
        .address_space:  global
        .offset:         96
        .size:           8
        .value_kind:     global_buffer
      - .actual_access:  read_only
        .address_space:  global
        .offset:         104
        .size:           8
        .value_kind:     global_buffer
      - .actual_access:  read_only
        .address_space:  global
        .offset:         112
        .size:           8
        .value_kind:     global_buffer
      - .actual_access:  read_only
        .address_space:  global
        .offset:         120
        .size:           8
        .value_kind:     global_buffer
      - .actual_access:  write_only
        .address_space:  global
        .offset:         128
        .size:           8
        .value_kind:     global_buffer
      - .offset:         136
        .size:           4
        .value_kind:     by_value
      - .offset:         140
        .size:           4
        .value_kind:     by_value
      - .offset:         144
        .size:           4
        .value_kind:     by_value
      - .offset:         148
        .size:           4
        .value_kind:     by_value
      - .offset:         152
        .size:           1
        .value_kind:     by_value
      - .offset:         153
        .size:           1
        .value_kind:     by_value
      - .offset:         154
        .size:           1
        .value_kind:     by_value
    .group_segment_fixed_size: 0
    .kernarg_segment_align: 8
    .kernarg_segment_size: 156
    .language:       OpenCL C
    .language_version:
      - 2
      - 0
    .max_flat_workgroup_size: 1024
    .name:           _ZN9rocsparseL41csrgemm_numeric_fill_block_per_row_kernelILj1024ELj64ELj16384ELj137ELj32EllfEEvT5_PKS1_S3_NS_24const_host_device_scalarIT6_EEPKT4_S3_PKS5_S9_S3_SB_S6_S9_S3_SB_S9_S3_PS5_21rocsparse_index_base_SD_SD_SD_bbb
    .private_segment_fixed_size: 0
    .sgpr_count:     106
    .sgpr_spill_count: 21
    .symbol:         _ZN9rocsparseL41csrgemm_numeric_fill_block_per_row_kernelILj1024ELj64ELj16384ELj137ELj32EllfEEvT5_PKS1_S3_NS_24const_host_device_scalarIT6_EEPKT4_S3_PKS5_S9_S3_SB_S6_S9_S3_SB_S9_S3_PS5_21rocsparse_index_base_SD_SD_SD_bbb.kd
    .uniform_work_group_size: 1
    .uses_dynamic_stack: false
    .vgpr_count:     41
    .vgpr_spill_count: 0
    .wavefront_size: 64
  - .agpr_count:     0
    .args:
      - .offset:         0
        .size:           8
        .value_kind:     by_value
      - .actual_access:  read_only
        .address_space:  global
        .offset:         8
        .size:           8
        .value_kind:     global_buffer
      - .actual_access:  read_only
        .address_space:  global
        .offset:         16
        .size:           8
        .value_kind:     global_buffer
      - .offset:         24
        .size:           8
        .value_kind:     by_value
      - .actual_access:  read_only
        .address_space:  global
        .offset:         32
        .size:           8
        .value_kind:     global_buffer
      - .actual_access:  read_only
        .address_space:  global
        .offset:         40
        .size:           8
        .value_kind:     global_buffer
      - .actual_access:  read_only
        .address_space:  global
        .offset:         48
        .size:           8
        .value_kind:     global_buffer
      - .actual_access:  read_only
        .address_space:  global
        .offset:         56
        .size:           8
        .value_kind:     global_buffer
      - .actual_access:  read_only
        .address_space:  global
        .offset:         64
        .size:           8
        .value_kind:     global_buffer
      - .actual_access:  read_only
        .address_space:  global
        .offset:         72
        .size:           8
        .value_kind:     global_buffer
      - .offset:         80
        .size:           8
        .value_kind:     by_value
      - .actual_access:  read_only
        .address_space:  global
        .offset:         88
        .size:           8
        .value_kind:     global_buffer
      - .actual_access:  read_only
        .address_space:  global
        .offset:         96
        .size:           8
        .value_kind:     global_buffer
      - .actual_access:  read_only
        .address_space:  global
        .offset:         104
        .size:           8
        .value_kind:     global_buffer
      - .actual_access:  read_only
        .address_space:  global
        .offset:         112
        .size:           8
        .value_kind:     global_buffer
      - .actual_access:  read_only
        .address_space:  global
        .offset:         120
        .size:           8
        .value_kind:     global_buffer
      - .actual_access:  write_only
        .address_space:  global
        .offset:         128
        .size:           8
        .value_kind:     global_buffer
      - .offset:         136
        .size:           4
        .value_kind:     by_value
      - .offset:         140
        .size:           4
        .value_kind:     by_value
      - .offset:         144
        .size:           4
        .value_kind:     by_value
      - .offset:         148
        .size:           4
        .value_kind:     by_value
      - .offset:         152
        .size:           1
        .value_kind:     by_value
      - .offset:         153
        .size:           1
        .value_kind:     by_value
      - .offset:         154
        .size:           1
        .value_kind:     by_value
    .group_segment_fixed_size: 0
    .kernarg_segment_align: 8
    .kernarg_segment_size: 156
    .language:       OpenCL C
    .language_version:
      - 2
      - 0
    .max_flat_workgroup_size: 1024
    .name:           _ZN9rocsparseL41csrgemm_numeric_fill_block_per_row_kernelILj1024ELj64ELj16384ELj137ELj64EllfEEvT5_PKS1_S3_NS_24const_host_device_scalarIT6_EEPKT4_S3_PKS5_S9_S3_SB_S6_S9_S3_SB_S9_S3_PS5_21rocsparse_index_base_SD_SD_SD_bbb
    .private_segment_fixed_size: 0
    .sgpr_count:     69
    .sgpr_spill_count: 0
    .symbol:         _ZN9rocsparseL41csrgemm_numeric_fill_block_per_row_kernelILj1024ELj64ELj16384ELj137ELj64EllfEEvT5_PKS1_S3_NS_24const_host_device_scalarIT6_EEPKT4_S3_PKS5_S9_S3_SB_S6_S9_S3_SB_S9_S3_PS5_21rocsparse_index_base_SD_SD_SD_bbb.kd
    .uniform_work_group_size: 1
    .uses_dynamic_stack: false
    .vgpr_count:     40
    .vgpr_spill_count: 0
    .wavefront_size: 64
  - .agpr_count:     0
    .args:
      - .offset:         0
        .size:           8
        .value_kind:     by_value
      - .actual_access:  read_only
        .address_space:  global
        .offset:         8
        .size:           8
        .value_kind:     global_buffer
      - .actual_access:  read_only
        .address_space:  global
        .offset:         16
        .size:           8
        .value_kind:     global_buffer
      - .offset:         24
        .size:           8
        .value_kind:     by_value
      - .actual_access:  read_only
        .address_space:  global
        .offset:         32
        .size:           8
        .value_kind:     global_buffer
      - .actual_access:  read_only
        .address_space:  global
        .offset:         40
        .size:           8
        .value_kind:     global_buffer
      - .actual_access:  read_only
        .address_space:  global
        .offset:         48
        .size:           8
        .value_kind:     global_buffer
      - .actual_access:  read_only
        .address_space:  global
        .offset:         56
        .size:           8
        .value_kind:     global_buffer
      - .actual_access:  read_only
        .address_space:  global
        .offset:         64
        .size:           8
        .value_kind:     global_buffer
      - .actual_access:  read_only
        .address_space:  global
        .offset:         72
        .size:           8
        .value_kind:     global_buffer
      - .offset:         80
        .size:           8
        .value_kind:     by_value
      - .actual_access:  read_only
        .address_space:  global
        .offset:         88
        .size:           8
        .value_kind:     global_buffer
      - .actual_access:  read_only
        .address_space:  global
        .offset:         96
        .size:           8
        .value_kind:     global_buffer
      - .actual_access:  read_only
        .address_space:  global
        .offset:         104
        .size:           8
        .value_kind:     global_buffer
      - .actual_access:  read_only
        .address_space:  global
        .offset:         112
        .size:           8
        .value_kind:     global_buffer
      - .actual_access:  read_only
        .address_space:  global
        .offset:         120
        .size:           8
        .value_kind:     global_buffer
      - .actual_access:  write_only
        .address_space:  global
        .offset:         128
        .size:           8
        .value_kind:     global_buffer
      - .offset:         136
        .size:           4
        .value_kind:     by_value
      - .offset:         140
        .size:           4
        .value_kind:     by_value
      - .offset:         144
        .size:           4
        .value_kind:     by_value
      - .offset:         148
        .size:           4
        .value_kind:     by_value
      - .offset:         152
        .size:           1
        .value_kind:     by_value
      - .offset:         153
        .size:           1
        .value_kind:     by_value
      - .offset:         154
        .size:           1
        .value_kind:     by_value
    .group_segment_fixed_size: 0
    .kernarg_segment_align: 8
    .kernarg_segment_size: 156
    .language:       OpenCL C
    .language_version:
      - 2
      - 0
    .max_flat_workgroup_size: 1024
    .name:           _ZN9rocsparseL41csrgemm_numeric_fill_block_per_row_kernelILj1024ELj64ELj32768ELj137ELj32EllfEEvT5_PKS1_S3_NS_24const_host_device_scalarIT6_EEPKT4_S3_PKS5_S9_S3_SB_S6_S9_S3_SB_S9_S3_PS5_21rocsparse_index_base_SD_SD_SD_bbb
    .private_segment_fixed_size: 0
    .sgpr_count:     106
    .sgpr_spill_count: 21
    .symbol:         _ZN9rocsparseL41csrgemm_numeric_fill_block_per_row_kernelILj1024ELj64ELj32768ELj137ELj32EllfEEvT5_PKS1_S3_NS_24const_host_device_scalarIT6_EEPKT4_S3_PKS5_S9_S3_SB_S6_S9_S3_SB_S9_S3_PS5_21rocsparse_index_base_SD_SD_SD_bbb.kd
    .uniform_work_group_size: 1
    .uses_dynamic_stack: false
    .vgpr_count:     41
    .vgpr_spill_count: 0
    .wavefront_size: 64
  - .agpr_count:     0
    .args:
      - .offset:         0
        .size:           8
        .value_kind:     by_value
      - .actual_access:  read_only
        .address_space:  global
        .offset:         8
        .size:           8
        .value_kind:     global_buffer
      - .actual_access:  read_only
        .address_space:  global
        .offset:         16
        .size:           8
        .value_kind:     global_buffer
      - .offset:         24
        .size:           8
        .value_kind:     by_value
      - .actual_access:  read_only
        .address_space:  global
        .offset:         32
        .size:           8
        .value_kind:     global_buffer
      - .actual_access:  read_only
        .address_space:  global
        .offset:         40
        .size:           8
        .value_kind:     global_buffer
      - .actual_access:  read_only
        .address_space:  global
        .offset:         48
        .size:           8
        .value_kind:     global_buffer
      - .actual_access:  read_only
        .address_space:  global
        .offset:         56
        .size:           8
        .value_kind:     global_buffer
      - .actual_access:  read_only
        .address_space:  global
        .offset:         64
        .size:           8
        .value_kind:     global_buffer
      - .actual_access:  read_only
        .address_space:  global
        .offset:         72
        .size:           8
        .value_kind:     global_buffer
      - .offset:         80
        .size:           8
        .value_kind:     by_value
      - .actual_access:  read_only
        .address_space:  global
        .offset:         88
        .size:           8
        .value_kind:     global_buffer
      - .actual_access:  read_only
        .address_space:  global
        .offset:         96
        .size:           8
        .value_kind:     global_buffer
      - .actual_access:  read_only
        .address_space:  global
        .offset:         104
        .size:           8
        .value_kind:     global_buffer
      - .actual_access:  read_only
        .address_space:  global
        .offset:         112
        .size:           8
        .value_kind:     global_buffer
      - .actual_access:  read_only
        .address_space:  global
        .offset:         120
        .size:           8
        .value_kind:     global_buffer
      - .actual_access:  write_only
        .address_space:  global
        .offset:         128
        .size:           8
        .value_kind:     global_buffer
      - .offset:         136
        .size:           4
        .value_kind:     by_value
      - .offset:         140
        .size:           4
        .value_kind:     by_value
      - .offset:         144
        .size:           4
        .value_kind:     by_value
      - .offset:         148
        .size:           4
        .value_kind:     by_value
      - .offset:         152
        .size:           1
        .value_kind:     by_value
      - .offset:         153
        .size:           1
        .value_kind:     by_value
      - .offset:         154
        .size:           1
        .value_kind:     by_value
    .group_segment_fixed_size: 0
    .kernarg_segment_align: 8
    .kernarg_segment_size: 156
    .language:       OpenCL C
    .language_version:
      - 2
      - 0
    .max_flat_workgroup_size: 1024
    .name:           _ZN9rocsparseL41csrgemm_numeric_fill_block_per_row_kernelILj1024ELj64ELj32768ELj137ELj64EllfEEvT5_PKS1_S3_NS_24const_host_device_scalarIT6_EEPKT4_S3_PKS5_S9_S3_SB_S6_S9_S3_SB_S9_S3_PS5_21rocsparse_index_base_SD_SD_SD_bbb
    .private_segment_fixed_size: 0
    .sgpr_count:     69
    .sgpr_spill_count: 0
    .symbol:         _ZN9rocsparseL41csrgemm_numeric_fill_block_per_row_kernelILj1024ELj64ELj32768ELj137ELj64EllfEEvT5_PKS1_S3_NS_24const_host_device_scalarIT6_EEPKT4_S3_PKS5_S9_S3_SB_S6_S9_S3_SB_S9_S3_PS5_21rocsparse_index_base_SD_SD_SD_bbb.kd
    .uniform_work_group_size: 1
    .uses_dynamic_stack: false
    .vgpr_count:     40
    .vgpr_spill_count: 0
    .wavefront_size: 64
  - .agpr_count:     0
    .args:
      - .offset:         0
        .size:           8
        .value_kind:     by_value
      - .actual_access:  read_only
        .address_space:  global
        .offset:         8
        .size:           8
        .value_kind:     global_buffer
      - .actual_access:  read_only
        .address_space:  global
        .offset:         16
        .size:           8
        .value_kind:     global_buffer
      - .offset:         24
        .size:           8
        .value_kind:     by_value
      - .actual_access:  read_only
        .address_space:  global
        .offset:         32
        .size:           8
        .value_kind:     global_buffer
      - .actual_access:  read_only
        .address_space:  global
        .offset:         40
        .size:           8
        .value_kind:     global_buffer
      - .actual_access:  read_only
        .address_space:  global
        .offset:         48
        .size:           8
        .value_kind:     global_buffer
      - .actual_access:  read_only
        .address_space:  global
        .offset:         56
        .size:           8
        .value_kind:     global_buffer
      - .actual_access:  read_only
        .address_space:  global
        .offset:         64
        .size:           8
        .value_kind:     global_buffer
      - .actual_access:  read_only
        .address_space:  global
        .offset:         72
        .size:           8
        .value_kind:     global_buffer
      - .offset:         80
        .size:           8
        .value_kind:     by_value
      - .actual_access:  read_only
        .address_space:  global
        .offset:         88
        .size:           8
        .value_kind:     global_buffer
      - .actual_access:  read_only
        .address_space:  global
        .offset:         96
        .size:           8
        .value_kind:     global_buffer
      - .actual_access:  read_only
        .address_space:  global
        .offset:         104
        .size:           8
        .value_kind:     global_buffer
      - .actual_access:  read_only
        .address_space:  global
        .offset:         112
        .size:           8
        .value_kind:     global_buffer
      - .actual_access:  read_only
        .address_space:  global
        .offset:         120
        .size:           8
        .value_kind:     global_buffer
      - .actual_access:  write_only
        .address_space:  global
        .offset:         128
        .size:           8
        .value_kind:     global_buffer
      - .address_space:  global
        .offset:         136
        .size:           8
        .value_kind:     global_buffer
      - .offset:         144
        .size:           4
        .value_kind:     by_value
      - .offset:         148
        .size:           4
        .value_kind:     by_value
      - .offset:         152
        .size:           4
        .value_kind:     by_value
      - .offset:         156
        .size:           4
        .value_kind:     by_value
      - .offset:         160
        .size:           1
        .value_kind:     by_value
      - .offset:         161
        .size:           1
        .value_kind:     by_value
      - .offset:         162
        .size:           1
        .value_kind:     by_value
    .group_segment_fixed_size: 10248
    .kernarg_segment_align: 8
    .kernarg_segment_size: 164
    .language:       OpenCL C
    .language_version:
      - 2
      - 0
    .max_flat_workgroup_size: 512
    .name:           _ZN9rocsparseL51csrgemm_numeric_fill_block_per_row_multipass_kernelILj512ELj16ELj2048ELj32EllfEEvT4_PKS1_S3_NS_24const_host_device_scalarIT5_EEPKT3_S3_PKS5_S9_S3_SB_S6_S9_S3_SB_S9_S3_PS5_PS7_21rocsparse_index_base_SE_SE_SE_bbb
    .private_segment_fixed_size: 0
    .sgpr_count:     103
    .sgpr_spill_count: 0
    .symbol:         _ZN9rocsparseL51csrgemm_numeric_fill_block_per_row_multipass_kernelILj512ELj16ELj2048ELj32EllfEEvT4_PKS1_S3_NS_24const_host_device_scalarIT5_EEPKT3_S3_PKS5_S9_S3_SB_S6_S9_S3_SB_S9_S3_PS5_PS7_21rocsparse_index_base_SE_SE_SE_bbb.kd
    .uniform_work_group_size: 1
    .uses_dynamic_stack: false
    .vgpr_count:     44
    .vgpr_spill_count: 0
    .wavefront_size: 64
  - .agpr_count:     0
    .args:
      - .offset:         0
        .size:           8
        .value_kind:     by_value
      - .actual_access:  read_only
        .address_space:  global
        .offset:         8
        .size:           8
        .value_kind:     global_buffer
      - .actual_access:  read_only
        .address_space:  global
        .offset:         16
        .size:           8
        .value_kind:     global_buffer
      - .offset:         24
        .size:           8
        .value_kind:     by_value
      - .actual_access:  read_only
        .address_space:  global
        .offset:         32
        .size:           8
        .value_kind:     global_buffer
      - .actual_access:  read_only
        .address_space:  global
        .offset:         40
        .size:           8
        .value_kind:     global_buffer
      - .actual_access:  read_only
        .address_space:  global
        .offset:         48
        .size:           8
        .value_kind:     global_buffer
      - .actual_access:  read_only
        .address_space:  global
        .offset:         56
        .size:           8
        .value_kind:     global_buffer
      - .actual_access:  read_only
        .address_space:  global
        .offset:         64
        .size:           8
        .value_kind:     global_buffer
      - .actual_access:  read_only
        .address_space:  global
        .offset:         72
        .size:           8
        .value_kind:     global_buffer
      - .offset:         80
        .size:           8
        .value_kind:     by_value
      - .actual_access:  read_only
        .address_space:  global
        .offset:         88
        .size:           8
        .value_kind:     global_buffer
      - .actual_access:  read_only
        .address_space:  global
        .offset:         96
        .size:           8
        .value_kind:     global_buffer
      - .actual_access:  read_only
        .address_space:  global
        .offset:         104
        .size:           8
        .value_kind:     global_buffer
      - .actual_access:  read_only
        .address_space:  global
        .offset:         112
        .size:           8
        .value_kind:     global_buffer
      - .actual_access:  read_only
        .address_space:  global
        .offset:         120
        .size:           8
        .value_kind:     global_buffer
      - .actual_access:  write_only
        .address_space:  global
        .offset:         128
        .size:           8
        .value_kind:     global_buffer
      - .address_space:  global
        .offset:         136
        .size:           8
        .value_kind:     global_buffer
      - .offset:         144
        .size:           4
        .value_kind:     by_value
      - .offset:         148
        .size:           4
        .value_kind:     by_value
      - .offset:         152
        .size:           4
        .value_kind:     by_value
      - .offset:         156
        .size:           4
        .value_kind:     by_value
      - .offset:         160
        .size:           1
        .value_kind:     by_value
      - .offset:         161
        .size:           1
        .value_kind:     by_value
      - .offset:         162
        .size:           1
        .value_kind:     by_value
    .group_segment_fixed_size: 10248
    .kernarg_segment_align: 8
    .kernarg_segment_size: 164
    .language:       OpenCL C
    .language_version:
      - 2
      - 0
    .max_flat_workgroup_size: 512
    .name:           _ZN9rocsparseL51csrgemm_numeric_fill_block_per_row_multipass_kernelILj512ELj16ELj2048ELj64EllfEEvT4_PKS1_S3_NS_24const_host_device_scalarIT5_EEPKT3_S3_PKS5_S9_S3_SB_S6_S9_S3_SB_S9_S3_PS5_PS7_21rocsparse_index_base_SE_SE_SE_bbb
    .private_segment_fixed_size: 0
    .sgpr_count:     87
    .sgpr_spill_count: 0
    .symbol:         _ZN9rocsparseL51csrgemm_numeric_fill_block_per_row_multipass_kernelILj512ELj16ELj2048ELj64EllfEEvT4_PKS1_S3_NS_24const_host_device_scalarIT5_EEPKT3_S3_PKS5_S9_S3_SB_S6_S9_S3_SB_S9_S3_PS5_PS7_21rocsparse_index_base_SE_SE_SE_bbb.kd
    .uniform_work_group_size: 1
    .uses_dynamic_stack: false
    .vgpr_count:     44
    .vgpr_spill_count: 0
    .wavefront_size: 64
  - .agpr_count:     0
    .args:
      - .offset:         0
        .size:           8
        .value_kind:     by_value
      - .offset:         8
        .size:           8
        .value_kind:     by_value
      - .actual_access:  read_only
        .address_space:  global
        .offset:         16
        .size:           8
        .value_kind:     global_buffer
      - .actual_access:  read_only
        .address_space:  global
        .offset:         24
        .size:           8
        .value_kind:     global_buffer
      - .offset:         32
        .size:           8
        .value_kind:     by_value
      - .actual_access:  read_only
        .address_space:  global
        .offset:         40
        .size:           8
        .value_kind:     global_buffer
      - .actual_access:  read_only
        .address_space:  global
        .offset:         48
        .size:           8
        .value_kind:     global_buffer
      - .actual_access:  read_only
        .address_space:  global
        .offset:         56
        .size:           8
        .value_kind:     global_buffer
      - .actual_access:  read_only
        .address_space:  global
        .offset:         64
        .size:           8
        .value_kind:     global_buffer
      - .actual_access:  read_only
        .address_space:  global
        .offset:         72
        .size:           8
        .value_kind:     global_buffer
      - .actual_access:  read_only
        .address_space:  global
        .offset:         80
        .size:           8
        .value_kind:     global_buffer
      - .offset:         88
        .size:           8
        .value_kind:     by_value
      - .actual_access:  read_only
        .address_space:  global
        .offset:         96
        .size:           8
        .value_kind:     global_buffer
      - .actual_access:  read_only
        .address_space:  global
        .offset:         104
        .size:           8
        .value_kind:     global_buffer
      - .actual_access:  read_only
        .address_space:  global
        .offset:         112
        .size:           8
        .value_kind:     global_buffer
      - .actual_access:  read_only
        .address_space:  global
        .offset:         120
        .size:           8
        .value_kind:     global_buffer
      - .actual_access:  read_only
        .address_space:  global
        .offset:         128
        .size:           8
        .value_kind:     global_buffer
      - .actual_access:  write_only
        .address_space:  global
        .offset:         136
        .size:           8
        .value_kind:     global_buffer
      - .offset:         144
        .size:           4
        .value_kind:     by_value
      - .offset:         148
        .size:           4
        .value_kind:     by_value
      - .offset:         152
        .size:           4
        .value_kind:     by_value
      - .offset:         156
        .size:           4
        .value_kind:     by_value
      - .offset:         160
        .size:           1
        .value_kind:     by_value
      - .offset:         161
        .size:           1
        .value_kind:     by_value
      - .offset:         162
        .size:           1
        .value_kind:     by_value
    .group_segment_fixed_size: 8192
    .kernarg_segment_align: 8
    .kernarg_segment_size: 164
    .language:       OpenCL C
    .language_version:
      - 2
      - 0
    .max_flat_workgroup_size: 256
    .name:           _ZN9rocsparseL38csrgemm_numeric_fill_wf_per_row_kernelILj256ELj8ELj16ELj137ElldEEvT4_S1_PKS1_S3_NS_24const_host_device_scalarIT5_EEPKT3_S3_PKS5_S9_S3_SB_S6_S9_S3_SB_S9_S3_PS5_21rocsparse_index_base_SD_SD_SD_bbb
    .private_segment_fixed_size: 0
    .sgpr_count:     58
    .sgpr_spill_count: 0
    .symbol:         _ZN9rocsparseL38csrgemm_numeric_fill_wf_per_row_kernelILj256ELj8ELj16ELj137ElldEEvT4_S1_PKS1_S3_NS_24const_host_device_scalarIT5_EEPKT3_S3_PKS5_S9_S3_SB_S6_S9_S3_SB_S9_S3_PS5_21rocsparse_index_base_SD_SD_SD_bbb.kd
    .uniform_work_group_size: 1
    .uses_dynamic_stack: false
    .vgpr_count:     44
    .vgpr_spill_count: 0
    .wavefront_size: 64
  - .agpr_count:     0
    .args:
      - .offset:         0
        .size:           8
        .value_kind:     by_value
      - .offset:         8
        .size:           8
        .value_kind:     by_value
      - .actual_access:  read_only
        .address_space:  global
        .offset:         16
        .size:           8
        .value_kind:     global_buffer
      - .actual_access:  read_only
        .address_space:  global
        .offset:         24
        .size:           8
        .value_kind:     global_buffer
      - .offset:         32
        .size:           8
        .value_kind:     by_value
      - .actual_access:  read_only
        .address_space:  global
        .offset:         40
        .size:           8
        .value_kind:     global_buffer
      - .actual_access:  read_only
        .address_space:  global
        .offset:         48
        .size:           8
        .value_kind:     global_buffer
      - .actual_access:  read_only
        .address_space:  global
        .offset:         56
        .size:           8
        .value_kind:     global_buffer
      - .actual_access:  read_only
        .address_space:  global
        .offset:         64
        .size:           8
        .value_kind:     global_buffer
      - .actual_access:  read_only
        .address_space:  global
        .offset:         72
        .size:           8
        .value_kind:     global_buffer
      - .actual_access:  read_only
        .address_space:  global
        .offset:         80
        .size:           8
        .value_kind:     global_buffer
      - .offset:         88
        .size:           8
        .value_kind:     by_value
      - .actual_access:  read_only
        .address_space:  global
        .offset:         96
        .size:           8
        .value_kind:     global_buffer
      - .actual_access:  read_only
        .address_space:  global
        .offset:         104
        .size:           8
        .value_kind:     global_buffer
      - .actual_access:  read_only
        .address_space:  global
        .offset:         112
        .size:           8
        .value_kind:     global_buffer
      - .actual_access:  read_only
        .address_space:  global
        .offset:         120
        .size:           8
        .value_kind:     global_buffer
      - .actual_access:  read_only
        .address_space:  global
        .offset:         128
        .size:           8
        .value_kind:     global_buffer
      - .actual_access:  write_only
        .address_space:  global
        .offset:         136
        .size:           8
        .value_kind:     global_buffer
      - .offset:         144
        .size:           4
        .value_kind:     by_value
      - .offset:         148
        .size:           4
        .value_kind:     by_value
      - .offset:         152
        .size:           4
        .value_kind:     by_value
      - .offset:         156
        .size:           4
        .value_kind:     by_value
      - .offset:         160
        .size:           1
        .value_kind:     by_value
      - .offset:         161
        .size:           1
        .value_kind:     by_value
      - .offset:         162
        .size:           1
        .value_kind:     by_value
    .group_segment_fixed_size: 8192
    .kernarg_segment_align: 8
    .kernarg_segment_size: 164
    .language:       OpenCL C
    .language_version:
      - 2
      - 0
    .max_flat_workgroup_size: 256
    .name:           _ZN9rocsparseL38csrgemm_numeric_fill_wf_per_row_kernelILj256ELj16ELj32ELj137ElldEEvT4_S1_PKS1_S3_NS_24const_host_device_scalarIT5_EEPKT3_S3_PKS5_S9_S3_SB_S6_S9_S3_SB_S9_S3_PS5_21rocsparse_index_base_SD_SD_SD_bbb
    .private_segment_fixed_size: 0
    .sgpr_count:     58
    .sgpr_spill_count: 0
    .symbol:         _ZN9rocsparseL38csrgemm_numeric_fill_wf_per_row_kernelILj256ELj16ELj32ELj137ElldEEvT4_S1_PKS1_S3_NS_24const_host_device_scalarIT5_EEPKT3_S3_PKS5_S9_S3_SB_S6_S9_S3_SB_S9_S3_PS5_21rocsparse_index_base_SD_SD_SD_bbb.kd
    .uniform_work_group_size: 1
    .uses_dynamic_stack: false
    .vgpr_count:     62
    .vgpr_spill_count: 0
    .wavefront_size: 64
  - .agpr_count:     0
    .args:
      - .offset:         0
        .size:           8
        .value_kind:     by_value
      - .actual_access:  read_only
        .address_space:  global
        .offset:         8
        .size:           8
        .value_kind:     global_buffer
      - .actual_access:  read_only
        .address_space:  global
        .offset:         16
        .size:           8
        .value_kind:     global_buffer
      - .offset:         24
        .size:           8
        .value_kind:     by_value
      - .actual_access:  read_only
        .address_space:  global
        .offset:         32
        .size:           8
        .value_kind:     global_buffer
      - .actual_access:  read_only
        .address_space:  global
        .offset:         40
        .size:           8
        .value_kind:     global_buffer
      - .actual_access:  read_only
        .address_space:  global
        .offset:         48
        .size:           8
        .value_kind:     global_buffer
      - .actual_access:  read_only
        .address_space:  global
        .offset:         56
        .size:           8
        .value_kind:     global_buffer
      - .actual_access:  read_only
        .address_space:  global
        .offset:         64
        .size:           8
        .value_kind:     global_buffer
      - .actual_access:  read_only
        .address_space:  global
        .offset:         72
        .size:           8
        .value_kind:     global_buffer
      - .offset:         80
        .size:           8
        .value_kind:     by_value
      - .actual_access:  read_only
        .address_space:  global
        .offset:         88
        .size:           8
        .value_kind:     global_buffer
      - .actual_access:  read_only
        .address_space:  global
        .offset:         96
        .size:           8
        .value_kind:     global_buffer
      - .actual_access:  read_only
        .address_space:  global
        .offset:         104
        .size:           8
        .value_kind:     global_buffer
      - .actual_access:  read_only
        .address_space:  global
        .offset:         112
        .size:           8
        .value_kind:     global_buffer
      - .actual_access:  read_only
        .address_space:  global
        .offset:         120
        .size:           8
        .value_kind:     global_buffer
      - .actual_access:  write_only
        .address_space:  global
        .offset:         128
        .size:           8
        .value_kind:     global_buffer
      - .offset:         136
        .size:           4
        .value_kind:     by_value
      - .offset:         140
        .size:           4
        .value_kind:     by_value
      - .offset:         144
        .size:           4
        .value_kind:     by_value
      - .offset:         148
        .size:           4
        .value_kind:     by_value
      - .offset:         152
        .size:           1
        .value_kind:     by_value
      - .offset:         153
        .size:           1
        .value_kind:     by_value
      - .offset:         154
        .size:           1
        .value_kind:     by_value
    .group_segment_fixed_size: 0
    .kernarg_segment_align: 8
    .kernarg_segment_size: 156
    .language:       OpenCL C
    .language_version:
      - 2
      - 0
    .max_flat_workgroup_size: 128
    .name:           _ZN9rocsparseL41csrgemm_numeric_fill_block_per_row_kernelILj128ELj16ELj256ELj137ELj32ElldEEvT5_PKS1_S3_NS_24const_host_device_scalarIT6_EEPKT4_S3_PKS5_S9_S3_SB_S6_S9_S3_SB_S9_S3_PS5_21rocsparse_index_base_SD_SD_SD_bbb
    .private_segment_fixed_size: 0
    .sgpr_count:     64
    .sgpr_spill_count: 0
    .symbol:         _ZN9rocsparseL41csrgemm_numeric_fill_block_per_row_kernelILj128ELj16ELj256ELj137ELj32ElldEEvT5_PKS1_S3_NS_24const_host_device_scalarIT6_EEPKT4_S3_PKS5_S9_S3_SB_S6_S9_S3_SB_S9_S3_PS5_21rocsparse_index_base_SD_SD_SD_bbb.kd
    .uniform_work_group_size: 1
    .uses_dynamic_stack: false
    .vgpr_count:     40
    .vgpr_spill_count: 0
    .wavefront_size: 64
  - .agpr_count:     0
    .args:
      - .offset:         0
        .size:           8
        .value_kind:     by_value
      - .actual_access:  read_only
        .address_space:  global
        .offset:         8
        .size:           8
        .value_kind:     global_buffer
      - .actual_access:  read_only
        .address_space:  global
        .offset:         16
        .size:           8
        .value_kind:     global_buffer
      - .offset:         24
        .size:           8
        .value_kind:     by_value
      - .actual_access:  read_only
        .address_space:  global
        .offset:         32
        .size:           8
        .value_kind:     global_buffer
      - .actual_access:  read_only
        .address_space:  global
        .offset:         40
        .size:           8
        .value_kind:     global_buffer
      - .actual_access:  read_only
        .address_space:  global
        .offset:         48
        .size:           8
        .value_kind:     global_buffer
      - .actual_access:  read_only
        .address_space:  global
        .offset:         56
        .size:           8
        .value_kind:     global_buffer
      - .actual_access:  read_only
        .address_space:  global
        .offset:         64
        .size:           8
        .value_kind:     global_buffer
      - .actual_access:  read_only
        .address_space:  global
        .offset:         72
        .size:           8
        .value_kind:     global_buffer
      - .offset:         80
        .size:           8
        .value_kind:     by_value
      - .actual_access:  read_only
        .address_space:  global
        .offset:         88
        .size:           8
        .value_kind:     global_buffer
      - .actual_access:  read_only
        .address_space:  global
        .offset:         96
        .size:           8
        .value_kind:     global_buffer
      - .actual_access:  read_only
        .address_space:  global
        .offset:         104
        .size:           8
        .value_kind:     global_buffer
      - .actual_access:  read_only
        .address_space:  global
        .offset:         112
        .size:           8
        .value_kind:     global_buffer
      - .actual_access:  read_only
        .address_space:  global
        .offset:         120
        .size:           8
        .value_kind:     global_buffer
      - .actual_access:  write_only
        .address_space:  global
        .offset:         128
        .size:           8
        .value_kind:     global_buffer
      - .offset:         136
        .size:           4
        .value_kind:     by_value
      - .offset:         140
        .size:           4
        .value_kind:     by_value
      - .offset:         144
        .size:           4
        .value_kind:     by_value
      - .offset:         148
        .size:           4
        .value_kind:     by_value
      - .offset:         152
        .size:           1
        .value_kind:     by_value
      - .offset:         153
        .size:           1
        .value_kind:     by_value
      - .offset:         154
        .size:           1
        .value_kind:     by_value
    .group_segment_fixed_size: 0
    .kernarg_segment_align: 8
    .kernarg_segment_size: 156
    .language:       OpenCL C
    .language_version:
      - 2
      - 0
    .max_flat_workgroup_size: 128
    .name:           _ZN9rocsparseL41csrgemm_numeric_fill_block_per_row_kernelILj128ELj16ELj256ELj137ELj64ElldEEvT5_PKS1_S3_NS_24const_host_device_scalarIT6_EEPKT4_S3_PKS5_S9_S3_SB_S6_S9_S3_SB_S9_S3_PS5_21rocsparse_index_base_SD_SD_SD_bbb
    .private_segment_fixed_size: 0
    .sgpr_count:     64
    .sgpr_spill_count: 0
    .symbol:         _ZN9rocsparseL41csrgemm_numeric_fill_block_per_row_kernelILj128ELj16ELj256ELj137ELj64ElldEEvT5_PKS1_S3_NS_24const_host_device_scalarIT6_EEPKT4_S3_PKS5_S9_S3_SB_S6_S9_S3_SB_S9_S3_PS5_21rocsparse_index_base_SD_SD_SD_bbb.kd
    .uniform_work_group_size: 1
    .uses_dynamic_stack: false
    .vgpr_count:     40
    .vgpr_spill_count: 0
    .wavefront_size: 64
  - .agpr_count:     0
    .args:
      - .offset:         0
        .size:           8
        .value_kind:     by_value
      - .actual_access:  read_only
        .address_space:  global
        .offset:         8
        .size:           8
        .value_kind:     global_buffer
      - .actual_access:  read_only
        .address_space:  global
        .offset:         16
        .size:           8
        .value_kind:     global_buffer
      - .offset:         24
        .size:           8
        .value_kind:     by_value
      - .actual_access:  read_only
        .address_space:  global
        .offset:         32
        .size:           8
        .value_kind:     global_buffer
      - .actual_access:  read_only
        .address_space:  global
        .offset:         40
        .size:           8
        .value_kind:     global_buffer
      - .actual_access:  read_only
        .address_space:  global
        .offset:         48
        .size:           8
        .value_kind:     global_buffer
      - .actual_access:  read_only
        .address_space:  global
        .offset:         56
        .size:           8
        .value_kind:     global_buffer
      - .actual_access:  read_only
        .address_space:  global
        .offset:         64
        .size:           8
        .value_kind:     global_buffer
      - .actual_access:  read_only
        .address_space:  global
        .offset:         72
        .size:           8
        .value_kind:     global_buffer
      - .offset:         80
        .size:           8
        .value_kind:     by_value
      - .actual_access:  read_only
        .address_space:  global
        .offset:         88
        .size:           8
        .value_kind:     global_buffer
      - .actual_access:  read_only
        .address_space:  global
        .offset:         96
        .size:           8
        .value_kind:     global_buffer
      - .actual_access:  read_only
        .address_space:  global
        .offset:         104
        .size:           8
        .value_kind:     global_buffer
      - .actual_access:  read_only
        .address_space:  global
        .offset:         112
        .size:           8
        .value_kind:     global_buffer
      - .actual_access:  read_only
        .address_space:  global
        .offset:         120
        .size:           8
        .value_kind:     global_buffer
      - .actual_access:  write_only
        .address_space:  global
        .offset:         128
        .size:           8
        .value_kind:     global_buffer
      - .offset:         136
        .size:           4
        .value_kind:     by_value
      - .offset:         140
        .size:           4
        .value_kind:     by_value
      - .offset:         144
        .size:           4
        .value_kind:     by_value
      - .offset:         148
        .size:           4
        .value_kind:     by_value
      - .offset:         152
        .size:           1
        .value_kind:     by_value
      - .offset:         153
        .size:           1
        .value_kind:     by_value
      - .offset:         154
        .size:           1
        .value_kind:     by_value
    .group_segment_fixed_size: 0
    .kernarg_segment_align: 8
    .kernarg_segment_size: 156
    .language:       OpenCL C
    .language_version:
      - 2
      - 0
    .max_flat_workgroup_size: 256
    .name:           _ZN9rocsparseL41csrgemm_numeric_fill_block_per_row_kernelILj256ELj32ELj512ELj137ELj32ElldEEvT5_PKS1_S3_NS_24const_host_device_scalarIT6_EEPKT4_S3_PKS5_S9_S3_SB_S6_S9_S3_SB_S9_S3_PS5_21rocsparse_index_base_SD_SD_SD_bbb
    .private_segment_fixed_size: 0
    .sgpr_count:     64
    .sgpr_spill_count: 0
    .symbol:         _ZN9rocsparseL41csrgemm_numeric_fill_block_per_row_kernelILj256ELj32ELj512ELj137ELj32ElldEEvT5_PKS1_S3_NS_24const_host_device_scalarIT6_EEPKT4_S3_PKS5_S9_S3_SB_S6_S9_S3_SB_S9_S3_PS5_21rocsparse_index_base_SD_SD_SD_bbb.kd
    .uniform_work_group_size: 1
    .uses_dynamic_stack: false
    .vgpr_count:     40
    .vgpr_spill_count: 0
    .wavefront_size: 64
  - .agpr_count:     0
    .args:
      - .offset:         0
        .size:           8
        .value_kind:     by_value
      - .actual_access:  read_only
        .address_space:  global
        .offset:         8
        .size:           8
        .value_kind:     global_buffer
      - .actual_access:  read_only
        .address_space:  global
        .offset:         16
        .size:           8
        .value_kind:     global_buffer
      - .offset:         24
        .size:           8
        .value_kind:     by_value
      - .actual_access:  read_only
        .address_space:  global
        .offset:         32
        .size:           8
        .value_kind:     global_buffer
      - .actual_access:  read_only
        .address_space:  global
        .offset:         40
        .size:           8
        .value_kind:     global_buffer
      - .actual_access:  read_only
        .address_space:  global
        .offset:         48
        .size:           8
        .value_kind:     global_buffer
      - .actual_access:  read_only
        .address_space:  global
        .offset:         56
        .size:           8
        .value_kind:     global_buffer
      - .actual_access:  read_only
        .address_space:  global
        .offset:         64
        .size:           8
        .value_kind:     global_buffer
      - .actual_access:  read_only
        .address_space:  global
        .offset:         72
        .size:           8
        .value_kind:     global_buffer
      - .offset:         80
        .size:           8
        .value_kind:     by_value
      - .actual_access:  read_only
        .address_space:  global
        .offset:         88
        .size:           8
        .value_kind:     global_buffer
      - .actual_access:  read_only
        .address_space:  global
        .offset:         96
        .size:           8
        .value_kind:     global_buffer
      - .actual_access:  read_only
        .address_space:  global
        .offset:         104
        .size:           8
        .value_kind:     global_buffer
      - .actual_access:  read_only
        .address_space:  global
        .offset:         112
        .size:           8
        .value_kind:     global_buffer
      - .actual_access:  read_only
        .address_space:  global
        .offset:         120
        .size:           8
        .value_kind:     global_buffer
      - .actual_access:  write_only
        .address_space:  global
        .offset:         128
        .size:           8
        .value_kind:     global_buffer
      - .offset:         136
        .size:           4
        .value_kind:     by_value
      - .offset:         140
        .size:           4
        .value_kind:     by_value
      - .offset:         144
        .size:           4
        .value_kind:     by_value
      - .offset:         148
        .size:           4
        .value_kind:     by_value
      - .offset:         152
        .size:           1
        .value_kind:     by_value
      - .offset:         153
        .size:           1
        .value_kind:     by_value
      - .offset:         154
        .size:           1
        .value_kind:     by_value
    .group_segment_fixed_size: 0
    .kernarg_segment_align: 8
    .kernarg_segment_size: 156
    .language:       OpenCL C
    .language_version:
      - 2
      - 0
    .max_flat_workgroup_size: 256
    .name:           _ZN9rocsparseL41csrgemm_numeric_fill_block_per_row_kernelILj256ELj32ELj512ELj137ELj64ElldEEvT5_PKS1_S3_NS_24const_host_device_scalarIT6_EEPKT4_S3_PKS5_S9_S3_SB_S6_S9_S3_SB_S9_S3_PS5_21rocsparse_index_base_SD_SD_SD_bbb
    .private_segment_fixed_size: 0
    .sgpr_count:     64
    .sgpr_spill_count: 0
    .symbol:         _ZN9rocsparseL41csrgemm_numeric_fill_block_per_row_kernelILj256ELj32ELj512ELj137ELj64ElldEEvT5_PKS1_S3_NS_24const_host_device_scalarIT6_EEPKT4_S3_PKS5_S9_S3_SB_S6_S9_S3_SB_S9_S3_PS5_21rocsparse_index_base_SD_SD_SD_bbb.kd
    .uniform_work_group_size: 1
    .uses_dynamic_stack: false
    .vgpr_count:     40
    .vgpr_spill_count: 0
    .wavefront_size: 64
  - .agpr_count:     0
    .args:
      - .offset:         0
        .size:           8
        .value_kind:     by_value
      - .actual_access:  read_only
        .address_space:  global
        .offset:         8
        .size:           8
        .value_kind:     global_buffer
      - .actual_access:  read_only
        .address_space:  global
        .offset:         16
        .size:           8
        .value_kind:     global_buffer
      - .offset:         24
        .size:           8
        .value_kind:     by_value
      - .actual_access:  read_only
        .address_space:  global
        .offset:         32
        .size:           8
        .value_kind:     global_buffer
      - .actual_access:  read_only
        .address_space:  global
        .offset:         40
        .size:           8
        .value_kind:     global_buffer
      - .actual_access:  read_only
        .address_space:  global
        .offset:         48
        .size:           8
        .value_kind:     global_buffer
      - .actual_access:  read_only
        .address_space:  global
        .offset:         56
        .size:           8
        .value_kind:     global_buffer
      - .actual_access:  read_only
        .address_space:  global
        .offset:         64
        .size:           8
        .value_kind:     global_buffer
      - .actual_access:  read_only
        .address_space:  global
        .offset:         72
        .size:           8
        .value_kind:     global_buffer
      - .offset:         80
        .size:           8
        .value_kind:     by_value
      - .actual_access:  read_only
        .address_space:  global
        .offset:         88
        .size:           8
        .value_kind:     global_buffer
      - .actual_access:  read_only
        .address_space:  global
        .offset:         96
        .size:           8
        .value_kind:     global_buffer
      - .actual_access:  read_only
        .address_space:  global
        .offset:         104
        .size:           8
        .value_kind:     global_buffer
      - .actual_access:  read_only
        .address_space:  global
        .offset:         112
        .size:           8
        .value_kind:     global_buffer
      - .actual_access:  read_only
        .address_space:  global
        .offset:         120
        .size:           8
        .value_kind:     global_buffer
      - .actual_access:  write_only
        .address_space:  global
        .offset:         128
        .size:           8
        .value_kind:     global_buffer
      - .offset:         136
        .size:           4
        .value_kind:     by_value
      - .offset:         140
        .size:           4
        .value_kind:     by_value
      - .offset:         144
        .size:           4
        .value_kind:     by_value
      - .offset:         148
        .size:           4
        .value_kind:     by_value
      - .offset:         152
        .size:           1
        .value_kind:     by_value
      - .offset:         153
        .size:           1
        .value_kind:     by_value
      - .offset:         154
        .size:           1
        .value_kind:     by_value
    .group_segment_fixed_size: 0
    .kernarg_segment_align: 8
    .kernarg_segment_size: 156
    .language:       OpenCL C
    .language_version:
      - 2
      - 0
    .max_flat_workgroup_size: 512
    .name:           _ZN9rocsparseL41csrgemm_numeric_fill_block_per_row_kernelILj512ELj32ELj1024ELj137ELj32ElldEEvT5_PKS1_S3_NS_24const_host_device_scalarIT6_EEPKT4_S3_PKS5_S9_S3_SB_S6_S9_S3_SB_S9_S3_PS5_21rocsparse_index_base_SD_SD_SD_bbb
    .private_segment_fixed_size: 0
    .sgpr_count:     62
    .sgpr_spill_count: 0
    .symbol:         _ZN9rocsparseL41csrgemm_numeric_fill_block_per_row_kernelILj512ELj32ELj1024ELj137ELj32ElldEEvT5_PKS1_S3_NS_24const_host_device_scalarIT6_EEPKT4_S3_PKS5_S9_S3_SB_S6_S9_S3_SB_S9_S3_PS5_21rocsparse_index_base_SD_SD_SD_bbb.kd
    .uniform_work_group_size: 1
    .uses_dynamic_stack: false
    .vgpr_count:     40
    .vgpr_spill_count: 0
    .wavefront_size: 64
  - .agpr_count:     0
    .args:
      - .offset:         0
        .size:           8
        .value_kind:     by_value
      - .actual_access:  read_only
        .address_space:  global
        .offset:         8
        .size:           8
        .value_kind:     global_buffer
      - .actual_access:  read_only
        .address_space:  global
        .offset:         16
        .size:           8
        .value_kind:     global_buffer
      - .offset:         24
        .size:           8
        .value_kind:     by_value
      - .actual_access:  read_only
        .address_space:  global
        .offset:         32
        .size:           8
        .value_kind:     global_buffer
      - .actual_access:  read_only
        .address_space:  global
        .offset:         40
        .size:           8
        .value_kind:     global_buffer
      - .actual_access:  read_only
        .address_space:  global
        .offset:         48
        .size:           8
        .value_kind:     global_buffer
      - .actual_access:  read_only
        .address_space:  global
        .offset:         56
        .size:           8
        .value_kind:     global_buffer
      - .actual_access:  read_only
        .address_space:  global
        .offset:         64
        .size:           8
        .value_kind:     global_buffer
      - .actual_access:  read_only
        .address_space:  global
        .offset:         72
        .size:           8
        .value_kind:     global_buffer
      - .offset:         80
        .size:           8
        .value_kind:     by_value
      - .actual_access:  read_only
        .address_space:  global
        .offset:         88
        .size:           8
        .value_kind:     global_buffer
      - .actual_access:  read_only
        .address_space:  global
        .offset:         96
        .size:           8
        .value_kind:     global_buffer
      - .actual_access:  read_only
        .address_space:  global
        .offset:         104
        .size:           8
        .value_kind:     global_buffer
      - .actual_access:  read_only
        .address_space:  global
        .offset:         112
        .size:           8
        .value_kind:     global_buffer
      - .actual_access:  read_only
        .address_space:  global
        .offset:         120
        .size:           8
        .value_kind:     global_buffer
      - .actual_access:  write_only
        .address_space:  global
        .offset:         128
        .size:           8
        .value_kind:     global_buffer
      - .offset:         136
        .size:           4
        .value_kind:     by_value
      - .offset:         140
        .size:           4
        .value_kind:     by_value
      - .offset:         144
        .size:           4
        .value_kind:     by_value
      - .offset:         148
        .size:           4
        .value_kind:     by_value
      - .offset:         152
        .size:           1
        .value_kind:     by_value
      - .offset:         153
        .size:           1
        .value_kind:     by_value
      - .offset:         154
        .size:           1
        .value_kind:     by_value
    .group_segment_fixed_size: 0
    .kernarg_segment_align: 8
    .kernarg_segment_size: 156
    .language:       OpenCL C
    .language_version:
      - 2
      - 0
    .max_flat_workgroup_size: 512
    .name:           _ZN9rocsparseL41csrgemm_numeric_fill_block_per_row_kernelILj512ELj32ELj1024ELj137ELj64ElldEEvT5_PKS1_S3_NS_24const_host_device_scalarIT6_EEPKT4_S3_PKS5_S9_S3_SB_S6_S9_S3_SB_S9_S3_PS5_21rocsparse_index_base_SD_SD_SD_bbb
    .private_segment_fixed_size: 0
    .sgpr_count:     62
    .sgpr_spill_count: 0
    .symbol:         _ZN9rocsparseL41csrgemm_numeric_fill_block_per_row_kernelILj512ELj32ELj1024ELj137ELj64ElldEEvT5_PKS1_S3_NS_24const_host_device_scalarIT6_EEPKT4_S3_PKS5_S9_S3_SB_S6_S9_S3_SB_S9_S3_PS5_21rocsparse_index_base_SD_SD_SD_bbb.kd
    .uniform_work_group_size: 1
    .uses_dynamic_stack: false
    .vgpr_count:     40
    .vgpr_spill_count: 0
    .wavefront_size: 64
  - .agpr_count:     0
    .args:
      - .offset:         0
        .size:           8
        .value_kind:     by_value
      - .actual_access:  read_only
        .address_space:  global
        .offset:         8
        .size:           8
        .value_kind:     global_buffer
      - .actual_access:  read_only
        .address_space:  global
        .offset:         16
        .size:           8
        .value_kind:     global_buffer
      - .offset:         24
        .size:           8
        .value_kind:     by_value
      - .actual_access:  read_only
        .address_space:  global
        .offset:         32
        .size:           8
        .value_kind:     global_buffer
      - .actual_access:  read_only
        .address_space:  global
        .offset:         40
        .size:           8
        .value_kind:     global_buffer
      - .actual_access:  read_only
        .address_space:  global
        .offset:         48
        .size:           8
        .value_kind:     global_buffer
      - .actual_access:  read_only
        .address_space:  global
        .offset:         56
        .size:           8
        .value_kind:     global_buffer
      - .actual_access:  read_only
        .address_space:  global
        .offset:         64
        .size:           8
        .value_kind:     global_buffer
      - .actual_access:  read_only
        .address_space:  global
        .offset:         72
        .size:           8
        .value_kind:     global_buffer
      - .offset:         80
        .size:           8
        .value_kind:     by_value
      - .actual_access:  read_only
        .address_space:  global
        .offset:         88
        .size:           8
        .value_kind:     global_buffer
      - .actual_access:  read_only
        .address_space:  global
        .offset:         96
        .size:           8
        .value_kind:     global_buffer
      - .actual_access:  read_only
        .address_space:  global
        .offset:         104
        .size:           8
        .value_kind:     global_buffer
      - .actual_access:  read_only
        .address_space:  global
        .offset:         112
        .size:           8
        .value_kind:     global_buffer
      - .actual_access:  read_only
        .address_space:  global
        .offset:         120
        .size:           8
        .value_kind:     global_buffer
      - .actual_access:  write_only
        .address_space:  global
        .offset:         128
        .size:           8
        .value_kind:     global_buffer
      - .offset:         136
        .size:           4
        .value_kind:     by_value
      - .offset:         140
        .size:           4
        .value_kind:     by_value
      - .offset:         144
        .size:           4
        .value_kind:     by_value
      - .offset:         148
        .size:           4
        .value_kind:     by_value
      - .offset:         152
        .size:           1
        .value_kind:     by_value
      - .offset:         153
        .size:           1
        .value_kind:     by_value
      - .offset:         154
        .size:           1
        .value_kind:     by_value
    .group_segment_fixed_size: 0
    .kernarg_segment_align: 8
    .kernarg_segment_size: 156
    .language:       OpenCL C
    .language_version:
      - 2
      - 0
    .max_flat_workgroup_size: 1024
    .name:           _ZN9rocsparseL41csrgemm_numeric_fill_block_per_row_kernelILj1024ELj32ELj2048ELj137ELj32ElldEEvT5_PKS1_S3_NS_24const_host_device_scalarIT6_EEPKT4_S3_PKS5_S9_S3_SB_S6_S9_S3_SB_S9_S3_PS5_21rocsparse_index_base_SD_SD_SD_bbb
    .private_segment_fixed_size: 0
    .sgpr_count:     86
    .sgpr_spill_count: 0
    .symbol:         _ZN9rocsparseL41csrgemm_numeric_fill_block_per_row_kernelILj1024ELj32ELj2048ELj137ELj32ElldEEvT5_PKS1_S3_NS_24const_host_device_scalarIT6_EEPKT4_S3_PKS5_S9_S3_SB_S6_S9_S3_SB_S9_S3_PS5_21rocsparse_index_base_SD_SD_SD_bbb.kd
    .uniform_work_group_size: 1
    .uses_dynamic_stack: false
    .vgpr_count:     40
    .vgpr_spill_count: 0
    .wavefront_size: 64
  - .agpr_count:     0
    .args:
      - .offset:         0
        .size:           8
        .value_kind:     by_value
      - .actual_access:  read_only
        .address_space:  global
        .offset:         8
        .size:           8
        .value_kind:     global_buffer
      - .actual_access:  read_only
        .address_space:  global
        .offset:         16
        .size:           8
        .value_kind:     global_buffer
      - .offset:         24
        .size:           8
        .value_kind:     by_value
      - .actual_access:  read_only
        .address_space:  global
        .offset:         32
        .size:           8
        .value_kind:     global_buffer
      - .actual_access:  read_only
        .address_space:  global
        .offset:         40
        .size:           8
        .value_kind:     global_buffer
      - .actual_access:  read_only
        .address_space:  global
        .offset:         48
        .size:           8
        .value_kind:     global_buffer
      - .actual_access:  read_only
        .address_space:  global
        .offset:         56
        .size:           8
        .value_kind:     global_buffer
      - .actual_access:  read_only
        .address_space:  global
        .offset:         64
        .size:           8
        .value_kind:     global_buffer
      - .actual_access:  read_only
        .address_space:  global
        .offset:         72
        .size:           8
        .value_kind:     global_buffer
      - .offset:         80
        .size:           8
        .value_kind:     by_value
      - .actual_access:  read_only
        .address_space:  global
        .offset:         88
        .size:           8
        .value_kind:     global_buffer
      - .actual_access:  read_only
        .address_space:  global
        .offset:         96
        .size:           8
        .value_kind:     global_buffer
      - .actual_access:  read_only
        .address_space:  global
        .offset:         104
        .size:           8
        .value_kind:     global_buffer
      - .actual_access:  read_only
        .address_space:  global
        .offset:         112
        .size:           8
        .value_kind:     global_buffer
      - .actual_access:  read_only
        .address_space:  global
        .offset:         120
        .size:           8
        .value_kind:     global_buffer
      - .actual_access:  write_only
        .address_space:  global
        .offset:         128
        .size:           8
        .value_kind:     global_buffer
      - .offset:         136
        .size:           4
        .value_kind:     by_value
      - .offset:         140
        .size:           4
        .value_kind:     by_value
      - .offset:         144
        .size:           4
        .value_kind:     by_value
      - .offset:         148
        .size:           4
        .value_kind:     by_value
      - .offset:         152
        .size:           1
        .value_kind:     by_value
      - .offset:         153
        .size:           1
        .value_kind:     by_value
      - .offset:         154
        .size:           1
        .value_kind:     by_value
    .group_segment_fixed_size: 0
    .kernarg_segment_align: 8
    .kernarg_segment_size: 156
    .language:       OpenCL C
    .language_version:
      - 2
      - 0
    .max_flat_workgroup_size: 1024
    .name:           _ZN9rocsparseL41csrgemm_numeric_fill_block_per_row_kernelILj1024ELj32ELj2048ELj137ELj64ElldEEvT5_PKS1_S3_NS_24const_host_device_scalarIT6_EEPKT4_S3_PKS5_S9_S3_SB_S6_S9_S3_SB_S9_S3_PS5_21rocsparse_index_base_SD_SD_SD_bbb
    .private_segment_fixed_size: 0
    .sgpr_count:     62
    .sgpr_spill_count: 0
    .symbol:         _ZN9rocsparseL41csrgemm_numeric_fill_block_per_row_kernelILj1024ELj32ELj2048ELj137ELj64ElldEEvT5_PKS1_S3_NS_24const_host_device_scalarIT6_EEPKT4_S3_PKS5_S9_S3_SB_S6_S9_S3_SB_S9_S3_PS5_21rocsparse_index_base_SD_SD_SD_bbb.kd
    .uniform_work_group_size: 1
    .uses_dynamic_stack: false
    .vgpr_count:     40
    .vgpr_spill_count: 0
    .wavefront_size: 64
  - .agpr_count:     0
    .args:
      - .offset:         0
        .size:           8
        .value_kind:     by_value
      - .actual_access:  read_only
        .address_space:  global
        .offset:         8
        .size:           8
        .value_kind:     global_buffer
      - .actual_access:  read_only
        .address_space:  global
        .offset:         16
        .size:           8
        .value_kind:     global_buffer
      - .offset:         24
        .size:           8
        .value_kind:     by_value
      - .actual_access:  read_only
        .address_space:  global
        .offset:         32
        .size:           8
        .value_kind:     global_buffer
      - .actual_access:  read_only
        .address_space:  global
        .offset:         40
        .size:           8
        .value_kind:     global_buffer
      - .actual_access:  read_only
        .address_space:  global
        .offset:         48
        .size:           8
        .value_kind:     global_buffer
      - .actual_access:  read_only
        .address_space:  global
        .offset:         56
        .size:           8
        .value_kind:     global_buffer
      - .actual_access:  read_only
        .address_space:  global
        .offset:         64
        .size:           8
        .value_kind:     global_buffer
      - .actual_access:  read_only
        .address_space:  global
        .offset:         72
        .size:           8
        .value_kind:     global_buffer
      - .offset:         80
        .size:           8
        .value_kind:     by_value
      - .actual_access:  read_only
        .address_space:  global
        .offset:         88
        .size:           8
        .value_kind:     global_buffer
      - .actual_access:  read_only
        .address_space:  global
        .offset:         96
        .size:           8
        .value_kind:     global_buffer
      - .actual_access:  read_only
        .address_space:  global
        .offset:         104
        .size:           8
        .value_kind:     global_buffer
      - .actual_access:  read_only
        .address_space:  global
        .offset:         112
        .size:           8
        .value_kind:     global_buffer
      - .actual_access:  read_only
        .address_space:  global
        .offset:         120
        .size:           8
        .value_kind:     global_buffer
      - .actual_access:  write_only
        .address_space:  global
        .offset:         128
        .size:           8
        .value_kind:     global_buffer
      - .offset:         136
        .size:           4
        .value_kind:     by_value
      - .offset:         140
        .size:           4
        .value_kind:     by_value
      - .offset:         144
        .size:           4
        .value_kind:     by_value
      - .offset:         148
        .size:           4
        .value_kind:     by_value
      - .offset:         152
        .size:           1
        .value_kind:     by_value
      - .offset:         153
        .size:           1
        .value_kind:     by_value
      - .offset:         154
        .size:           1
        .value_kind:     by_value
    .group_segment_fixed_size: 0
    .kernarg_segment_align: 8
    .kernarg_segment_size: 156
    .language:       OpenCL C
    .language_version:
      - 2
      - 0
    .max_flat_workgroup_size: 1024
    .name:           _ZN9rocsparseL41csrgemm_numeric_fill_block_per_row_kernelILj1024ELj64ELj4096ELj137ELj32ElldEEvT5_PKS1_S3_NS_24const_host_device_scalarIT6_EEPKT4_S3_PKS5_S9_S3_SB_S6_S9_S3_SB_S9_S3_PS5_21rocsparse_index_base_SD_SD_SD_bbb
    .private_segment_fixed_size: 0
    .sgpr_count:     106
    .sgpr_spill_count: 15
    .symbol:         _ZN9rocsparseL41csrgemm_numeric_fill_block_per_row_kernelILj1024ELj64ELj4096ELj137ELj32ElldEEvT5_PKS1_S3_NS_24const_host_device_scalarIT6_EEPKT4_S3_PKS5_S9_S3_SB_S6_S9_S3_SB_S9_S3_PS5_21rocsparse_index_base_SD_SD_SD_bbb.kd
    .uniform_work_group_size: 1
    .uses_dynamic_stack: false
    .vgpr_count:     41
    .vgpr_spill_count: 0
    .wavefront_size: 64
  - .agpr_count:     0
    .args:
      - .offset:         0
        .size:           8
        .value_kind:     by_value
      - .actual_access:  read_only
        .address_space:  global
        .offset:         8
        .size:           8
        .value_kind:     global_buffer
      - .actual_access:  read_only
        .address_space:  global
        .offset:         16
        .size:           8
        .value_kind:     global_buffer
      - .offset:         24
        .size:           8
        .value_kind:     by_value
      - .actual_access:  read_only
        .address_space:  global
        .offset:         32
        .size:           8
        .value_kind:     global_buffer
      - .actual_access:  read_only
        .address_space:  global
        .offset:         40
        .size:           8
        .value_kind:     global_buffer
      - .actual_access:  read_only
        .address_space:  global
        .offset:         48
        .size:           8
        .value_kind:     global_buffer
      - .actual_access:  read_only
        .address_space:  global
        .offset:         56
        .size:           8
        .value_kind:     global_buffer
      - .actual_access:  read_only
        .address_space:  global
        .offset:         64
        .size:           8
        .value_kind:     global_buffer
      - .actual_access:  read_only
        .address_space:  global
        .offset:         72
        .size:           8
        .value_kind:     global_buffer
      - .offset:         80
        .size:           8
        .value_kind:     by_value
      - .actual_access:  read_only
        .address_space:  global
        .offset:         88
        .size:           8
        .value_kind:     global_buffer
      - .actual_access:  read_only
        .address_space:  global
        .offset:         96
        .size:           8
        .value_kind:     global_buffer
      - .actual_access:  read_only
        .address_space:  global
        .offset:         104
        .size:           8
        .value_kind:     global_buffer
      - .actual_access:  read_only
        .address_space:  global
        .offset:         112
        .size:           8
        .value_kind:     global_buffer
      - .actual_access:  read_only
        .address_space:  global
        .offset:         120
        .size:           8
        .value_kind:     global_buffer
      - .actual_access:  write_only
        .address_space:  global
        .offset:         128
        .size:           8
        .value_kind:     global_buffer
      - .offset:         136
        .size:           4
        .value_kind:     by_value
      - .offset:         140
        .size:           4
        .value_kind:     by_value
      - .offset:         144
        .size:           4
        .value_kind:     by_value
      - .offset:         148
        .size:           4
        .value_kind:     by_value
      - .offset:         152
        .size:           1
        .value_kind:     by_value
      - .offset:         153
        .size:           1
        .value_kind:     by_value
      - .offset:         154
        .size:           1
        .value_kind:     by_value
    .group_segment_fixed_size: 0
    .kernarg_segment_align: 8
    .kernarg_segment_size: 156
    .language:       OpenCL C
    .language_version:
      - 2
      - 0
    .max_flat_workgroup_size: 1024
    .name:           _ZN9rocsparseL41csrgemm_numeric_fill_block_per_row_kernelILj1024ELj64ELj4096ELj137ELj64ElldEEvT5_PKS1_S3_NS_24const_host_device_scalarIT6_EEPKT4_S3_PKS5_S9_S3_SB_S6_S9_S3_SB_S9_S3_PS5_21rocsparse_index_base_SD_SD_SD_bbb
    .private_segment_fixed_size: 0
    .sgpr_count:     69
    .sgpr_spill_count: 0
    .symbol:         _ZN9rocsparseL41csrgemm_numeric_fill_block_per_row_kernelILj1024ELj64ELj4096ELj137ELj64ElldEEvT5_PKS1_S3_NS_24const_host_device_scalarIT6_EEPKT4_S3_PKS5_S9_S3_SB_S6_S9_S3_SB_S9_S3_PS5_21rocsparse_index_base_SD_SD_SD_bbb.kd
    .uniform_work_group_size: 1
    .uses_dynamic_stack: false
    .vgpr_count:     40
    .vgpr_spill_count: 0
    .wavefront_size: 64
  - .agpr_count:     0
    .args:
      - .offset:         0
        .size:           8
        .value_kind:     by_value
      - .actual_access:  read_only
        .address_space:  global
        .offset:         8
        .size:           8
        .value_kind:     global_buffer
      - .actual_access:  read_only
        .address_space:  global
        .offset:         16
        .size:           8
        .value_kind:     global_buffer
      - .offset:         24
        .size:           8
        .value_kind:     by_value
      - .actual_access:  read_only
        .address_space:  global
        .offset:         32
        .size:           8
        .value_kind:     global_buffer
      - .actual_access:  read_only
        .address_space:  global
        .offset:         40
        .size:           8
        .value_kind:     global_buffer
      - .actual_access:  read_only
        .address_space:  global
        .offset:         48
        .size:           8
        .value_kind:     global_buffer
      - .actual_access:  read_only
        .address_space:  global
        .offset:         56
        .size:           8
        .value_kind:     global_buffer
      - .actual_access:  read_only
        .address_space:  global
        .offset:         64
        .size:           8
        .value_kind:     global_buffer
      - .actual_access:  read_only
        .address_space:  global
        .offset:         72
        .size:           8
        .value_kind:     global_buffer
      - .offset:         80
        .size:           8
        .value_kind:     by_value
      - .actual_access:  read_only
        .address_space:  global
        .offset:         88
        .size:           8
        .value_kind:     global_buffer
      - .actual_access:  read_only
        .address_space:  global
        .offset:         96
        .size:           8
        .value_kind:     global_buffer
      - .actual_access:  read_only
        .address_space:  global
        .offset:         104
        .size:           8
        .value_kind:     global_buffer
      - .actual_access:  read_only
        .address_space:  global
        .offset:         112
        .size:           8
        .value_kind:     global_buffer
      - .actual_access:  read_only
        .address_space:  global
        .offset:         120
        .size:           8
        .value_kind:     global_buffer
      - .actual_access:  write_only
        .address_space:  global
        .offset:         128
        .size:           8
        .value_kind:     global_buffer
      - .offset:         136
        .size:           4
        .value_kind:     by_value
      - .offset:         140
        .size:           4
        .value_kind:     by_value
      - .offset:         144
        .size:           4
        .value_kind:     by_value
      - .offset:         148
        .size:           4
        .value_kind:     by_value
      - .offset:         152
        .size:           1
        .value_kind:     by_value
      - .offset:         153
        .size:           1
        .value_kind:     by_value
      - .offset:         154
        .size:           1
        .value_kind:     by_value
    .group_segment_fixed_size: 0
    .kernarg_segment_align: 8
    .kernarg_segment_size: 156
    .language:       OpenCL C
    .language_version:
      - 2
      - 0
    .max_flat_workgroup_size: 1024
    .name:           _ZN9rocsparseL41csrgemm_numeric_fill_block_per_row_kernelILj1024ELj64ELj8192ELj137ELj32ElldEEvT5_PKS1_S3_NS_24const_host_device_scalarIT6_EEPKT4_S3_PKS5_S9_S3_SB_S6_S9_S3_SB_S9_S3_PS5_21rocsparse_index_base_SD_SD_SD_bbb
    .private_segment_fixed_size: 0
    .sgpr_count:     106
    .sgpr_spill_count: 15
    .symbol:         _ZN9rocsparseL41csrgemm_numeric_fill_block_per_row_kernelILj1024ELj64ELj8192ELj137ELj32ElldEEvT5_PKS1_S3_NS_24const_host_device_scalarIT6_EEPKT4_S3_PKS5_S9_S3_SB_S6_S9_S3_SB_S9_S3_PS5_21rocsparse_index_base_SD_SD_SD_bbb.kd
    .uniform_work_group_size: 1
    .uses_dynamic_stack: false
    .vgpr_count:     41
    .vgpr_spill_count: 0
    .wavefront_size: 64
  - .agpr_count:     0
    .args:
      - .offset:         0
        .size:           8
        .value_kind:     by_value
      - .actual_access:  read_only
        .address_space:  global
        .offset:         8
        .size:           8
        .value_kind:     global_buffer
      - .actual_access:  read_only
        .address_space:  global
        .offset:         16
        .size:           8
        .value_kind:     global_buffer
      - .offset:         24
        .size:           8
        .value_kind:     by_value
      - .actual_access:  read_only
        .address_space:  global
        .offset:         32
        .size:           8
        .value_kind:     global_buffer
      - .actual_access:  read_only
        .address_space:  global
        .offset:         40
        .size:           8
        .value_kind:     global_buffer
      - .actual_access:  read_only
        .address_space:  global
        .offset:         48
        .size:           8
        .value_kind:     global_buffer
      - .actual_access:  read_only
        .address_space:  global
        .offset:         56
        .size:           8
        .value_kind:     global_buffer
      - .actual_access:  read_only
        .address_space:  global
        .offset:         64
        .size:           8
        .value_kind:     global_buffer
      - .actual_access:  read_only
        .address_space:  global
        .offset:         72
        .size:           8
        .value_kind:     global_buffer
      - .offset:         80
        .size:           8
        .value_kind:     by_value
      - .actual_access:  read_only
        .address_space:  global
        .offset:         88
        .size:           8
        .value_kind:     global_buffer
      - .actual_access:  read_only
        .address_space:  global
        .offset:         96
        .size:           8
        .value_kind:     global_buffer
      - .actual_access:  read_only
        .address_space:  global
        .offset:         104
        .size:           8
        .value_kind:     global_buffer
      - .actual_access:  read_only
        .address_space:  global
        .offset:         112
        .size:           8
        .value_kind:     global_buffer
      - .actual_access:  read_only
        .address_space:  global
        .offset:         120
        .size:           8
        .value_kind:     global_buffer
      - .actual_access:  write_only
        .address_space:  global
        .offset:         128
        .size:           8
        .value_kind:     global_buffer
      - .offset:         136
        .size:           4
        .value_kind:     by_value
      - .offset:         140
        .size:           4
        .value_kind:     by_value
      - .offset:         144
        .size:           4
        .value_kind:     by_value
      - .offset:         148
        .size:           4
        .value_kind:     by_value
      - .offset:         152
        .size:           1
        .value_kind:     by_value
      - .offset:         153
        .size:           1
        .value_kind:     by_value
      - .offset:         154
        .size:           1
        .value_kind:     by_value
    .group_segment_fixed_size: 0
    .kernarg_segment_align: 8
    .kernarg_segment_size: 156
    .language:       OpenCL C
    .language_version:
      - 2
      - 0
    .max_flat_workgroup_size: 1024
    .name:           _ZN9rocsparseL41csrgemm_numeric_fill_block_per_row_kernelILj1024ELj64ELj8192ELj137ELj64ElldEEvT5_PKS1_S3_NS_24const_host_device_scalarIT6_EEPKT4_S3_PKS5_S9_S3_SB_S6_S9_S3_SB_S9_S3_PS5_21rocsparse_index_base_SD_SD_SD_bbb
    .private_segment_fixed_size: 0
    .sgpr_count:     69
    .sgpr_spill_count: 0
    .symbol:         _ZN9rocsparseL41csrgemm_numeric_fill_block_per_row_kernelILj1024ELj64ELj8192ELj137ELj64ElldEEvT5_PKS1_S3_NS_24const_host_device_scalarIT6_EEPKT4_S3_PKS5_S9_S3_SB_S6_S9_S3_SB_S9_S3_PS5_21rocsparse_index_base_SD_SD_SD_bbb.kd
    .uniform_work_group_size: 1
    .uses_dynamic_stack: false
    .vgpr_count:     40
    .vgpr_spill_count: 0
    .wavefront_size: 64
  - .agpr_count:     0
    .args:
      - .offset:         0
        .size:           8
        .value_kind:     by_value
      - .actual_access:  read_only
        .address_space:  global
        .offset:         8
        .size:           8
        .value_kind:     global_buffer
      - .actual_access:  read_only
        .address_space:  global
        .offset:         16
        .size:           8
        .value_kind:     global_buffer
      - .offset:         24
        .size:           8
        .value_kind:     by_value
      - .actual_access:  read_only
        .address_space:  global
        .offset:         32
        .size:           8
        .value_kind:     global_buffer
      - .actual_access:  read_only
        .address_space:  global
        .offset:         40
        .size:           8
        .value_kind:     global_buffer
      - .actual_access:  read_only
        .address_space:  global
        .offset:         48
        .size:           8
        .value_kind:     global_buffer
      - .actual_access:  read_only
        .address_space:  global
        .offset:         56
        .size:           8
        .value_kind:     global_buffer
      - .actual_access:  read_only
        .address_space:  global
        .offset:         64
        .size:           8
        .value_kind:     global_buffer
      - .actual_access:  read_only
        .address_space:  global
        .offset:         72
        .size:           8
        .value_kind:     global_buffer
      - .offset:         80
        .size:           8
        .value_kind:     by_value
      - .actual_access:  read_only
        .address_space:  global
        .offset:         88
        .size:           8
        .value_kind:     global_buffer
      - .actual_access:  read_only
        .address_space:  global
        .offset:         96
        .size:           8
        .value_kind:     global_buffer
      - .actual_access:  read_only
        .address_space:  global
        .offset:         104
        .size:           8
        .value_kind:     global_buffer
      - .actual_access:  read_only
        .address_space:  global
        .offset:         112
        .size:           8
        .value_kind:     global_buffer
      - .actual_access:  read_only
        .address_space:  global
        .offset:         120
        .size:           8
        .value_kind:     global_buffer
      - .actual_access:  write_only
        .address_space:  global
        .offset:         128
        .size:           8
        .value_kind:     global_buffer
      - .offset:         136
        .size:           4
        .value_kind:     by_value
      - .offset:         140
        .size:           4
        .value_kind:     by_value
      - .offset:         144
        .size:           4
        .value_kind:     by_value
      - .offset:         148
        .size:           4
        .value_kind:     by_value
      - .offset:         152
        .size:           1
        .value_kind:     by_value
      - .offset:         153
        .size:           1
        .value_kind:     by_value
      - .offset:         154
        .size:           1
        .value_kind:     by_value
    .group_segment_fixed_size: 0
    .kernarg_segment_align: 8
    .kernarg_segment_size: 156
    .language:       OpenCL C
    .language_version:
      - 2
      - 0
    .max_flat_workgroup_size: 1024
    .name:           _ZN9rocsparseL41csrgemm_numeric_fill_block_per_row_kernelILj1024ELj64ELj16384ELj137ELj32ElldEEvT5_PKS1_S3_NS_24const_host_device_scalarIT6_EEPKT4_S3_PKS5_S9_S3_SB_S6_S9_S3_SB_S9_S3_PS5_21rocsparse_index_base_SD_SD_SD_bbb
    .private_segment_fixed_size: 0
    .sgpr_count:     106
    .sgpr_spill_count: 15
    .symbol:         _ZN9rocsparseL41csrgemm_numeric_fill_block_per_row_kernelILj1024ELj64ELj16384ELj137ELj32ElldEEvT5_PKS1_S3_NS_24const_host_device_scalarIT6_EEPKT4_S3_PKS5_S9_S3_SB_S6_S9_S3_SB_S9_S3_PS5_21rocsparse_index_base_SD_SD_SD_bbb.kd
    .uniform_work_group_size: 1
    .uses_dynamic_stack: false
    .vgpr_count:     41
    .vgpr_spill_count: 0
    .wavefront_size: 64
  - .agpr_count:     0
    .args:
      - .offset:         0
        .size:           8
        .value_kind:     by_value
      - .actual_access:  read_only
        .address_space:  global
        .offset:         8
        .size:           8
        .value_kind:     global_buffer
      - .actual_access:  read_only
        .address_space:  global
        .offset:         16
        .size:           8
        .value_kind:     global_buffer
      - .offset:         24
        .size:           8
        .value_kind:     by_value
      - .actual_access:  read_only
        .address_space:  global
        .offset:         32
        .size:           8
        .value_kind:     global_buffer
      - .actual_access:  read_only
        .address_space:  global
        .offset:         40
        .size:           8
        .value_kind:     global_buffer
      - .actual_access:  read_only
        .address_space:  global
        .offset:         48
        .size:           8
        .value_kind:     global_buffer
      - .actual_access:  read_only
        .address_space:  global
        .offset:         56
        .size:           8
        .value_kind:     global_buffer
      - .actual_access:  read_only
        .address_space:  global
        .offset:         64
        .size:           8
        .value_kind:     global_buffer
      - .actual_access:  read_only
        .address_space:  global
        .offset:         72
        .size:           8
        .value_kind:     global_buffer
      - .offset:         80
        .size:           8
        .value_kind:     by_value
      - .actual_access:  read_only
        .address_space:  global
        .offset:         88
        .size:           8
        .value_kind:     global_buffer
      - .actual_access:  read_only
        .address_space:  global
        .offset:         96
        .size:           8
        .value_kind:     global_buffer
      - .actual_access:  read_only
        .address_space:  global
        .offset:         104
        .size:           8
        .value_kind:     global_buffer
      - .actual_access:  read_only
        .address_space:  global
        .offset:         112
        .size:           8
        .value_kind:     global_buffer
      - .actual_access:  read_only
        .address_space:  global
        .offset:         120
        .size:           8
        .value_kind:     global_buffer
      - .actual_access:  write_only
        .address_space:  global
        .offset:         128
        .size:           8
        .value_kind:     global_buffer
      - .offset:         136
        .size:           4
        .value_kind:     by_value
      - .offset:         140
        .size:           4
        .value_kind:     by_value
      - .offset:         144
        .size:           4
        .value_kind:     by_value
      - .offset:         148
        .size:           4
        .value_kind:     by_value
      - .offset:         152
        .size:           1
        .value_kind:     by_value
      - .offset:         153
        .size:           1
        .value_kind:     by_value
      - .offset:         154
        .size:           1
        .value_kind:     by_value
    .group_segment_fixed_size: 0
    .kernarg_segment_align: 8
    .kernarg_segment_size: 156
    .language:       OpenCL C
    .language_version:
      - 2
      - 0
    .max_flat_workgroup_size: 1024
    .name:           _ZN9rocsparseL41csrgemm_numeric_fill_block_per_row_kernelILj1024ELj64ELj16384ELj137ELj64ElldEEvT5_PKS1_S3_NS_24const_host_device_scalarIT6_EEPKT4_S3_PKS5_S9_S3_SB_S6_S9_S3_SB_S9_S3_PS5_21rocsparse_index_base_SD_SD_SD_bbb
    .private_segment_fixed_size: 0
    .sgpr_count:     69
    .sgpr_spill_count: 0
    .symbol:         _ZN9rocsparseL41csrgemm_numeric_fill_block_per_row_kernelILj1024ELj64ELj16384ELj137ELj64ElldEEvT5_PKS1_S3_NS_24const_host_device_scalarIT6_EEPKT4_S3_PKS5_S9_S3_SB_S6_S9_S3_SB_S9_S3_PS5_21rocsparse_index_base_SD_SD_SD_bbb.kd
    .uniform_work_group_size: 1
    .uses_dynamic_stack: false
    .vgpr_count:     40
    .vgpr_spill_count: 0
    .wavefront_size: 64
  - .agpr_count:     0
    .args:
      - .offset:         0
        .size:           8
        .value_kind:     by_value
      - .actual_access:  read_only
        .address_space:  global
        .offset:         8
        .size:           8
        .value_kind:     global_buffer
      - .actual_access:  read_only
        .address_space:  global
        .offset:         16
        .size:           8
        .value_kind:     global_buffer
      - .offset:         24
        .size:           8
        .value_kind:     by_value
      - .actual_access:  read_only
        .address_space:  global
        .offset:         32
        .size:           8
        .value_kind:     global_buffer
      - .actual_access:  read_only
        .address_space:  global
        .offset:         40
        .size:           8
        .value_kind:     global_buffer
      - .actual_access:  read_only
        .address_space:  global
        .offset:         48
        .size:           8
        .value_kind:     global_buffer
      - .actual_access:  read_only
        .address_space:  global
        .offset:         56
        .size:           8
        .value_kind:     global_buffer
      - .actual_access:  read_only
        .address_space:  global
        .offset:         64
        .size:           8
        .value_kind:     global_buffer
      - .actual_access:  read_only
        .address_space:  global
        .offset:         72
        .size:           8
        .value_kind:     global_buffer
      - .offset:         80
        .size:           8
        .value_kind:     by_value
      - .actual_access:  read_only
        .address_space:  global
        .offset:         88
        .size:           8
        .value_kind:     global_buffer
      - .actual_access:  read_only
        .address_space:  global
        .offset:         96
        .size:           8
        .value_kind:     global_buffer
      - .actual_access:  read_only
        .address_space:  global
        .offset:         104
        .size:           8
        .value_kind:     global_buffer
      - .actual_access:  read_only
        .address_space:  global
        .offset:         112
        .size:           8
        .value_kind:     global_buffer
      - .actual_access:  read_only
        .address_space:  global
        .offset:         120
        .size:           8
        .value_kind:     global_buffer
      - .actual_access:  write_only
        .address_space:  global
        .offset:         128
        .size:           8
        .value_kind:     global_buffer
      - .offset:         136
        .size:           4
        .value_kind:     by_value
      - .offset:         140
        .size:           4
        .value_kind:     by_value
      - .offset:         144
        .size:           4
        .value_kind:     by_value
      - .offset:         148
        .size:           4
        .value_kind:     by_value
      - .offset:         152
        .size:           1
        .value_kind:     by_value
      - .offset:         153
        .size:           1
        .value_kind:     by_value
      - .offset:         154
        .size:           1
        .value_kind:     by_value
    .group_segment_fixed_size: 0
    .kernarg_segment_align: 8
    .kernarg_segment_size: 156
    .language:       OpenCL C
    .language_version:
      - 2
      - 0
    .max_flat_workgroup_size: 1024
    .name:           _ZN9rocsparseL41csrgemm_numeric_fill_block_per_row_kernelILj1024ELj64ELj32768ELj137ELj32ElldEEvT5_PKS1_S3_NS_24const_host_device_scalarIT6_EEPKT4_S3_PKS5_S9_S3_SB_S6_S9_S3_SB_S9_S3_PS5_21rocsparse_index_base_SD_SD_SD_bbb
    .private_segment_fixed_size: 0
    .sgpr_count:     106
    .sgpr_spill_count: 15
    .symbol:         _ZN9rocsparseL41csrgemm_numeric_fill_block_per_row_kernelILj1024ELj64ELj32768ELj137ELj32ElldEEvT5_PKS1_S3_NS_24const_host_device_scalarIT6_EEPKT4_S3_PKS5_S9_S3_SB_S6_S9_S3_SB_S9_S3_PS5_21rocsparse_index_base_SD_SD_SD_bbb.kd
    .uniform_work_group_size: 1
    .uses_dynamic_stack: false
    .vgpr_count:     41
    .vgpr_spill_count: 0
    .wavefront_size: 64
  - .agpr_count:     0
    .args:
      - .offset:         0
        .size:           8
        .value_kind:     by_value
      - .actual_access:  read_only
        .address_space:  global
        .offset:         8
        .size:           8
        .value_kind:     global_buffer
      - .actual_access:  read_only
        .address_space:  global
        .offset:         16
        .size:           8
        .value_kind:     global_buffer
      - .offset:         24
        .size:           8
        .value_kind:     by_value
      - .actual_access:  read_only
        .address_space:  global
        .offset:         32
        .size:           8
        .value_kind:     global_buffer
      - .actual_access:  read_only
        .address_space:  global
        .offset:         40
        .size:           8
        .value_kind:     global_buffer
      - .actual_access:  read_only
        .address_space:  global
        .offset:         48
        .size:           8
        .value_kind:     global_buffer
      - .actual_access:  read_only
        .address_space:  global
        .offset:         56
        .size:           8
        .value_kind:     global_buffer
      - .actual_access:  read_only
        .address_space:  global
        .offset:         64
        .size:           8
        .value_kind:     global_buffer
      - .actual_access:  read_only
        .address_space:  global
        .offset:         72
        .size:           8
        .value_kind:     global_buffer
      - .offset:         80
        .size:           8
        .value_kind:     by_value
      - .actual_access:  read_only
        .address_space:  global
        .offset:         88
        .size:           8
        .value_kind:     global_buffer
      - .actual_access:  read_only
        .address_space:  global
        .offset:         96
        .size:           8
        .value_kind:     global_buffer
      - .actual_access:  read_only
        .address_space:  global
        .offset:         104
        .size:           8
        .value_kind:     global_buffer
      - .actual_access:  read_only
        .address_space:  global
        .offset:         112
        .size:           8
        .value_kind:     global_buffer
      - .actual_access:  read_only
        .address_space:  global
        .offset:         120
        .size:           8
        .value_kind:     global_buffer
      - .actual_access:  write_only
        .address_space:  global
        .offset:         128
        .size:           8
        .value_kind:     global_buffer
      - .offset:         136
        .size:           4
        .value_kind:     by_value
      - .offset:         140
        .size:           4
        .value_kind:     by_value
      - .offset:         144
        .size:           4
        .value_kind:     by_value
      - .offset:         148
        .size:           4
        .value_kind:     by_value
      - .offset:         152
        .size:           1
        .value_kind:     by_value
      - .offset:         153
        .size:           1
        .value_kind:     by_value
      - .offset:         154
        .size:           1
        .value_kind:     by_value
    .group_segment_fixed_size: 0
    .kernarg_segment_align: 8
    .kernarg_segment_size: 156
    .language:       OpenCL C
    .language_version:
      - 2
      - 0
    .max_flat_workgroup_size: 1024
    .name:           _ZN9rocsparseL41csrgemm_numeric_fill_block_per_row_kernelILj1024ELj64ELj32768ELj137ELj64ElldEEvT5_PKS1_S3_NS_24const_host_device_scalarIT6_EEPKT4_S3_PKS5_S9_S3_SB_S6_S9_S3_SB_S9_S3_PS5_21rocsparse_index_base_SD_SD_SD_bbb
    .private_segment_fixed_size: 0
    .sgpr_count:     69
    .sgpr_spill_count: 0
    .symbol:         _ZN9rocsparseL41csrgemm_numeric_fill_block_per_row_kernelILj1024ELj64ELj32768ELj137ELj64ElldEEvT5_PKS1_S3_NS_24const_host_device_scalarIT6_EEPKT4_S3_PKS5_S9_S3_SB_S6_S9_S3_SB_S9_S3_PS5_21rocsparse_index_base_SD_SD_SD_bbb.kd
    .uniform_work_group_size: 1
    .uses_dynamic_stack: false
    .vgpr_count:     40
    .vgpr_spill_count: 0
    .wavefront_size: 64
  - .agpr_count:     0
    .args:
      - .offset:         0
        .size:           8
        .value_kind:     by_value
      - .actual_access:  read_only
        .address_space:  global
        .offset:         8
        .size:           8
        .value_kind:     global_buffer
      - .actual_access:  read_only
        .address_space:  global
        .offset:         16
        .size:           8
        .value_kind:     global_buffer
      - .offset:         24
        .size:           8
        .value_kind:     by_value
      - .actual_access:  read_only
        .address_space:  global
        .offset:         32
        .size:           8
        .value_kind:     global_buffer
      - .actual_access:  read_only
        .address_space:  global
        .offset:         40
        .size:           8
        .value_kind:     global_buffer
      - .actual_access:  read_only
        .address_space:  global
        .offset:         48
        .size:           8
        .value_kind:     global_buffer
      - .actual_access:  read_only
        .address_space:  global
        .offset:         56
        .size:           8
        .value_kind:     global_buffer
      - .actual_access:  read_only
        .address_space:  global
        .offset:         64
        .size:           8
        .value_kind:     global_buffer
      - .actual_access:  read_only
        .address_space:  global
        .offset:         72
        .size:           8
        .value_kind:     global_buffer
      - .offset:         80
        .size:           8
        .value_kind:     by_value
      - .actual_access:  read_only
        .address_space:  global
        .offset:         88
        .size:           8
        .value_kind:     global_buffer
      - .actual_access:  read_only
        .address_space:  global
        .offset:         96
        .size:           8
        .value_kind:     global_buffer
      - .actual_access:  read_only
        .address_space:  global
        .offset:         104
        .size:           8
        .value_kind:     global_buffer
      - .actual_access:  read_only
        .address_space:  global
        .offset:         112
        .size:           8
        .value_kind:     global_buffer
      - .actual_access:  read_only
        .address_space:  global
        .offset:         120
        .size:           8
        .value_kind:     global_buffer
      - .actual_access:  write_only
        .address_space:  global
        .offset:         128
        .size:           8
        .value_kind:     global_buffer
      - .address_space:  global
        .offset:         136
        .size:           8
        .value_kind:     global_buffer
      - .offset:         144
        .size:           4
        .value_kind:     by_value
      - .offset:         148
        .size:           4
        .value_kind:     by_value
      - .offset:         152
        .size:           4
        .value_kind:     by_value
      - .offset:         156
        .size:           4
        .value_kind:     by_value
      - .offset:         160
        .size:           1
        .value_kind:     by_value
      - .offset:         161
        .size:           1
        .value_kind:     by_value
      - .offset:         162
        .size:           1
        .value_kind:     by_value
    .group_segment_fixed_size: 18440
    .kernarg_segment_align: 8
    .kernarg_segment_size: 164
    .language:       OpenCL C
    .language_version:
      - 2
      - 0
    .max_flat_workgroup_size: 512
    .name:           _ZN9rocsparseL51csrgemm_numeric_fill_block_per_row_multipass_kernelILj512ELj16ELj2048ELj32ElldEEvT4_PKS1_S3_NS_24const_host_device_scalarIT5_EEPKT3_S3_PKS5_S9_S3_SB_S6_S9_S3_SB_S9_S3_PS5_PS7_21rocsparse_index_base_SE_SE_SE_bbb
    .private_segment_fixed_size: 0
    .sgpr_count:     103
    .sgpr_spill_count: 0
    .symbol:         _ZN9rocsparseL51csrgemm_numeric_fill_block_per_row_multipass_kernelILj512ELj16ELj2048ELj32ElldEEvT4_PKS1_S3_NS_24const_host_device_scalarIT5_EEPKT3_S3_PKS5_S9_S3_SB_S6_S9_S3_SB_S9_S3_PS5_PS7_21rocsparse_index_base_SE_SE_SE_bbb.kd
    .uniform_work_group_size: 1
    .uses_dynamic_stack: false
    .vgpr_count:     49
    .vgpr_spill_count: 0
    .wavefront_size: 64
  - .agpr_count:     0
    .args:
      - .offset:         0
        .size:           8
        .value_kind:     by_value
      - .actual_access:  read_only
        .address_space:  global
        .offset:         8
        .size:           8
        .value_kind:     global_buffer
      - .actual_access:  read_only
        .address_space:  global
        .offset:         16
        .size:           8
        .value_kind:     global_buffer
      - .offset:         24
        .size:           8
        .value_kind:     by_value
      - .actual_access:  read_only
        .address_space:  global
        .offset:         32
        .size:           8
        .value_kind:     global_buffer
      - .actual_access:  read_only
        .address_space:  global
        .offset:         40
        .size:           8
        .value_kind:     global_buffer
      - .actual_access:  read_only
        .address_space:  global
        .offset:         48
        .size:           8
        .value_kind:     global_buffer
      - .actual_access:  read_only
        .address_space:  global
        .offset:         56
        .size:           8
        .value_kind:     global_buffer
      - .actual_access:  read_only
        .address_space:  global
        .offset:         64
        .size:           8
        .value_kind:     global_buffer
      - .actual_access:  read_only
        .address_space:  global
        .offset:         72
        .size:           8
        .value_kind:     global_buffer
      - .offset:         80
        .size:           8
        .value_kind:     by_value
      - .actual_access:  read_only
        .address_space:  global
        .offset:         88
        .size:           8
        .value_kind:     global_buffer
      - .actual_access:  read_only
        .address_space:  global
        .offset:         96
        .size:           8
        .value_kind:     global_buffer
      - .actual_access:  read_only
        .address_space:  global
        .offset:         104
        .size:           8
        .value_kind:     global_buffer
      - .actual_access:  read_only
        .address_space:  global
        .offset:         112
        .size:           8
        .value_kind:     global_buffer
      - .actual_access:  read_only
        .address_space:  global
        .offset:         120
        .size:           8
        .value_kind:     global_buffer
      - .actual_access:  write_only
        .address_space:  global
        .offset:         128
        .size:           8
        .value_kind:     global_buffer
      - .address_space:  global
        .offset:         136
        .size:           8
        .value_kind:     global_buffer
      - .offset:         144
        .size:           4
        .value_kind:     by_value
      - .offset:         148
        .size:           4
        .value_kind:     by_value
      - .offset:         152
        .size:           4
        .value_kind:     by_value
      - .offset:         156
        .size:           4
        .value_kind:     by_value
      - .offset:         160
        .size:           1
        .value_kind:     by_value
      - .offset:         161
        .size:           1
        .value_kind:     by_value
      - .offset:         162
        .size:           1
        .value_kind:     by_value
    .group_segment_fixed_size: 18440
    .kernarg_segment_align: 8
    .kernarg_segment_size: 164
    .language:       OpenCL C
    .language_version:
      - 2
      - 0
    .max_flat_workgroup_size: 512
    .name:           _ZN9rocsparseL51csrgemm_numeric_fill_block_per_row_multipass_kernelILj512ELj16ELj2048ELj64ElldEEvT4_PKS1_S3_NS_24const_host_device_scalarIT5_EEPKT3_S3_PKS5_S9_S3_SB_S6_S9_S3_SB_S9_S3_PS5_PS7_21rocsparse_index_base_SE_SE_SE_bbb
    .private_segment_fixed_size: 0
    .sgpr_count:     87
    .sgpr_spill_count: 0
    .symbol:         _ZN9rocsparseL51csrgemm_numeric_fill_block_per_row_multipass_kernelILj512ELj16ELj2048ELj64ElldEEvT4_PKS1_S3_NS_24const_host_device_scalarIT5_EEPKT3_S3_PKS5_S9_S3_SB_S6_S9_S3_SB_S9_S3_PS5_PS7_21rocsparse_index_base_SE_SE_SE_bbb.kd
    .uniform_work_group_size: 1
    .uses_dynamic_stack: false
    .vgpr_count:     49
    .vgpr_spill_count: 0
    .wavefront_size: 64
  - .agpr_count:     0
    .args:
      - .offset:         0
        .size:           8
        .value_kind:     by_value
      - .offset:         8
        .size:           8
        .value_kind:     by_value
      - .actual_access:  read_only
        .address_space:  global
        .offset:         16
        .size:           8
        .value_kind:     global_buffer
      - .actual_access:  read_only
        .address_space:  global
        .offset:         24
        .size:           8
        .value_kind:     global_buffer
      - .offset:         32
        .size:           8
        .value_kind:     by_value
      - .actual_access:  read_only
        .address_space:  global
        .offset:         40
        .size:           8
        .value_kind:     global_buffer
      - .actual_access:  read_only
        .address_space:  global
        .offset:         48
        .size:           8
        .value_kind:     global_buffer
      - .actual_access:  read_only
        .address_space:  global
        .offset:         56
        .size:           8
        .value_kind:     global_buffer
      - .actual_access:  read_only
        .address_space:  global
        .offset:         64
        .size:           8
        .value_kind:     global_buffer
      - .actual_access:  read_only
        .address_space:  global
        .offset:         72
        .size:           8
        .value_kind:     global_buffer
      - .actual_access:  read_only
        .address_space:  global
        .offset:         80
        .size:           8
        .value_kind:     global_buffer
      - .offset:         88
        .size:           8
        .value_kind:     by_value
      - .actual_access:  read_only
        .address_space:  global
        .offset:         96
        .size:           8
        .value_kind:     global_buffer
      - .actual_access:  read_only
        .address_space:  global
        .offset:         104
        .size:           8
        .value_kind:     global_buffer
      - .actual_access:  read_only
        .address_space:  global
        .offset:         112
        .size:           8
        .value_kind:     global_buffer
      - .actual_access:  read_only
        .address_space:  global
        .offset:         120
        .size:           8
        .value_kind:     global_buffer
      - .actual_access:  read_only
        .address_space:  global
        .offset:         128
        .size:           8
        .value_kind:     global_buffer
      - .actual_access:  write_only
        .address_space:  global
        .offset:         136
        .size:           8
        .value_kind:     global_buffer
      - .offset:         144
        .size:           4
        .value_kind:     by_value
      - .offset:         148
        .size:           4
        .value_kind:     by_value
      - .offset:         152
        .size:           4
        .value_kind:     by_value
      - .offset:         156
        .size:           4
        .value_kind:     by_value
      - .offset:         160
        .size:           1
        .value_kind:     by_value
      - .offset:         161
        .size:           1
        .value_kind:     by_value
      - .offset:         162
        .size:           1
        .value_kind:     by_value
    .group_segment_fixed_size: 8192
    .kernarg_segment_align: 8
    .kernarg_segment_size: 164
    .language:       OpenCL C
    .language_version:
      - 2
      - 0
    .max_flat_workgroup_size: 256
    .name:           _ZN9rocsparseL38csrgemm_numeric_fill_wf_per_row_kernelILj256ELj8ELj16ELj137Ell21rocsparse_complex_numIfEEEvT4_S3_PKS3_S5_NS_24const_host_device_scalarIT5_EEPKT3_S5_PKS7_SB_S5_SD_S8_SB_S5_SD_SB_S5_PS7_21rocsparse_index_base_SF_SF_SF_bbb
    .private_segment_fixed_size: 0
    .sgpr_count:     61
    .sgpr_spill_count: 0
    .symbol:         _ZN9rocsparseL38csrgemm_numeric_fill_wf_per_row_kernelILj256ELj8ELj16ELj137Ell21rocsparse_complex_numIfEEEvT4_S3_PKS3_S5_NS_24const_host_device_scalarIT5_EEPKT3_S5_PKS7_SB_S5_SD_S8_SB_S5_SD_SB_S5_PS7_21rocsparse_index_base_SF_SF_SF_bbb.kd
    .uniform_work_group_size: 1
    .uses_dynamic_stack: false
    .vgpr_count:     44
    .vgpr_spill_count: 0
    .wavefront_size: 64
  - .agpr_count:     0
    .args:
      - .offset:         0
        .size:           8
        .value_kind:     by_value
      - .offset:         8
        .size:           8
        .value_kind:     by_value
      - .actual_access:  read_only
        .address_space:  global
        .offset:         16
        .size:           8
        .value_kind:     global_buffer
      - .actual_access:  read_only
        .address_space:  global
        .offset:         24
        .size:           8
        .value_kind:     global_buffer
      - .offset:         32
        .size:           8
        .value_kind:     by_value
      - .actual_access:  read_only
        .address_space:  global
        .offset:         40
        .size:           8
        .value_kind:     global_buffer
      - .actual_access:  read_only
        .address_space:  global
        .offset:         48
        .size:           8
        .value_kind:     global_buffer
      - .actual_access:  read_only
        .address_space:  global
        .offset:         56
        .size:           8
        .value_kind:     global_buffer
      - .actual_access:  read_only
        .address_space:  global
        .offset:         64
        .size:           8
        .value_kind:     global_buffer
      - .actual_access:  read_only
        .address_space:  global
        .offset:         72
        .size:           8
        .value_kind:     global_buffer
      - .actual_access:  read_only
        .address_space:  global
        .offset:         80
        .size:           8
        .value_kind:     global_buffer
      - .offset:         88
        .size:           8
        .value_kind:     by_value
      - .actual_access:  read_only
        .address_space:  global
        .offset:         96
        .size:           8
        .value_kind:     global_buffer
      - .actual_access:  read_only
        .address_space:  global
        .offset:         104
        .size:           8
        .value_kind:     global_buffer
      - .actual_access:  read_only
        .address_space:  global
        .offset:         112
        .size:           8
        .value_kind:     global_buffer
      - .actual_access:  read_only
        .address_space:  global
        .offset:         120
        .size:           8
        .value_kind:     global_buffer
      - .actual_access:  read_only
        .address_space:  global
        .offset:         128
        .size:           8
        .value_kind:     global_buffer
      - .actual_access:  write_only
        .address_space:  global
        .offset:         136
        .size:           8
        .value_kind:     global_buffer
      - .offset:         144
        .size:           4
        .value_kind:     by_value
      - .offset:         148
        .size:           4
        .value_kind:     by_value
      - .offset:         152
        .size:           4
        .value_kind:     by_value
      - .offset:         156
        .size:           4
        .value_kind:     by_value
      - .offset:         160
        .size:           1
        .value_kind:     by_value
      - .offset:         161
        .size:           1
        .value_kind:     by_value
      - .offset:         162
        .size:           1
        .value_kind:     by_value
    .group_segment_fixed_size: 8192
    .kernarg_segment_align: 8
    .kernarg_segment_size: 164
    .language:       OpenCL C
    .language_version:
      - 2
      - 0
    .max_flat_workgroup_size: 256
    .name:           _ZN9rocsparseL38csrgemm_numeric_fill_wf_per_row_kernelILj256ELj16ELj32ELj137Ell21rocsparse_complex_numIfEEEvT4_S3_PKS3_S5_NS_24const_host_device_scalarIT5_EEPKT3_S5_PKS7_SB_S5_SD_S8_SB_S5_SD_SB_S5_PS7_21rocsparse_index_base_SF_SF_SF_bbb
    .private_segment_fixed_size: 0
    .sgpr_count:     61
    .sgpr_spill_count: 0
    .symbol:         _ZN9rocsparseL38csrgemm_numeric_fill_wf_per_row_kernelILj256ELj16ELj32ELj137Ell21rocsparse_complex_numIfEEEvT4_S3_PKS3_S5_NS_24const_host_device_scalarIT5_EEPKT3_S5_PKS7_SB_S5_SD_S8_SB_S5_SD_SB_S5_PS7_21rocsparse_index_base_SF_SF_SF_bbb.kd
    .uniform_work_group_size: 1
    .uses_dynamic_stack: false
    .vgpr_count:     60
    .vgpr_spill_count: 0
    .wavefront_size: 64
  - .agpr_count:     0
    .args:
      - .offset:         0
        .size:           8
        .value_kind:     by_value
      - .actual_access:  read_only
        .address_space:  global
        .offset:         8
        .size:           8
        .value_kind:     global_buffer
      - .actual_access:  read_only
        .address_space:  global
        .offset:         16
        .size:           8
        .value_kind:     global_buffer
      - .offset:         24
        .size:           8
        .value_kind:     by_value
      - .actual_access:  read_only
        .address_space:  global
        .offset:         32
        .size:           8
        .value_kind:     global_buffer
      - .actual_access:  read_only
        .address_space:  global
        .offset:         40
        .size:           8
        .value_kind:     global_buffer
      - .actual_access:  read_only
        .address_space:  global
        .offset:         48
        .size:           8
        .value_kind:     global_buffer
      - .actual_access:  read_only
        .address_space:  global
        .offset:         56
        .size:           8
        .value_kind:     global_buffer
      - .actual_access:  read_only
        .address_space:  global
        .offset:         64
        .size:           8
        .value_kind:     global_buffer
      - .actual_access:  read_only
        .address_space:  global
        .offset:         72
        .size:           8
        .value_kind:     global_buffer
      - .offset:         80
        .size:           8
        .value_kind:     by_value
      - .actual_access:  read_only
        .address_space:  global
        .offset:         88
        .size:           8
        .value_kind:     global_buffer
      - .actual_access:  read_only
        .address_space:  global
        .offset:         96
        .size:           8
        .value_kind:     global_buffer
      - .actual_access:  read_only
        .address_space:  global
        .offset:         104
        .size:           8
        .value_kind:     global_buffer
      - .actual_access:  read_only
        .address_space:  global
        .offset:         112
        .size:           8
        .value_kind:     global_buffer
      - .actual_access:  read_only
        .address_space:  global
        .offset:         120
        .size:           8
        .value_kind:     global_buffer
      - .actual_access:  write_only
        .address_space:  global
        .offset:         128
        .size:           8
        .value_kind:     global_buffer
      - .offset:         136
        .size:           4
        .value_kind:     by_value
      - .offset:         140
        .size:           4
        .value_kind:     by_value
      - .offset:         144
        .size:           4
        .value_kind:     by_value
      - .offset:         148
        .size:           4
        .value_kind:     by_value
      - .offset:         152
        .size:           1
        .value_kind:     by_value
      - .offset:         153
        .size:           1
        .value_kind:     by_value
      - .offset:         154
        .size:           1
        .value_kind:     by_value
    .group_segment_fixed_size: 0
    .kernarg_segment_align: 8
    .kernarg_segment_size: 156
    .language:       OpenCL C
    .language_version:
      - 2
      - 0
    .max_flat_workgroup_size: 128
    .name:           _ZN9rocsparseL41csrgemm_numeric_fill_block_per_row_kernelILj128ELj16ELj256ELj137ELj32Ell21rocsparse_complex_numIfEEEvT5_PKS3_S5_NS_24const_host_device_scalarIT6_EEPKT4_S5_PKS7_SB_S5_SD_S8_SB_S5_SD_SB_S5_PS7_21rocsparse_index_base_SF_SF_SF_bbb
    .private_segment_fixed_size: 0
    .sgpr_count:     68
    .sgpr_spill_count: 0
    .symbol:         _ZN9rocsparseL41csrgemm_numeric_fill_block_per_row_kernelILj128ELj16ELj256ELj137ELj32Ell21rocsparse_complex_numIfEEEvT5_PKS3_S5_NS_24const_host_device_scalarIT6_EEPKT4_S5_PKS7_SB_S5_SD_S8_SB_S5_SD_SB_S5_PS7_21rocsparse_index_base_SF_SF_SF_bbb.kd
    .uniform_work_group_size: 1
    .uses_dynamic_stack: false
    .vgpr_count:     40
    .vgpr_spill_count: 0
    .wavefront_size: 64
  - .agpr_count:     0
    .args:
      - .offset:         0
        .size:           8
        .value_kind:     by_value
      - .actual_access:  read_only
        .address_space:  global
        .offset:         8
        .size:           8
        .value_kind:     global_buffer
      - .actual_access:  read_only
        .address_space:  global
        .offset:         16
        .size:           8
        .value_kind:     global_buffer
      - .offset:         24
        .size:           8
        .value_kind:     by_value
      - .actual_access:  read_only
        .address_space:  global
        .offset:         32
        .size:           8
        .value_kind:     global_buffer
      - .actual_access:  read_only
        .address_space:  global
        .offset:         40
        .size:           8
        .value_kind:     global_buffer
      - .actual_access:  read_only
        .address_space:  global
        .offset:         48
        .size:           8
        .value_kind:     global_buffer
      - .actual_access:  read_only
        .address_space:  global
        .offset:         56
        .size:           8
        .value_kind:     global_buffer
      - .actual_access:  read_only
        .address_space:  global
        .offset:         64
        .size:           8
        .value_kind:     global_buffer
      - .actual_access:  read_only
        .address_space:  global
        .offset:         72
        .size:           8
        .value_kind:     global_buffer
      - .offset:         80
        .size:           8
        .value_kind:     by_value
      - .actual_access:  read_only
        .address_space:  global
        .offset:         88
        .size:           8
        .value_kind:     global_buffer
      - .actual_access:  read_only
        .address_space:  global
        .offset:         96
        .size:           8
        .value_kind:     global_buffer
      - .actual_access:  read_only
        .address_space:  global
        .offset:         104
        .size:           8
        .value_kind:     global_buffer
      - .actual_access:  read_only
        .address_space:  global
        .offset:         112
        .size:           8
        .value_kind:     global_buffer
      - .actual_access:  read_only
        .address_space:  global
        .offset:         120
        .size:           8
        .value_kind:     global_buffer
      - .actual_access:  write_only
        .address_space:  global
        .offset:         128
        .size:           8
        .value_kind:     global_buffer
      - .offset:         136
        .size:           4
        .value_kind:     by_value
      - .offset:         140
        .size:           4
        .value_kind:     by_value
      - .offset:         144
        .size:           4
        .value_kind:     by_value
      - .offset:         148
        .size:           4
        .value_kind:     by_value
      - .offset:         152
        .size:           1
        .value_kind:     by_value
      - .offset:         153
        .size:           1
        .value_kind:     by_value
      - .offset:         154
        .size:           1
        .value_kind:     by_value
    .group_segment_fixed_size: 0
    .kernarg_segment_align: 8
    .kernarg_segment_size: 156
    .language:       OpenCL C
    .language_version:
      - 2
      - 0
    .max_flat_workgroup_size: 128
    .name:           _ZN9rocsparseL41csrgemm_numeric_fill_block_per_row_kernelILj128ELj16ELj256ELj137ELj64Ell21rocsparse_complex_numIfEEEvT5_PKS3_S5_NS_24const_host_device_scalarIT6_EEPKT4_S5_PKS7_SB_S5_SD_S8_SB_S5_SD_SB_S5_PS7_21rocsparse_index_base_SF_SF_SF_bbb
    .private_segment_fixed_size: 0
    .sgpr_count:     68
    .sgpr_spill_count: 0
    .symbol:         _ZN9rocsparseL41csrgemm_numeric_fill_block_per_row_kernelILj128ELj16ELj256ELj137ELj64Ell21rocsparse_complex_numIfEEEvT5_PKS3_S5_NS_24const_host_device_scalarIT6_EEPKT4_S5_PKS7_SB_S5_SD_S8_SB_S5_SD_SB_S5_PS7_21rocsparse_index_base_SF_SF_SF_bbb.kd
    .uniform_work_group_size: 1
    .uses_dynamic_stack: false
    .vgpr_count:     40
    .vgpr_spill_count: 0
    .wavefront_size: 64
  - .agpr_count:     0
    .args:
      - .offset:         0
        .size:           8
        .value_kind:     by_value
      - .actual_access:  read_only
        .address_space:  global
        .offset:         8
        .size:           8
        .value_kind:     global_buffer
      - .actual_access:  read_only
        .address_space:  global
        .offset:         16
        .size:           8
        .value_kind:     global_buffer
      - .offset:         24
        .size:           8
        .value_kind:     by_value
      - .actual_access:  read_only
        .address_space:  global
        .offset:         32
        .size:           8
        .value_kind:     global_buffer
      - .actual_access:  read_only
        .address_space:  global
        .offset:         40
        .size:           8
        .value_kind:     global_buffer
      - .actual_access:  read_only
        .address_space:  global
        .offset:         48
        .size:           8
        .value_kind:     global_buffer
      - .actual_access:  read_only
        .address_space:  global
        .offset:         56
        .size:           8
        .value_kind:     global_buffer
      - .actual_access:  read_only
        .address_space:  global
        .offset:         64
        .size:           8
        .value_kind:     global_buffer
      - .actual_access:  read_only
        .address_space:  global
        .offset:         72
        .size:           8
        .value_kind:     global_buffer
      - .offset:         80
        .size:           8
        .value_kind:     by_value
      - .actual_access:  read_only
        .address_space:  global
        .offset:         88
        .size:           8
        .value_kind:     global_buffer
      - .actual_access:  read_only
        .address_space:  global
        .offset:         96
        .size:           8
        .value_kind:     global_buffer
      - .actual_access:  read_only
        .address_space:  global
        .offset:         104
        .size:           8
        .value_kind:     global_buffer
      - .actual_access:  read_only
        .address_space:  global
        .offset:         112
        .size:           8
        .value_kind:     global_buffer
      - .actual_access:  read_only
        .address_space:  global
        .offset:         120
        .size:           8
        .value_kind:     global_buffer
      - .actual_access:  write_only
        .address_space:  global
        .offset:         128
        .size:           8
        .value_kind:     global_buffer
      - .offset:         136
        .size:           4
        .value_kind:     by_value
      - .offset:         140
        .size:           4
        .value_kind:     by_value
      - .offset:         144
        .size:           4
        .value_kind:     by_value
      - .offset:         148
        .size:           4
        .value_kind:     by_value
      - .offset:         152
        .size:           1
        .value_kind:     by_value
      - .offset:         153
        .size:           1
        .value_kind:     by_value
      - .offset:         154
        .size:           1
        .value_kind:     by_value
    .group_segment_fixed_size: 0
    .kernarg_segment_align: 8
    .kernarg_segment_size: 156
    .language:       OpenCL C
    .language_version:
      - 2
      - 0
    .max_flat_workgroup_size: 256
    .name:           _ZN9rocsparseL41csrgemm_numeric_fill_block_per_row_kernelILj256ELj32ELj512ELj137ELj32Ell21rocsparse_complex_numIfEEEvT5_PKS3_S5_NS_24const_host_device_scalarIT6_EEPKT4_S5_PKS7_SB_S5_SD_S8_SB_S5_SD_SB_S5_PS7_21rocsparse_index_base_SF_SF_SF_bbb
    .private_segment_fixed_size: 0
    .sgpr_count:     68
    .sgpr_spill_count: 0
    .symbol:         _ZN9rocsparseL41csrgemm_numeric_fill_block_per_row_kernelILj256ELj32ELj512ELj137ELj32Ell21rocsparse_complex_numIfEEEvT5_PKS3_S5_NS_24const_host_device_scalarIT6_EEPKT4_S5_PKS7_SB_S5_SD_S8_SB_S5_SD_SB_S5_PS7_21rocsparse_index_base_SF_SF_SF_bbb.kd
    .uniform_work_group_size: 1
    .uses_dynamic_stack: false
    .vgpr_count:     40
    .vgpr_spill_count: 0
    .wavefront_size: 64
  - .agpr_count:     0
    .args:
      - .offset:         0
        .size:           8
        .value_kind:     by_value
      - .actual_access:  read_only
        .address_space:  global
        .offset:         8
        .size:           8
        .value_kind:     global_buffer
      - .actual_access:  read_only
        .address_space:  global
        .offset:         16
        .size:           8
        .value_kind:     global_buffer
      - .offset:         24
        .size:           8
        .value_kind:     by_value
      - .actual_access:  read_only
        .address_space:  global
        .offset:         32
        .size:           8
        .value_kind:     global_buffer
      - .actual_access:  read_only
        .address_space:  global
        .offset:         40
        .size:           8
        .value_kind:     global_buffer
      - .actual_access:  read_only
        .address_space:  global
        .offset:         48
        .size:           8
        .value_kind:     global_buffer
      - .actual_access:  read_only
        .address_space:  global
        .offset:         56
        .size:           8
        .value_kind:     global_buffer
      - .actual_access:  read_only
        .address_space:  global
        .offset:         64
        .size:           8
        .value_kind:     global_buffer
      - .actual_access:  read_only
        .address_space:  global
        .offset:         72
        .size:           8
        .value_kind:     global_buffer
      - .offset:         80
        .size:           8
        .value_kind:     by_value
      - .actual_access:  read_only
        .address_space:  global
        .offset:         88
        .size:           8
        .value_kind:     global_buffer
      - .actual_access:  read_only
        .address_space:  global
        .offset:         96
        .size:           8
        .value_kind:     global_buffer
      - .actual_access:  read_only
        .address_space:  global
        .offset:         104
        .size:           8
        .value_kind:     global_buffer
      - .actual_access:  read_only
        .address_space:  global
        .offset:         112
        .size:           8
        .value_kind:     global_buffer
      - .actual_access:  read_only
        .address_space:  global
        .offset:         120
        .size:           8
        .value_kind:     global_buffer
      - .actual_access:  write_only
        .address_space:  global
        .offset:         128
        .size:           8
        .value_kind:     global_buffer
      - .offset:         136
        .size:           4
        .value_kind:     by_value
      - .offset:         140
        .size:           4
        .value_kind:     by_value
      - .offset:         144
        .size:           4
        .value_kind:     by_value
      - .offset:         148
        .size:           4
        .value_kind:     by_value
      - .offset:         152
        .size:           1
        .value_kind:     by_value
      - .offset:         153
        .size:           1
        .value_kind:     by_value
      - .offset:         154
        .size:           1
        .value_kind:     by_value
    .group_segment_fixed_size: 0
    .kernarg_segment_align: 8
    .kernarg_segment_size: 156
    .language:       OpenCL C
    .language_version:
      - 2
      - 0
    .max_flat_workgroup_size: 256
    .name:           _ZN9rocsparseL41csrgemm_numeric_fill_block_per_row_kernelILj256ELj32ELj512ELj137ELj64Ell21rocsparse_complex_numIfEEEvT5_PKS3_S5_NS_24const_host_device_scalarIT6_EEPKT4_S5_PKS7_SB_S5_SD_S8_SB_S5_SD_SB_S5_PS7_21rocsparse_index_base_SF_SF_SF_bbb
    .private_segment_fixed_size: 0
    .sgpr_count:     68
    .sgpr_spill_count: 0
    .symbol:         _ZN9rocsparseL41csrgemm_numeric_fill_block_per_row_kernelILj256ELj32ELj512ELj137ELj64Ell21rocsparse_complex_numIfEEEvT5_PKS3_S5_NS_24const_host_device_scalarIT6_EEPKT4_S5_PKS7_SB_S5_SD_S8_SB_S5_SD_SB_S5_PS7_21rocsparse_index_base_SF_SF_SF_bbb.kd
    .uniform_work_group_size: 1
    .uses_dynamic_stack: false
    .vgpr_count:     40
    .vgpr_spill_count: 0
    .wavefront_size: 64
  - .agpr_count:     0
    .args:
      - .offset:         0
        .size:           8
        .value_kind:     by_value
      - .actual_access:  read_only
        .address_space:  global
        .offset:         8
        .size:           8
        .value_kind:     global_buffer
      - .actual_access:  read_only
        .address_space:  global
        .offset:         16
        .size:           8
        .value_kind:     global_buffer
      - .offset:         24
        .size:           8
        .value_kind:     by_value
      - .actual_access:  read_only
        .address_space:  global
        .offset:         32
        .size:           8
        .value_kind:     global_buffer
      - .actual_access:  read_only
        .address_space:  global
        .offset:         40
        .size:           8
        .value_kind:     global_buffer
      - .actual_access:  read_only
        .address_space:  global
        .offset:         48
        .size:           8
        .value_kind:     global_buffer
      - .actual_access:  read_only
        .address_space:  global
        .offset:         56
        .size:           8
        .value_kind:     global_buffer
      - .actual_access:  read_only
        .address_space:  global
        .offset:         64
        .size:           8
        .value_kind:     global_buffer
      - .actual_access:  read_only
        .address_space:  global
        .offset:         72
        .size:           8
        .value_kind:     global_buffer
      - .offset:         80
        .size:           8
        .value_kind:     by_value
      - .actual_access:  read_only
        .address_space:  global
        .offset:         88
        .size:           8
        .value_kind:     global_buffer
      - .actual_access:  read_only
        .address_space:  global
        .offset:         96
        .size:           8
        .value_kind:     global_buffer
      - .actual_access:  read_only
        .address_space:  global
        .offset:         104
        .size:           8
        .value_kind:     global_buffer
      - .actual_access:  read_only
        .address_space:  global
        .offset:         112
        .size:           8
        .value_kind:     global_buffer
      - .actual_access:  read_only
        .address_space:  global
        .offset:         120
        .size:           8
        .value_kind:     global_buffer
      - .actual_access:  write_only
        .address_space:  global
        .offset:         128
        .size:           8
        .value_kind:     global_buffer
      - .offset:         136
        .size:           4
        .value_kind:     by_value
      - .offset:         140
        .size:           4
        .value_kind:     by_value
      - .offset:         144
        .size:           4
        .value_kind:     by_value
      - .offset:         148
        .size:           4
        .value_kind:     by_value
      - .offset:         152
        .size:           1
        .value_kind:     by_value
      - .offset:         153
        .size:           1
        .value_kind:     by_value
      - .offset:         154
        .size:           1
        .value_kind:     by_value
    .group_segment_fixed_size: 0
    .kernarg_segment_align: 8
    .kernarg_segment_size: 156
    .language:       OpenCL C
    .language_version:
      - 2
      - 0
    .max_flat_workgroup_size: 512
    .name:           _ZN9rocsparseL41csrgemm_numeric_fill_block_per_row_kernelILj512ELj32ELj1024ELj137ELj32Ell21rocsparse_complex_numIfEEEvT5_PKS3_S5_NS_24const_host_device_scalarIT6_EEPKT4_S5_PKS7_SB_S5_SD_S8_SB_S5_SD_SB_S5_PS7_21rocsparse_index_base_SF_SF_SF_bbb
    .private_segment_fixed_size: 0
    .sgpr_count:     66
    .sgpr_spill_count: 0
    .symbol:         _ZN9rocsparseL41csrgemm_numeric_fill_block_per_row_kernelILj512ELj32ELj1024ELj137ELj32Ell21rocsparse_complex_numIfEEEvT5_PKS3_S5_NS_24const_host_device_scalarIT6_EEPKT4_S5_PKS7_SB_S5_SD_S8_SB_S5_SD_SB_S5_PS7_21rocsparse_index_base_SF_SF_SF_bbb.kd
    .uniform_work_group_size: 1
    .uses_dynamic_stack: false
    .vgpr_count:     40
    .vgpr_spill_count: 0
    .wavefront_size: 64
  - .agpr_count:     0
    .args:
      - .offset:         0
        .size:           8
        .value_kind:     by_value
      - .actual_access:  read_only
        .address_space:  global
        .offset:         8
        .size:           8
        .value_kind:     global_buffer
      - .actual_access:  read_only
        .address_space:  global
        .offset:         16
        .size:           8
        .value_kind:     global_buffer
      - .offset:         24
        .size:           8
        .value_kind:     by_value
      - .actual_access:  read_only
        .address_space:  global
        .offset:         32
        .size:           8
        .value_kind:     global_buffer
      - .actual_access:  read_only
        .address_space:  global
        .offset:         40
        .size:           8
        .value_kind:     global_buffer
      - .actual_access:  read_only
        .address_space:  global
        .offset:         48
        .size:           8
        .value_kind:     global_buffer
      - .actual_access:  read_only
        .address_space:  global
        .offset:         56
        .size:           8
        .value_kind:     global_buffer
      - .actual_access:  read_only
        .address_space:  global
        .offset:         64
        .size:           8
        .value_kind:     global_buffer
      - .actual_access:  read_only
        .address_space:  global
        .offset:         72
        .size:           8
        .value_kind:     global_buffer
      - .offset:         80
        .size:           8
        .value_kind:     by_value
      - .actual_access:  read_only
        .address_space:  global
        .offset:         88
        .size:           8
        .value_kind:     global_buffer
      - .actual_access:  read_only
        .address_space:  global
        .offset:         96
        .size:           8
        .value_kind:     global_buffer
      - .actual_access:  read_only
        .address_space:  global
        .offset:         104
        .size:           8
        .value_kind:     global_buffer
      - .actual_access:  read_only
        .address_space:  global
        .offset:         112
        .size:           8
        .value_kind:     global_buffer
      - .actual_access:  read_only
        .address_space:  global
        .offset:         120
        .size:           8
        .value_kind:     global_buffer
      - .actual_access:  write_only
        .address_space:  global
        .offset:         128
        .size:           8
        .value_kind:     global_buffer
      - .offset:         136
        .size:           4
        .value_kind:     by_value
      - .offset:         140
        .size:           4
        .value_kind:     by_value
      - .offset:         144
        .size:           4
        .value_kind:     by_value
      - .offset:         148
        .size:           4
        .value_kind:     by_value
      - .offset:         152
        .size:           1
        .value_kind:     by_value
      - .offset:         153
        .size:           1
        .value_kind:     by_value
      - .offset:         154
        .size:           1
        .value_kind:     by_value
    .group_segment_fixed_size: 0
    .kernarg_segment_align: 8
    .kernarg_segment_size: 156
    .language:       OpenCL C
    .language_version:
      - 2
      - 0
    .max_flat_workgroup_size: 512
    .name:           _ZN9rocsparseL41csrgemm_numeric_fill_block_per_row_kernelILj512ELj32ELj1024ELj137ELj64Ell21rocsparse_complex_numIfEEEvT5_PKS3_S5_NS_24const_host_device_scalarIT6_EEPKT4_S5_PKS7_SB_S5_SD_S8_SB_S5_SD_SB_S5_PS7_21rocsparse_index_base_SF_SF_SF_bbb
    .private_segment_fixed_size: 0
    .sgpr_count:     66
    .sgpr_spill_count: 0
    .symbol:         _ZN9rocsparseL41csrgemm_numeric_fill_block_per_row_kernelILj512ELj32ELj1024ELj137ELj64Ell21rocsparse_complex_numIfEEEvT5_PKS3_S5_NS_24const_host_device_scalarIT6_EEPKT4_S5_PKS7_SB_S5_SD_S8_SB_S5_SD_SB_S5_PS7_21rocsparse_index_base_SF_SF_SF_bbb.kd
    .uniform_work_group_size: 1
    .uses_dynamic_stack: false
    .vgpr_count:     40
    .vgpr_spill_count: 0
    .wavefront_size: 64
  - .agpr_count:     0
    .args:
      - .offset:         0
        .size:           8
        .value_kind:     by_value
      - .actual_access:  read_only
        .address_space:  global
        .offset:         8
        .size:           8
        .value_kind:     global_buffer
      - .actual_access:  read_only
        .address_space:  global
        .offset:         16
        .size:           8
        .value_kind:     global_buffer
      - .offset:         24
        .size:           8
        .value_kind:     by_value
      - .actual_access:  read_only
        .address_space:  global
        .offset:         32
        .size:           8
        .value_kind:     global_buffer
      - .actual_access:  read_only
        .address_space:  global
        .offset:         40
        .size:           8
        .value_kind:     global_buffer
      - .actual_access:  read_only
        .address_space:  global
        .offset:         48
        .size:           8
        .value_kind:     global_buffer
      - .actual_access:  read_only
        .address_space:  global
        .offset:         56
        .size:           8
        .value_kind:     global_buffer
      - .actual_access:  read_only
        .address_space:  global
        .offset:         64
        .size:           8
        .value_kind:     global_buffer
      - .actual_access:  read_only
        .address_space:  global
        .offset:         72
        .size:           8
        .value_kind:     global_buffer
      - .offset:         80
        .size:           8
        .value_kind:     by_value
      - .actual_access:  read_only
        .address_space:  global
        .offset:         88
        .size:           8
        .value_kind:     global_buffer
      - .actual_access:  read_only
        .address_space:  global
        .offset:         96
        .size:           8
        .value_kind:     global_buffer
      - .actual_access:  read_only
        .address_space:  global
        .offset:         104
        .size:           8
        .value_kind:     global_buffer
      - .actual_access:  read_only
        .address_space:  global
        .offset:         112
        .size:           8
        .value_kind:     global_buffer
      - .actual_access:  read_only
        .address_space:  global
        .offset:         120
        .size:           8
        .value_kind:     global_buffer
      - .actual_access:  write_only
        .address_space:  global
        .offset:         128
        .size:           8
        .value_kind:     global_buffer
      - .offset:         136
        .size:           4
        .value_kind:     by_value
      - .offset:         140
        .size:           4
        .value_kind:     by_value
      - .offset:         144
        .size:           4
        .value_kind:     by_value
      - .offset:         148
        .size:           4
        .value_kind:     by_value
      - .offset:         152
        .size:           1
        .value_kind:     by_value
      - .offset:         153
        .size:           1
        .value_kind:     by_value
      - .offset:         154
        .size:           1
        .value_kind:     by_value
    .group_segment_fixed_size: 0
    .kernarg_segment_align: 8
    .kernarg_segment_size: 156
    .language:       OpenCL C
    .language_version:
      - 2
      - 0
    .max_flat_workgroup_size: 1024
    .name:           _ZN9rocsparseL41csrgemm_numeric_fill_block_per_row_kernelILj1024ELj32ELj2048ELj137ELj32Ell21rocsparse_complex_numIfEEEvT5_PKS3_S5_NS_24const_host_device_scalarIT6_EEPKT4_S5_PKS7_SB_S5_SD_S8_SB_S5_SD_SB_S5_PS7_21rocsparse_index_base_SF_SF_SF_bbb
    .private_segment_fixed_size: 0
    .sgpr_count:     86
    .sgpr_spill_count: 0
    .symbol:         _ZN9rocsparseL41csrgemm_numeric_fill_block_per_row_kernelILj1024ELj32ELj2048ELj137ELj32Ell21rocsparse_complex_numIfEEEvT5_PKS3_S5_NS_24const_host_device_scalarIT6_EEPKT4_S5_PKS7_SB_S5_SD_S8_SB_S5_SD_SB_S5_PS7_21rocsparse_index_base_SF_SF_SF_bbb.kd
    .uniform_work_group_size: 1
    .uses_dynamic_stack: false
    .vgpr_count:     40
    .vgpr_spill_count: 0
    .wavefront_size: 64
  - .agpr_count:     0
    .args:
      - .offset:         0
        .size:           8
        .value_kind:     by_value
      - .actual_access:  read_only
        .address_space:  global
        .offset:         8
        .size:           8
        .value_kind:     global_buffer
      - .actual_access:  read_only
        .address_space:  global
        .offset:         16
        .size:           8
        .value_kind:     global_buffer
      - .offset:         24
        .size:           8
        .value_kind:     by_value
      - .actual_access:  read_only
        .address_space:  global
        .offset:         32
        .size:           8
        .value_kind:     global_buffer
      - .actual_access:  read_only
        .address_space:  global
        .offset:         40
        .size:           8
        .value_kind:     global_buffer
      - .actual_access:  read_only
        .address_space:  global
        .offset:         48
        .size:           8
        .value_kind:     global_buffer
      - .actual_access:  read_only
        .address_space:  global
        .offset:         56
        .size:           8
        .value_kind:     global_buffer
      - .actual_access:  read_only
        .address_space:  global
        .offset:         64
        .size:           8
        .value_kind:     global_buffer
      - .actual_access:  read_only
        .address_space:  global
        .offset:         72
        .size:           8
        .value_kind:     global_buffer
      - .offset:         80
        .size:           8
        .value_kind:     by_value
      - .actual_access:  read_only
        .address_space:  global
        .offset:         88
        .size:           8
        .value_kind:     global_buffer
      - .actual_access:  read_only
        .address_space:  global
        .offset:         96
        .size:           8
        .value_kind:     global_buffer
      - .actual_access:  read_only
        .address_space:  global
        .offset:         104
        .size:           8
        .value_kind:     global_buffer
      - .actual_access:  read_only
        .address_space:  global
        .offset:         112
        .size:           8
        .value_kind:     global_buffer
      - .actual_access:  read_only
        .address_space:  global
        .offset:         120
        .size:           8
        .value_kind:     global_buffer
      - .actual_access:  write_only
        .address_space:  global
        .offset:         128
        .size:           8
        .value_kind:     global_buffer
      - .offset:         136
        .size:           4
        .value_kind:     by_value
      - .offset:         140
        .size:           4
        .value_kind:     by_value
      - .offset:         144
        .size:           4
        .value_kind:     by_value
      - .offset:         148
        .size:           4
        .value_kind:     by_value
      - .offset:         152
        .size:           1
        .value_kind:     by_value
      - .offset:         153
        .size:           1
        .value_kind:     by_value
      - .offset:         154
        .size:           1
        .value_kind:     by_value
    .group_segment_fixed_size: 0
    .kernarg_segment_align: 8
    .kernarg_segment_size: 156
    .language:       OpenCL C
    .language_version:
      - 2
      - 0
    .max_flat_workgroup_size: 1024
    .name:           _ZN9rocsparseL41csrgemm_numeric_fill_block_per_row_kernelILj1024ELj32ELj2048ELj137ELj64Ell21rocsparse_complex_numIfEEEvT5_PKS3_S5_NS_24const_host_device_scalarIT6_EEPKT4_S5_PKS7_SB_S5_SD_S8_SB_S5_SD_SB_S5_PS7_21rocsparse_index_base_SF_SF_SF_bbb
    .private_segment_fixed_size: 0
    .sgpr_count:     66
    .sgpr_spill_count: 0
    .symbol:         _ZN9rocsparseL41csrgemm_numeric_fill_block_per_row_kernelILj1024ELj32ELj2048ELj137ELj64Ell21rocsparse_complex_numIfEEEvT5_PKS3_S5_NS_24const_host_device_scalarIT6_EEPKT4_S5_PKS7_SB_S5_SD_S8_SB_S5_SD_SB_S5_PS7_21rocsparse_index_base_SF_SF_SF_bbb.kd
    .uniform_work_group_size: 1
    .uses_dynamic_stack: false
    .vgpr_count:     40
    .vgpr_spill_count: 0
    .wavefront_size: 64
  - .agpr_count:     0
    .args:
      - .offset:         0
        .size:           8
        .value_kind:     by_value
      - .actual_access:  read_only
        .address_space:  global
        .offset:         8
        .size:           8
        .value_kind:     global_buffer
      - .actual_access:  read_only
        .address_space:  global
        .offset:         16
        .size:           8
        .value_kind:     global_buffer
      - .offset:         24
        .size:           8
        .value_kind:     by_value
      - .actual_access:  read_only
        .address_space:  global
        .offset:         32
        .size:           8
        .value_kind:     global_buffer
      - .actual_access:  read_only
        .address_space:  global
        .offset:         40
        .size:           8
        .value_kind:     global_buffer
      - .actual_access:  read_only
        .address_space:  global
        .offset:         48
        .size:           8
        .value_kind:     global_buffer
      - .actual_access:  read_only
        .address_space:  global
        .offset:         56
        .size:           8
        .value_kind:     global_buffer
      - .actual_access:  read_only
        .address_space:  global
        .offset:         64
        .size:           8
        .value_kind:     global_buffer
      - .actual_access:  read_only
        .address_space:  global
        .offset:         72
        .size:           8
        .value_kind:     global_buffer
      - .offset:         80
        .size:           8
        .value_kind:     by_value
      - .actual_access:  read_only
        .address_space:  global
        .offset:         88
        .size:           8
        .value_kind:     global_buffer
      - .actual_access:  read_only
        .address_space:  global
        .offset:         96
        .size:           8
        .value_kind:     global_buffer
      - .actual_access:  read_only
        .address_space:  global
        .offset:         104
        .size:           8
        .value_kind:     global_buffer
      - .actual_access:  read_only
        .address_space:  global
        .offset:         112
        .size:           8
        .value_kind:     global_buffer
      - .actual_access:  read_only
        .address_space:  global
        .offset:         120
        .size:           8
        .value_kind:     global_buffer
      - .actual_access:  write_only
        .address_space:  global
        .offset:         128
        .size:           8
        .value_kind:     global_buffer
      - .offset:         136
        .size:           4
        .value_kind:     by_value
      - .offset:         140
        .size:           4
        .value_kind:     by_value
      - .offset:         144
        .size:           4
        .value_kind:     by_value
      - .offset:         148
        .size:           4
        .value_kind:     by_value
      - .offset:         152
        .size:           1
        .value_kind:     by_value
      - .offset:         153
        .size:           1
        .value_kind:     by_value
      - .offset:         154
        .size:           1
        .value_kind:     by_value
    .group_segment_fixed_size: 0
    .kernarg_segment_align: 8
    .kernarg_segment_size: 156
    .language:       OpenCL C
    .language_version:
      - 2
      - 0
    .max_flat_workgroup_size: 1024
    .name:           _ZN9rocsparseL41csrgemm_numeric_fill_block_per_row_kernelILj1024ELj64ELj4096ELj137ELj32Ell21rocsparse_complex_numIfEEEvT5_PKS3_S5_NS_24const_host_device_scalarIT6_EEPKT4_S5_PKS7_SB_S5_SD_S8_SB_S5_SD_SB_S5_PS7_21rocsparse_index_base_SF_SF_SF_bbb
    .private_segment_fixed_size: 0
    .sgpr_count:     106
    .sgpr_spill_count: 15
    .symbol:         _ZN9rocsparseL41csrgemm_numeric_fill_block_per_row_kernelILj1024ELj64ELj4096ELj137ELj32Ell21rocsparse_complex_numIfEEEvT5_PKS3_S5_NS_24const_host_device_scalarIT6_EEPKT4_S5_PKS7_SB_S5_SD_S8_SB_S5_SD_SB_S5_PS7_21rocsparse_index_base_SF_SF_SF_bbb.kd
    .uniform_work_group_size: 1
    .uses_dynamic_stack: false
    .vgpr_count:     41
    .vgpr_spill_count: 0
    .wavefront_size: 64
  - .agpr_count:     0
    .args:
      - .offset:         0
        .size:           8
        .value_kind:     by_value
      - .actual_access:  read_only
        .address_space:  global
        .offset:         8
        .size:           8
        .value_kind:     global_buffer
      - .actual_access:  read_only
        .address_space:  global
        .offset:         16
        .size:           8
        .value_kind:     global_buffer
      - .offset:         24
        .size:           8
        .value_kind:     by_value
      - .actual_access:  read_only
        .address_space:  global
        .offset:         32
        .size:           8
        .value_kind:     global_buffer
      - .actual_access:  read_only
        .address_space:  global
        .offset:         40
        .size:           8
        .value_kind:     global_buffer
      - .actual_access:  read_only
        .address_space:  global
        .offset:         48
        .size:           8
        .value_kind:     global_buffer
      - .actual_access:  read_only
        .address_space:  global
        .offset:         56
        .size:           8
        .value_kind:     global_buffer
      - .actual_access:  read_only
        .address_space:  global
        .offset:         64
        .size:           8
        .value_kind:     global_buffer
      - .actual_access:  read_only
        .address_space:  global
        .offset:         72
        .size:           8
        .value_kind:     global_buffer
      - .offset:         80
        .size:           8
        .value_kind:     by_value
      - .actual_access:  read_only
        .address_space:  global
        .offset:         88
        .size:           8
        .value_kind:     global_buffer
      - .actual_access:  read_only
        .address_space:  global
        .offset:         96
        .size:           8
        .value_kind:     global_buffer
      - .actual_access:  read_only
        .address_space:  global
        .offset:         104
        .size:           8
        .value_kind:     global_buffer
      - .actual_access:  read_only
        .address_space:  global
        .offset:         112
        .size:           8
        .value_kind:     global_buffer
      - .actual_access:  read_only
        .address_space:  global
        .offset:         120
        .size:           8
        .value_kind:     global_buffer
      - .actual_access:  write_only
        .address_space:  global
        .offset:         128
        .size:           8
        .value_kind:     global_buffer
      - .offset:         136
        .size:           4
        .value_kind:     by_value
      - .offset:         140
        .size:           4
        .value_kind:     by_value
      - .offset:         144
        .size:           4
        .value_kind:     by_value
      - .offset:         148
        .size:           4
        .value_kind:     by_value
      - .offset:         152
        .size:           1
        .value_kind:     by_value
      - .offset:         153
        .size:           1
        .value_kind:     by_value
      - .offset:         154
        .size:           1
        .value_kind:     by_value
    .group_segment_fixed_size: 0
    .kernarg_segment_align: 8
    .kernarg_segment_size: 156
    .language:       OpenCL C
    .language_version:
      - 2
      - 0
    .max_flat_workgroup_size: 1024
    .name:           _ZN9rocsparseL41csrgemm_numeric_fill_block_per_row_kernelILj1024ELj64ELj4096ELj137ELj64Ell21rocsparse_complex_numIfEEEvT5_PKS3_S5_NS_24const_host_device_scalarIT6_EEPKT4_S5_PKS7_SB_S5_SD_S8_SB_S5_SD_SB_S5_PS7_21rocsparse_index_base_SF_SF_SF_bbb
    .private_segment_fixed_size: 0
    .sgpr_count:     69
    .sgpr_spill_count: 0
    .symbol:         _ZN9rocsparseL41csrgemm_numeric_fill_block_per_row_kernelILj1024ELj64ELj4096ELj137ELj64Ell21rocsparse_complex_numIfEEEvT5_PKS3_S5_NS_24const_host_device_scalarIT6_EEPKT4_S5_PKS7_SB_S5_SD_S8_SB_S5_SD_SB_S5_PS7_21rocsparse_index_base_SF_SF_SF_bbb.kd
    .uniform_work_group_size: 1
    .uses_dynamic_stack: false
    .vgpr_count:     40
    .vgpr_spill_count: 0
    .wavefront_size: 64
  - .agpr_count:     0
    .args:
      - .offset:         0
        .size:           8
        .value_kind:     by_value
      - .actual_access:  read_only
        .address_space:  global
        .offset:         8
        .size:           8
        .value_kind:     global_buffer
      - .actual_access:  read_only
        .address_space:  global
        .offset:         16
        .size:           8
        .value_kind:     global_buffer
      - .offset:         24
        .size:           8
        .value_kind:     by_value
      - .actual_access:  read_only
        .address_space:  global
        .offset:         32
        .size:           8
        .value_kind:     global_buffer
      - .actual_access:  read_only
        .address_space:  global
        .offset:         40
        .size:           8
        .value_kind:     global_buffer
      - .actual_access:  read_only
        .address_space:  global
        .offset:         48
        .size:           8
        .value_kind:     global_buffer
      - .actual_access:  read_only
        .address_space:  global
        .offset:         56
        .size:           8
        .value_kind:     global_buffer
      - .actual_access:  read_only
        .address_space:  global
        .offset:         64
        .size:           8
        .value_kind:     global_buffer
      - .actual_access:  read_only
        .address_space:  global
        .offset:         72
        .size:           8
        .value_kind:     global_buffer
      - .offset:         80
        .size:           8
        .value_kind:     by_value
      - .actual_access:  read_only
        .address_space:  global
        .offset:         88
        .size:           8
        .value_kind:     global_buffer
      - .actual_access:  read_only
        .address_space:  global
        .offset:         96
        .size:           8
        .value_kind:     global_buffer
      - .actual_access:  read_only
        .address_space:  global
        .offset:         104
        .size:           8
        .value_kind:     global_buffer
      - .actual_access:  read_only
        .address_space:  global
        .offset:         112
        .size:           8
        .value_kind:     global_buffer
      - .actual_access:  read_only
        .address_space:  global
        .offset:         120
        .size:           8
        .value_kind:     global_buffer
      - .actual_access:  write_only
        .address_space:  global
        .offset:         128
        .size:           8
        .value_kind:     global_buffer
      - .offset:         136
        .size:           4
        .value_kind:     by_value
      - .offset:         140
        .size:           4
        .value_kind:     by_value
      - .offset:         144
        .size:           4
        .value_kind:     by_value
      - .offset:         148
        .size:           4
        .value_kind:     by_value
      - .offset:         152
        .size:           1
        .value_kind:     by_value
      - .offset:         153
        .size:           1
        .value_kind:     by_value
      - .offset:         154
        .size:           1
        .value_kind:     by_value
    .group_segment_fixed_size: 0
    .kernarg_segment_align: 8
    .kernarg_segment_size: 156
    .language:       OpenCL C
    .language_version:
      - 2
      - 0
    .max_flat_workgroup_size: 1024
    .name:           _ZN9rocsparseL41csrgemm_numeric_fill_block_per_row_kernelILj1024ELj64ELj8192ELj137ELj32Ell21rocsparse_complex_numIfEEEvT5_PKS3_S5_NS_24const_host_device_scalarIT6_EEPKT4_S5_PKS7_SB_S5_SD_S8_SB_S5_SD_SB_S5_PS7_21rocsparse_index_base_SF_SF_SF_bbb
    .private_segment_fixed_size: 0
    .sgpr_count:     106
    .sgpr_spill_count: 15
    .symbol:         _ZN9rocsparseL41csrgemm_numeric_fill_block_per_row_kernelILj1024ELj64ELj8192ELj137ELj32Ell21rocsparse_complex_numIfEEEvT5_PKS3_S5_NS_24const_host_device_scalarIT6_EEPKT4_S5_PKS7_SB_S5_SD_S8_SB_S5_SD_SB_S5_PS7_21rocsparse_index_base_SF_SF_SF_bbb.kd
    .uniform_work_group_size: 1
    .uses_dynamic_stack: false
    .vgpr_count:     41
    .vgpr_spill_count: 0
    .wavefront_size: 64
  - .agpr_count:     0
    .args:
      - .offset:         0
        .size:           8
        .value_kind:     by_value
      - .actual_access:  read_only
        .address_space:  global
        .offset:         8
        .size:           8
        .value_kind:     global_buffer
      - .actual_access:  read_only
        .address_space:  global
        .offset:         16
        .size:           8
        .value_kind:     global_buffer
      - .offset:         24
        .size:           8
        .value_kind:     by_value
      - .actual_access:  read_only
        .address_space:  global
        .offset:         32
        .size:           8
        .value_kind:     global_buffer
      - .actual_access:  read_only
        .address_space:  global
        .offset:         40
        .size:           8
        .value_kind:     global_buffer
      - .actual_access:  read_only
        .address_space:  global
        .offset:         48
        .size:           8
        .value_kind:     global_buffer
      - .actual_access:  read_only
        .address_space:  global
        .offset:         56
        .size:           8
        .value_kind:     global_buffer
      - .actual_access:  read_only
        .address_space:  global
        .offset:         64
        .size:           8
        .value_kind:     global_buffer
      - .actual_access:  read_only
        .address_space:  global
        .offset:         72
        .size:           8
        .value_kind:     global_buffer
      - .offset:         80
        .size:           8
        .value_kind:     by_value
      - .actual_access:  read_only
        .address_space:  global
        .offset:         88
        .size:           8
        .value_kind:     global_buffer
      - .actual_access:  read_only
        .address_space:  global
        .offset:         96
        .size:           8
        .value_kind:     global_buffer
      - .actual_access:  read_only
        .address_space:  global
        .offset:         104
        .size:           8
        .value_kind:     global_buffer
      - .actual_access:  read_only
        .address_space:  global
        .offset:         112
        .size:           8
        .value_kind:     global_buffer
      - .actual_access:  read_only
        .address_space:  global
        .offset:         120
        .size:           8
        .value_kind:     global_buffer
      - .actual_access:  write_only
        .address_space:  global
        .offset:         128
        .size:           8
        .value_kind:     global_buffer
      - .offset:         136
        .size:           4
        .value_kind:     by_value
      - .offset:         140
        .size:           4
        .value_kind:     by_value
      - .offset:         144
        .size:           4
        .value_kind:     by_value
      - .offset:         148
        .size:           4
        .value_kind:     by_value
      - .offset:         152
        .size:           1
        .value_kind:     by_value
      - .offset:         153
        .size:           1
        .value_kind:     by_value
      - .offset:         154
        .size:           1
        .value_kind:     by_value
    .group_segment_fixed_size: 0
    .kernarg_segment_align: 8
    .kernarg_segment_size: 156
    .language:       OpenCL C
    .language_version:
      - 2
      - 0
    .max_flat_workgroup_size: 1024
    .name:           _ZN9rocsparseL41csrgemm_numeric_fill_block_per_row_kernelILj1024ELj64ELj8192ELj137ELj64Ell21rocsparse_complex_numIfEEEvT5_PKS3_S5_NS_24const_host_device_scalarIT6_EEPKT4_S5_PKS7_SB_S5_SD_S8_SB_S5_SD_SB_S5_PS7_21rocsparse_index_base_SF_SF_SF_bbb
    .private_segment_fixed_size: 0
    .sgpr_count:     69
    .sgpr_spill_count: 0
    .symbol:         _ZN9rocsparseL41csrgemm_numeric_fill_block_per_row_kernelILj1024ELj64ELj8192ELj137ELj64Ell21rocsparse_complex_numIfEEEvT5_PKS3_S5_NS_24const_host_device_scalarIT6_EEPKT4_S5_PKS7_SB_S5_SD_S8_SB_S5_SD_SB_S5_PS7_21rocsparse_index_base_SF_SF_SF_bbb.kd
    .uniform_work_group_size: 1
    .uses_dynamic_stack: false
    .vgpr_count:     40
    .vgpr_spill_count: 0
    .wavefront_size: 64
  - .agpr_count:     0
    .args:
      - .offset:         0
        .size:           8
        .value_kind:     by_value
      - .actual_access:  read_only
        .address_space:  global
        .offset:         8
        .size:           8
        .value_kind:     global_buffer
      - .actual_access:  read_only
        .address_space:  global
        .offset:         16
        .size:           8
        .value_kind:     global_buffer
      - .offset:         24
        .size:           8
        .value_kind:     by_value
      - .actual_access:  read_only
        .address_space:  global
        .offset:         32
        .size:           8
        .value_kind:     global_buffer
      - .actual_access:  read_only
        .address_space:  global
        .offset:         40
        .size:           8
        .value_kind:     global_buffer
      - .actual_access:  read_only
        .address_space:  global
        .offset:         48
        .size:           8
        .value_kind:     global_buffer
      - .actual_access:  read_only
        .address_space:  global
        .offset:         56
        .size:           8
        .value_kind:     global_buffer
      - .actual_access:  read_only
        .address_space:  global
        .offset:         64
        .size:           8
        .value_kind:     global_buffer
      - .actual_access:  read_only
        .address_space:  global
        .offset:         72
        .size:           8
        .value_kind:     global_buffer
      - .offset:         80
        .size:           8
        .value_kind:     by_value
      - .actual_access:  read_only
        .address_space:  global
        .offset:         88
        .size:           8
        .value_kind:     global_buffer
      - .actual_access:  read_only
        .address_space:  global
        .offset:         96
        .size:           8
        .value_kind:     global_buffer
      - .actual_access:  read_only
        .address_space:  global
        .offset:         104
        .size:           8
        .value_kind:     global_buffer
      - .actual_access:  read_only
        .address_space:  global
        .offset:         112
        .size:           8
        .value_kind:     global_buffer
      - .actual_access:  read_only
        .address_space:  global
        .offset:         120
        .size:           8
        .value_kind:     global_buffer
      - .actual_access:  write_only
        .address_space:  global
        .offset:         128
        .size:           8
        .value_kind:     global_buffer
      - .offset:         136
        .size:           4
        .value_kind:     by_value
      - .offset:         140
        .size:           4
        .value_kind:     by_value
      - .offset:         144
        .size:           4
        .value_kind:     by_value
      - .offset:         148
        .size:           4
        .value_kind:     by_value
      - .offset:         152
        .size:           1
        .value_kind:     by_value
      - .offset:         153
        .size:           1
        .value_kind:     by_value
      - .offset:         154
        .size:           1
        .value_kind:     by_value
    .group_segment_fixed_size: 0
    .kernarg_segment_align: 8
    .kernarg_segment_size: 156
    .language:       OpenCL C
    .language_version:
      - 2
      - 0
    .max_flat_workgroup_size: 1024
    .name:           _ZN9rocsparseL41csrgemm_numeric_fill_block_per_row_kernelILj1024ELj64ELj16384ELj137ELj32Ell21rocsparse_complex_numIfEEEvT5_PKS3_S5_NS_24const_host_device_scalarIT6_EEPKT4_S5_PKS7_SB_S5_SD_S8_SB_S5_SD_SB_S5_PS7_21rocsparse_index_base_SF_SF_SF_bbb
    .private_segment_fixed_size: 0
    .sgpr_count:     106
    .sgpr_spill_count: 15
    .symbol:         _ZN9rocsparseL41csrgemm_numeric_fill_block_per_row_kernelILj1024ELj64ELj16384ELj137ELj32Ell21rocsparse_complex_numIfEEEvT5_PKS3_S5_NS_24const_host_device_scalarIT6_EEPKT4_S5_PKS7_SB_S5_SD_S8_SB_S5_SD_SB_S5_PS7_21rocsparse_index_base_SF_SF_SF_bbb.kd
    .uniform_work_group_size: 1
    .uses_dynamic_stack: false
    .vgpr_count:     41
    .vgpr_spill_count: 0
    .wavefront_size: 64
  - .agpr_count:     0
    .args:
      - .offset:         0
        .size:           8
        .value_kind:     by_value
      - .actual_access:  read_only
        .address_space:  global
        .offset:         8
        .size:           8
        .value_kind:     global_buffer
      - .actual_access:  read_only
        .address_space:  global
        .offset:         16
        .size:           8
        .value_kind:     global_buffer
      - .offset:         24
        .size:           8
        .value_kind:     by_value
      - .actual_access:  read_only
        .address_space:  global
        .offset:         32
        .size:           8
        .value_kind:     global_buffer
      - .actual_access:  read_only
        .address_space:  global
        .offset:         40
        .size:           8
        .value_kind:     global_buffer
      - .actual_access:  read_only
        .address_space:  global
        .offset:         48
        .size:           8
        .value_kind:     global_buffer
      - .actual_access:  read_only
        .address_space:  global
        .offset:         56
        .size:           8
        .value_kind:     global_buffer
      - .actual_access:  read_only
        .address_space:  global
        .offset:         64
        .size:           8
        .value_kind:     global_buffer
      - .actual_access:  read_only
        .address_space:  global
        .offset:         72
        .size:           8
        .value_kind:     global_buffer
      - .offset:         80
        .size:           8
        .value_kind:     by_value
      - .actual_access:  read_only
        .address_space:  global
        .offset:         88
        .size:           8
        .value_kind:     global_buffer
      - .actual_access:  read_only
        .address_space:  global
        .offset:         96
        .size:           8
        .value_kind:     global_buffer
      - .actual_access:  read_only
        .address_space:  global
        .offset:         104
        .size:           8
        .value_kind:     global_buffer
      - .actual_access:  read_only
        .address_space:  global
        .offset:         112
        .size:           8
        .value_kind:     global_buffer
      - .actual_access:  read_only
        .address_space:  global
        .offset:         120
        .size:           8
        .value_kind:     global_buffer
      - .actual_access:  write_only
        .address_space:  global
        .offset:         128
        .size:           8
        .value_kind:     global_buffer
      - .offset:         136
        .size:           4
        .value_kind:     by_value
      - .offset:         140
        .size:           4
        .value_kind:     by_value
      - .offset:         144
        .size:           4
        .value_kind:     by_value
      - .offset:         148
        .size:           4
        .value_kind:     by_value
      - .offset:         152
        .size:           1
        .value_kind:     by_value
      - .offset:         153
        .size:           1
        .value_kind:     by_value
      - .offset:         154
        .size:           1
        .value_kind:     by_value
    .group_segment_fixed_size: 0
    .kernarg_segment_align: 8
    .kernarg_segment_size: 156
    .language:       OpenCL C
    .language_version:
      - 2
      - 0
    .max_flat_workgroup_size: 1024
    .name:           _ZN9rocsparseL41csrgemm_numeric_fill_block_per_row_kernelILj1024ELj64ELj16384ELj137ELj64Ell21rocsparse_complex_numIfEEEvT5_PKS3_S5_NS_24const_host_device_scalarIT6_EEPKT4_S5_PKS7_SB_S5_SD_S8_SB_S5_SD_SB_S5_PS7_21rocsparse_index_base_SF_SF_SF_bbb
    .private_segment_fixed_size: 0
    .sgpr_count:     69
    .sgpr_spill_count: 0
    .symbol:         _ZN9rocsparseL41csrgemm_numeric_fill_block_per_row_kernelILj1024ELj64ELj16384ELj137ELj64Ell21rocsparse_complex_numIfEEEvT5_PKS3_S5_NS_24const_host_device_scalarIT6_EEPKT4_S5_PKS7_SB_S5_SD_S8_SB_S5_SD_SB_S5_PS7_21rocsparse_index_base_SF_SF_SF_bbb.kd
    .uniform_work_group_size: 1
    .uses_dynamic_stack: false
    .vgpr_count:     40
    .vgpr_spill_count: 0
    .wavefront_size: 64
  - .agpr_count:     0
    .args:
      - .offset:         0
        .size:           8
        .value_kind:     by_value
      - .actual_access:  read_only
        .address_space:  global
        .offset:         8
        .size:           8
        .value_kind:     global_buffer
      - .actual_access:  read_only
        .address_space:  global
        .offset:         16
        .size:           8
        .value_kind:     global_buffer
      - .offset:         24
        .size:           8
        .value_kind:     by_value
      - .actual_access:  read_only
        .address_space:  global
        .offset:         32
        .size:           8
        .value_kind:     global_buffer
      - .actual_access:  read_only
        .address_space:  global
        .offset:         40
        .size:           8
        .value_kind:     global_buffer
      - .actual_access:  read_only
        .address_space:  global
        .offset:         48
        .size:           8
        .value_kind:     global_buffer
      - .actual_access:  read_only
        .address_space:  global
        .offset:         56
        .size:           8
        .value_kind:     global_buffer
      - .actual_access:  read_only
        .address_space:  global
        .offset:         64
        .size:           8
        .value_kind:     global_buffer
      - .actual_access:  read_only
        .address_space:  global
        .offset:         72
        .size:           8
        .value_kind:     global_buffer
      - .offset:         80
        .size:           8
        .value_kind:     by_value
      - .actual_access:  read_only
        .address_space:  global
        .offset:         88
        .size:           8
        .value_kind:     global_buffer
      - .actual_access:  read_only
        .address_space:  global
        .offset:         96
        .size:           8
        .value_kind:     global_buffer
      - .actual_access:  read_only
        .address_space:  global
        .offset:         104
        .size:           8
        .value_kind:     global_buffer
      - .actual_access:  read_only
        .address_space:  global
        .offset:         112
        .size:           8
        .value_kind:     global_buffer
      - .actual_access:  read_only
        .address_space:  global
        .offset:         120
        .size:           8
        .value_kind:     global_buffer
      - .actual_access:  write_only
        .address_space:  global
        .offset:         128
        .size:           8
        .value_kind:     global_buffer
      - .offset:         136
        .size:           4
        .value_kind:     by_value
      - .offset:         140
        .size:           4
        .value_kind:     by_value
      - .offset:         144
        .size:           4
        .value_kind:     by_value
      - .offset:         148
        .size:           4
        .value_kind:     by_value
      - .offset:         152
        .size:           1
        .value_kind:     by_value
      - .offset:         153
        .size:           1
        .value_kind:     by_value
      - .offset:         154
        .size:           1
        .value_kind:     by_value
    .group_segment_fixed_size: 0
    .kernarg_segment_align: 8
    .kernarg_segment_size: 156
    .language:       OpenCL C
    .language_version:
      - 2
      - 0
    .max_flat_workgroup_size: 1024
    .name:           _ZN9rocsparseL41csrgemm_numeric_fill_block_per_row_kernelILj1024ELj64ELj32768ELj137ELj32Ell21rocsparse_complex_numIfEEEvT5_PKS3_S5_NS_24const_host_device_scalarIT6_EEPKT4_S5_PKS7_SB_S5_SD_S8_SB_S5_SD_SB_S5_PS7_21rocsparse_index_base_SF_SF_SF_bbb
    .private_segment_fixed_size: 0
    .sgpr_count:     106
    .sgpr_spill_count: 15
    .symbol:         _ZN9rocsparseL41csrgemm_numeric_fill_block_per_row_kernelILj1024ELj64ELj32768ELj137ELj32Ell21rocsparse_complex_numIfEEEvT5_PKS3_S5_NS_24const_host_device_scalarIT6_EEPKT4_S5_PKS7_SB_S5_SD_S8_SB_S5_SD_SB_S5_PS7_21rocsparse_index_base_SF_SF_SF_bbb.kd
    .uniform_work_group_size: 1
    .uses_dynamic_stack: false
    .vgpr_count:     41
    .vgpr_spill_count: 0
    .wavefront_size: 64
  - .agpr_count:     0
    .args:
      - .offset:         0
        .size:           8
        .value_kind:     by_value
      - .actual_access:  read_only
        .address_space:  global
        .offset:         8
        .size:           8
        .value_kind:     global_buffer
      - .actual_access:  read_only
        .address_space:  global
        .offset:         16
        .size:           8
        .value_kind:     global_buffer
      - .offset:         24
        .size:           8
        .value_kind:     by_value
      - .actual_access:  read_only
        .address_space:  global
        .offset:         32
        .size:           8
        .value_kind:     global_buffer
      - .actual_access:  read_only
        .address_space:  global
        .offset:         40
        .size:           8
        .value_kind:     global_buffer
      - .actual_access:  read_only
        .address_space:  global
        .offset:         48
        .size:           8
        .value_kind:     global_buffer
      - .actual_access:  read_only
        .address_space:  global
        .offset:         56
        .size:           8
        .value_kind:     global_buffer
      - .actual_access:  read_only
        .address_space:  global
        .offset:         64
        .size:           8
        .value_kind:     global_buffer
      - .actual_access:  read_only
        .address_space:  global
        .offset:         72
        .size:           8
        .value_kind:     global_buffer
      - .offset:         80
        .size:           8
        .value_kind:     by_value
      - .actual_access:  read_only
        .address_space:  global
        .offset:         88
        .size:           8
        .value_kind:     global_buffer
      - .actual_access:  read_only
        .address_space:  global
        .offset:         96
        .size:           8
        .value_kind:     global_buffer
      - .actual_access:  read_only
        .address_space:  global
        .offset:         104
        .size:           8
        .value_kind:     global_buffer
      - .actual_access:  read_only
        .address_space:  global
        .offset:         112
        .size:           8
        .value_kind:     global_buffer
      - .actual_access:  read_only
        .address_space:  global
        .offset:         120
        .size:           8
        .value_kind:     global_buffer
      - .actual_access:  write_only
        .address_space:  global
        .offset:         128
        .size:           8
        .value_kind:     global_buffer
      - .offset:         136
        .size:           4
        .value_kind:     by_value
      - .offset:         140
        .size:           4
        .value_kind:     by_value
      - .offset:         144
        .size:           4
        .value_kind:     by_value
      - .offset:         148
        .size:           4
        .value_kind:     by_value
      - .offset:         152
        .size:           1
        .value_kind:     by_value
      - .offset:         153
        .size:           1
        .value_kind:     by_value
      - .offset:         154
        .size:           1
        .value_kind:     by_value
    .group_segment_fixed_size: 0
    .kernarg_segment_align: 8
    .kernarg_segment_size: 156
    .language:       OpenCL C
    .language_version:
      - 2
      - 0
    .max_flat_workgroup_size: 1024
    .name:           _ZN9rocsparseL41csrgemm_numeric_fill_block_per_row_kernelILj1024ELj64ELj32768ELj137ELj64Ell21rocsparse_complex_numIfEEEvT5_PKS3_S5_NS_24const_host_device_scalarIT6_EEPKT4_S5_PKS7_SB_S5_SD_S8_SB_S5_SD_SB_S5_PS7_21rocsparse_index_base_SF_SF_SF_bbb
    .private_segment_fixed_size: 0
    .sgpr_count:     69
    .sgpr_spill_count: 0
    .symbol:         _ZN9rocsparseL41csrgemm_numeric_fill_block_per_row_kernelILj1024ELj64ELj32768ELj137ELj64Ell21rocsparse_complex_numIfEEEvT5_PKS3_S5_NS_24const_host_device_scalarIT6_EEPKT4_S5_PKS7_SB_S5_SD_S8_SB_S5_SD_SB_S5_PS7_21rocsparse_index_base_SF_SF_SF_bbb.kd
    .uniform_work_group_size: 1
    .uses_dynamic_stack: false
    .vgpr_count:     40
    .vgpr_spill_count: 0
    .wavefront_size: 64
  - .agpr_count:     0
    .args:
      - .offset:         0
        .size:           8
        .value_kind:     by_value
      - .actual_access:  read_only
        .address_space:  global
        .offset:         8
        .size:           8
        .value_kind:     global_buffer
      - .actual_access:  read_only
        .address_space:  global
        .offset:         16
        .size:           8
        .value_kind:     global_buffer
      - .offset:         24
        .size:           8
        .value_kind:     by_value
      - .actual_access:  read_only
        .address_space:  global
        .offset:         32
        .size:           8
        .value_kind:     global_buffer
      - .actual_access:  read_only
        .address_space:  global
        .offset:         40
        .size:           8
        .value_kind:     global_buffer
      - .actual_access:  read_only
        .address_space:  global
        .offset:         48
        .size:           8
        .value_kind:     global_buffer
      - .actual_access:  read_only
        .address_space:  global
        .offset:         56
        .size:           8
        .value_kind:     global_buffer
      - .actual_access:  read_only
        .address_space:  global
        .offset:         64
        .size:           8
        .value_kind:     global_buffer
      - .actual_access:  read_only
        .address_space:  global
        .offset:         72
        .size:           8
        .value_kind:     global_buffer
      - .offset:         80
        .size:           8
        .value_kind:     by_value
      - .actual_access:  read_only
        .address_space:  global
        .offset:         88
        .size:           8
        .value_kind:     global_buffer
      - .actual_access:  read_only
        .address_space:  global
        .offset:         96
        .size:           8
        .value_kind:     global_buffer
      - .actual_access:  read_only
        .address_space:  global
        .offset:         104
        .size:           8
        .value_kind:     global_buffer
      - .actual_access:  read_only
        .address_space:  global
        .offset:         112
        .size:           8
        .value_kind:     global_buffer
      - .actual_access:  read_only
        .address_space:  global
        .offset:         120
        .size:           8
        .value_kind:     global_buffer
      - .actual_access:  write_only
        .address_space:  global
        .offset:         128
        .size:           8
        .value_kind:     global_buffer
      - .address_space:  global
        .offset:         136
        .size:           8
        .value_kind:     global_buffer
      - .offset:         144
        .size:           4
        .value_kind:     by_value
      - .offset:         148
        .size:           4
        .value_kind:     by_value
      - .offset:         152
        .size:           4
        .value_kind:     by_value
      - .offset:         156
        .size:           4
        .value_kind:     by_value
      - .offset:         160
        .size:           1
        .value_kind:     by_value
      - .offset:         161
        .size:           1
        .value_kind:     by_value
      - .offset:         162
        .size:           1
        .value_kind:     by_value
    .group_segment_fixed_size: 18440
    .kernarg_segment_align: 8
    .kernarg_segment_size: 164
    .language:       OpenCL C
    .language_version:
      - 2
      - 0
    .max_flat_workgroup_size: 512
    .name:           _ZN9rocsparseL51csrgemm_numeric_fill_block_per_row_multipass_kernelILj512ELj16ELj2048ELj32Ell21rocsparse_complex_numIfEEEvT4_PKS3_S5_NS_24const_host_device_scalarIT5_EEPKT3_S5_PKS7_SB_S5_SD_S8_SB_S5_SD_SB_S5_PS7_PS9_21rocsparse_index_base_SG_SG_SG_bbb
    .private_segment_fixed_size: 0
    .sgpr_count:     106
    .sgpr_spill_count: 2
    .symbol:         _ZN9rocsparseL51csrgemm_numeric_fill_block_per_row_multipass_kernelILj512ELj16ELj2048ELj32Ell21rocsparse_complex_numIfEEEvT4_PKS3_S5_NS_24const_host_device_scalarIT5_EEPKT3_S5_PKS7_SB_S5_SD_S8_SB_S5_SD_SB_S5_PS7_PS9_21rocsparse_index_base_SG_SG_SG_bbb.kd
    .uniform_work_group_size: 1
    .uses_dynamic_stack: false
    .vgpr_count:     47
    .vgpr_spill_count: 0
    .wavefront_size: 64
  - .agpr_count:     0
    .args:
      - .offset:         0
        .size:           8
        .value_kind:     by_value
      - .actual_access:  read_only
        .address_space:  global
        .offset:         8
        .size:           8
        .value_kind:     global_buffer
      - .actual_access:  read_only
        .address_space:  global
        .offset:         16
        .size:           8
        .value_kind:     global_buffer
      - .offset:         24
        .size:           8
        .value_kind:     by_value
      - .actual_access:  read_only
        .address_space:  global
        .offset:         32
        .size:           8
        .value_kind:     global_buffer
      - .actual_access:  read_only
        .address_space:  global
        .offset:         40
        .size:           8
        .value_kind:     global_buffer
      - .actual_access:  read_only
        .address_space:  global
        .offset:         48
        .size:           8
        .value_kind:     global_buffer
      - .actual_access:  read_only
        .address_space:  global
        .offset:         56
        .size:           8
        .value_kind:     global_buffer
      - .actual_access:  read_only
        .address_space:  global
        .offset:         64
        .size:           8
        .value_kind:     global_buffer
      - .actual_access:  read_only
        .address_space:  global
        .offset:         72
        .size:           8
        .value_kind:     global_buffer
      - .offset:         80
        .size:           8
        .value_kind:     by_value
      - .actual_access:  read_only
        .address_space:  global
        .offset:         88
        .size:           8
        .value_kind:     global_buffer
      - .actual_access:  read_only
        .address_space:  global
        .offset:         96
        .size:           8
        .value_kind:     global_buffer
      - .actual_access:  read_only
        .address_space:  global
        .offset:         104
        .size:           8
        .value_kind:     global_buffer
      - .actual_access:  read_only
        .address_space:  global
        .offset:         112
        .size:           8
        .value_kind:     global_buffer
      - .actual_access:  read_only
        .address_space:  global
        .offset:         120
        .size:           8
        .value_kind:     global_buffer
      - .actual_access:  write_only
        .address_space:  global
        .offset:         128
        .size:           8
        .value_kind:     global_buffer
      - .address_space:  global
        .offset:         136
        .size:           8
        .value_kind:     global_buffer
      - .offset:         144
        .size:           4
        .value_kind:     by_value
      - .offset:         148
        .size:           4
        .value_kind:     by_value
      - .offset:         152
        .size:           4
        .value_kind:     by_value
      - .offset:         156
        .size:           4
        .value_kind:     by_value
      - .offset:         160
        .size:           1
        .value_kind:     by_value
      - .offset:         161
        .size:           1
        .value_kind:     by_value
      - .offset:         162
        .size:           1
        .value_kind:     by_value
    .group_segment_fixed_size: 18440
    .kernarg_segment_align: 8
    .kernarg_segment_size: 164
    .language:       OpenCL C
    .language_version:
      - 2
      - 0
    .max_flat_workgroup_size: 512
    .name:           _ZN9rocsparseL51csrgemm_numeric_fill_block_per_row_multipass_kernelILj512ELj16ELj2048ELj64Ell21rocsparse_complex_numIfEEEvT4_PKS3_S5_NS_24const_host_device_scalarIT5_EEPKT3_S5_PKS7_SB_S5_SD_S8_SB_S5_SD_SB_S5_PS7_PS9_21rocsparse_index_base_SG_SG_SG_bbb
    .private_segment_fixed_size: 0
    .sgpr_count:     91
    .sgpr_spill_count: 0
    .symbol:         _ZN9rocsparseL51csrgemm_numeric_fill_block_per_row_multipass_kernelILj512ELj16ELj2048ELj64Ell21rocsparse_complex_numIfEEEvT4_PKS3_S5_NS_24const_host_device_scalarIT5_EEPKT3_S5_PKS7_SB_S5_SD_S8_SB_S5_SD_SB_S5_PS7_PS9_21rocsparse_index_base_SG_SG_SG_bbb.kd
    .uniform_work_group_size: 1
    .uses_dynamic_stack: false
    .vgpr_count:     46
    .vgpr_spill_count: 0
    .wavefront_size: 64
  - .agpr_count:     0
    .args:
      - .offset:         0
        .size:           8
        .value_kind:     by_value
      - .offset:         8
        .size:           8
        .value_kind:     by_value
      - .actual_access:  read_only
        .address_space:  global
        .offset:         16
        .size:           8
        .value_kind:     global_buffer
      - .actual_access:  read_only
        .address_space:  global
        .offset:         24
        .size:           8
        .value_kind:     global_buffer
      - .offset:         32
        .size:           16
        .value_kind:     by_value
      - .actual_access:  read_only
        .address_space:  global
        .offset:         48
        .size:           8
        .value_kind:     global_buffer
      - .actual_access:  read_only
        .address_space:  global
        .offset:         56
        .size:           8
        .value_kind:     global_buffer
      - .actual_access:  read_only
        .address_space:  global
        .offset:         64
        .size:           8
        .value_kind:     global_buffer
      - .actual_access:  read_only
        .address_space:  global
        .offset:         72
        .size:           8
        .value_kind:     global_buffer
      - .actual_access:  read_only
        .address_space:  global
        .offset:         80
        .size:           8
        .value_kind:     global_buffer
      - .actual_access:  read_only
        .address_space:  global
        .offset:         88
        .size:           8
        .value_kind:     global_buffer
      - .offset:         96
        .size:           16
        .value_kind:     by_value
      - .actual_access:  read_only
        .address_space:  global
        .offset:         112
        .size:           8
        .value_kind:     global_buffer
      - .actual_access:  read_only
        .address_space:  global
        .offset:         120
        .size:           8
        .value_kind:     global_buffer
      - .actual_access:  read_only
        .address_space:  global
        .offset:         128
        .size:           8
        .value_kind:     global_buffer
      - .actual_access:  read_only
        .address_space:  global
        .offset:         136
        .size:           8
        .value_kind:     global_buffer
      - .actual_access:  read_only
        .address_space:  global
        .offset:         144
        .size:           8
        .value_kind:     global_buffer
      - .actual_access:  write_only
        .address_space:  global
        .offset:         152
        .size:           8
        .value_kind:     global_buffer
      - .offset:         160
        .size:           4
        .value_kind:     by_value
      - .offset:         164
        .size:           4
        .value_kind:     by_value
      - .offset:         168
        .size:           4
        .value_kind:     by_value
      - .offset:         172
        .size:           4
        .value_kind:     by_value
      - .offset:         176
        .size:           1
        .value_kind:     by_value
      - .offset:         177
        .size:           1
        .value_kind:     by_value
      - .offset:         178
        .size:           1
        .value_kind:     by_value
    .group_segment_fixed_size: 12288
    .kernarg_segment_align: 8
    .kernarg_segment_size: 180
    .language:       OpenCL C
    .language_version:
      - 2
      - 0
    .max_flat_workgroup_size: 256
    .name:           _ZN9rocsparseL38csrgemm_numeric_fill_wf_per_row_kernelILj256ELj8ELj16ELj137Ell21rocsparse_complex_numIdEEEvT4_S3_PKS3_S5_NS_24const_host_device_scalarIT5_EEPKT3_S5_PKS7_SB_S5_SD_S8_SB_S5_SD_SB_S5_PS7_21rocsparse_index_base_SF_SF_SF_bbb
    .private_segment_fixed_size: 24
    .sgpr_count:     58
    .sgpr_spill_count: 0
    .symbol:         _ZN9rocsparseL38csrgemm_numeric_fill_wf_per_row_kernelILj256ELj8ELj16ELj137Ell21rocsparse_complex_numIdEEEvT4_S3_PKS3_S5_NS_24const_host_device_scalarIT5_EEPKT3_S5_PKS7_SB_S5_SD_S8_SB_S5_SD_SB_S5_PS7_21rocsparse_index_base_SF_SF_SF_bbb.kd
    .uniform_work_group_size: 1
    .uses_dynamic_stack: false
    .vgpr_count:     42
    .vgpr_spill_count: 0
    .wavefront_size: 64
  - .agpr_count:     0
    .args:
      - .offset:         0
        .size:           8
        .value_kind:     by_value
      - .offset:         8
        .size:           8
        .value_kind:     by_value
      - .actual_access:  read_only
        .address_space:  global
        .offset:         16
        .size:           8
        .value_kind:     global_buffer
      - .actual_access:  read_only
        .address_space:  global
        .offset:         24
        .size:           8
        .value_kind:     global_buffer
      - .offset:         32
        .size:           16
        .value_kind:     by_value
      - .actual_access:  read_only
        .address_space:  global
        .offset:         48
        .size:           8
        .value_kind:     global_buffer
      - .actual_access:  read_only
        .address_space:  global
        .offset:         56
        .size:           8
        .value_kind:     global_buffer
      - .actual_access:  read_only
        .address_space:  global
        .offset:         64
        .size:           8
        .value_kind:     global_buffer
      - .actual_access:  read_only
        .address_space:  global
        .offset:         72
        .size:           8
        .value_kind:     global_buffer
      - .actual_access:  read_only
        .address_space:  global
        .offset:         80
        .size:           8
        .value_kind:     global_buffer
      - .actual_access:  read_only
        .address_space:  global
        .offset:         88
        .size:           8
        .value_kind:     global_buffer
      - .offset:         96
        .size:           16
        .value_kind:     by_value
      - .actual_access:  read_only
        .address_space:  global
        .offset:         112
        .size:           8
        .value_kind:     global_buffer
      - .actual_access:  read_only
        .address_space:  global
        .offset:         120
        .size:           8
        .value_kind:     global_buffer
      - .actual_access:  read_only
        .address_space:  global
        .offset:         128
        .size:           8
        .value_kind:     global_buffer
      - .actual_access:  read_only
        .address_space:  global
        .offset:         136
        .size:           8
        .value_kind:     global_buffer
      - .actual_access:  read_only
        .address_space:  global
        .offset:         144
        .size:           8
        .value_kind:     global_buffer
      - .actual_access:  write_only
        .address_space:  global
        .offset:         152
        .size:           8
        .value_kind:     global_buffer
      - .offset:         160
        .size:           4
        .value_kind:     by_value
      - .offset:         164
        .size:           4
        .value_kind:     by_value
      - .offset:         168
        .size:           4
        .value_kind:     by_value
      - .offset:         172
        .size:           4
        .value_kind:     by_value
      - .offset:         176
        .size:           1
        .value_kind:     by_value
      - .offset:         177
        .size:           1
        .value_kind:     by_value
      - .offset:         178
        .size:           1
        .value_kind:     by_value
    .group_segment_fixed_size: 12288
    .kernarg_segment_align: 8
    .kernarg_segment_size: 180
    .language:       OpenCL C
    .language_version:
      - 2
      - 0
    .max_flat_workgroup_size: 256
    .name:           _ZN9rocsparseL38csrgemm_numeric_fill_wf_per_row_kernelILj256ELj16ELj32ELj137Ell21rocsparse_complex_numIdEEEvT4_S3_PKS3_S5_NS_24const_host_device_scalarIT5_EEPKT3_S5_PKS7_SB_S5_SD_S8_SB_S5_SD_SB_S5_PS7_21rocsparse_index_base_SF_SF_SF_bbb
    .private_segment_fixed_size: 24
    .sgpr_count:     58
    .sgpr_spill_count: 0
    .symbol:         _ZN9rocsparseL38csrgemm_numeric_fill_wf_per_row_kernelILj256ELj16ELj32ELj137Ell21rocsparse_complex_numIdEEEvT4_S3_PKS3_S5_NS_24const_host_device_scalarIT5_EEPKT3_S5_PKS7_SB_S5_SD_S8_SB_S5_SD_SB_S5_PS7_21rocsparse_index_base_SF_SF_SF_bbb.kd
    .uniform_work_group_size: 1
    .uses_dynamic_stack: false
    .vgpr_count:     62
    .vgpr_spill_count: 0
    .wavefront_size: 64
  - .agpr_count:     0
    .args:
      - .offset:         0
        .size:           8
        .value_kind:     by_value
      - .actual_access:  read_only
        .address_space:  global
        .offset:         8
        .size:           8
        .value_kind:     global_buffer
      - .actual_access:  read_only
        .address_space:  global
        .offset:         16
        .size:           8
        .value_kind:     global_buffer
      - .offset:         24
        .size:           16
        .value_kind:     by_value
      - .actual_access:  read_only
        .address_space:  global
        .offset:         40
        .size:           8
        .value_kind:     global_buffer
      - .actual_access:  read_only
        .address_space:  global
        .offset:         48
        .size:           8
        .value_kind:     global_buffer
      - .actual_access:  read_only
        .address_space:  global
        .offset:         56
        .size:           8
        .value_kind:     global_buffer
      - .actual_access:  read_only
        .address_space:  global
        .offset:         64
        .size:           8
        .value_kind:     global_buffer
      - .actual_access:  read_only
        .address_space:  global
        .offset:         72
        .size:           8
        .value_kind:     global_buffer
      - .actual_access:  read_only
        .address_space:  global
        .offset:         80
        .size:           8
        .value_kind:     global_buffer
      - .offset:         88
        .size:           16
        .value_kind:     by_value
      - .actual_access:  read_only
        .address_space:  global
        .offset:         104
        .size:           8
        .value_kind:     global_buffer
      - .actual_access:  read_only
        .address_space:  global
        .offset:         112
        .size:           8
        .value_kind:     global_buffer
      - .actual_access:  read_only
        .address_space:  global
        .offset:         120
        .size:           8
        .value_kind:     global_buffer
      - .actual_access:  read_only
        .address_space:  global
        .offset:         128
        .size:           8
        .value_kind:     global_buffer
      - .actual_access:  read_only
        .address_space:  global
        .offset:         136
        .size:           8
        .value_kind:     global_buffer
      - .actual_access:  write_only
        .address_space:  global
        .offset:         144
        .size:           8
        .value_kind:     global_buffer
      - .offset:         152
        .size:           4
        .value_kind:     by_value
      - .offset:         156
        .size:           4
        .value_kind:     by_value
      - .offset:         160
        .size:           4
        .value_kind:     by_value
      - .offset:         164
        .size:           4
        .value_kind:     by_value
      - .offset:         168
        .size:           1
        .value_kind:     by_value
      - .offset:         169
        .size:           1
        .value_kind:     by_value
      - .offset:         170
        .size:           1
        .value_kind:     by_value
    .group_segment_fixed_size: 0
    .kernarg_segment_align: 8
    .kernarg_segment_size: 172
    .language:       OpenCL C
    .language_version:
      - 2
      - 0
    .max_flat_workgroup_size: 128
    .name:           _ZN9rocsparseL41csrgemm_numeric_fill_block_per_row_kernelILj128ELj16ELj256ELj137ELj32Ell21rocsparse_complex_numIdEEEvT5_PKS3_S5_NS_24const_host_device_scalarIT6_EEPKT4_S5_PKS7_SB_S5_SD_S8_SB_S5_SD_SB_S5_PS7_21rocsparse_index_base_SF_SF_SF_bbb
    .private_segment_fixed_size: 40
    .sgpr_count:     64
    .sgpr_spill_count: 0
    .symbol:         _ZN9rocsparseL41csrgemm_numeric_fill_block_per_row_kernelILj128ELj16ELj256ELj137ELj32Ell21rocsparse_complex_numIdEEEvT5_PKS3_S5_NS_24const_host_device_scalarIT6_EEPKT4_S5_PKS7_SB_S5_SD_S8_SB_S5_SD_SB_S5_PS7_21rocsparse_index_base_SF_SF_SF_bbb.kd
    .uniform_work_group_size: 1
    .uses_dynamic_stack: false
    .vgpr_count:     40
    .vgpr_spill_count: 0
    .wavefront_size: 64
  - .agpr_count:     0
    .args:
      - .offset:         0
        .size:           8
        .value_kind:     by_value
      - .actual_access:  read_only
        .address_space:  global
        .offset:         8
        .size:           8
        .value_kind:     global_buffer
      - .actual_access:  read_only
        .address_space:  global
        .offset:         16
        .size:           8
        .value_kind:     global_buffer
      - .offset:         24
        .size:           16
        .value_kind:     by_value
      - .actual_access:  read_only
        .address_space:  global
        .offset:         40
        .size:           8
        .value_kind:     global_buffer
      - .actual_access:  read_only
        .address_space:  global
        .offset:         48
        .size:           8
        .value_kind:     global_buffer
      - .actual_access:  read_only
        .address_space:  global
        .offset:         56
        .size:           8
        .value_kind:     global_buffer
      - .actual_access:  read_only
        .address_space:  global
        .offset:         64
        .size:           8
        .value_kind:     global_buffer
      - .actual_access:  read_only
        .address_space:  global
        .offset:         72
        .size:           8
        .value_kind:     global_buffer
      - .actual_access:  read_only
        .address_space:  global
        .offset:         80
        .size:           8
        .value_kind:     global_buffer
      - .offset:         88
        .size:           16
        .value_kind:     by_value
      - .actual_access:  read_only
        .address_space:  global
        .offset:         104
        .size:           8
        .value_kind:     global_buffer
      - .actual_access:  read_only
        .address_space:  global
        .offset:         112
        .size:           8
        .value_kind:     global_buffer
      - .actual_access:  read_only
        .address_space:  global
        .offset:         120
        .size:           8
        .value_kind:     global_buffer
      - .actual_access:  read_only
        .address_space:  global
        .offset:         128
        .size:           8
        .value_kind:     global_buffer
      - .actual_access:  read_only
        .address_space:  global
        .offset:         136
        .size:           8
        .value_kind:     global_buffer
      - .actual_access:  write_only
        .address_space:  global
        .offset:         144
        .size:           8
        .value_kind:     global_buffer
      - .offset:         152
        .size:           4
        .value_kind:     by_value
      - .offset:         156
        .size:           4
        .value_kind:     by_value
      - .offset:         160
        .size:           4
        .value_kind:     by_value
      - .offset:         164
        .size:           4
        .value_kind:     by_value
      - .offset:         168
        .size:           1
        .value_kind:     by_value
      - .offset:         169
        .size:           1
        .value_kind:     by_value
      - .offset:         170
        .size:           1
        .value_kind:     by_value
    .group_segment_fixed_size: 0
    .kernarg_segment_align: 8
    .kernarg_segment_size: 172
    .language:       OpenCL C
    .language_version:
      - 2
      - 0
    .max_flat_workgroup_size: 128
    .name:           _ZN9rocsparseL41csrgemm_numeric_fill_block_per_row_kernelILj128ELj16ELj256ELj137ELj64Ell21rocsparse_complex_numIdEEEvT5_PKS3_S5_NS_24const_host_device_scalarIT6_EEPKT4_S5_PKS7_SB_S5_SD_S8_SB_S5_SD_SB_S5_PS7_21rocsparse_index_base_SF_SF_SF_bbb
    .private_segment_fixed_size: 40
    .sgpr_count:     64
    .sgpr_spill_count: 0
    .symbol:         _ZN9rocsparseL41csrgemm_numeric_fill_block_per_row_kernelILj128ELj16ELj256ELj137ELj64Ell21rocsparse_complex_numIdEEEvT5_PKS3_S5_NS_24const_host_device_scalarIT6_EEPKT4_S5_PKS7_SB_S5_SD_S8_SB_S5_SD_SB_S5_PS7_21rocsparse_index_base_SF_SF_SF_bbb.kd
    .uniform_work_group_size: 1
    .uses_dynamic_stack: false
    .vgpr_count:     40
    .vgpr_spill_count: 0
    .wavefront_size: 64
  - .agpr_count:     0
    .args:
      - .offset:         0
        .size:           8
        .value_kind:     by_value
      - .actual_access:  read_only
        .address_space:  global
        .offset:         8
        .size:           8
        .value_kind:     global_buffer
      - .actual_access:  read_only
        .address_space:  global
        .offset:         16
        .size:           8
        .value_kind:     global_buffer
      - .offset:         24
        .size:           16
        .value_kind:     by_value
      - .actual_access:  read_only
        .address_space:  global
        .offset:         40
        .size:           8
        .value_kind:     global_buffer
      - .actual_access:  read_only
        .address_space:  global
        .offset:         48
        .size:           8
        .value_kind:     global_buffer
      - .actual_access:  read_only
        .address_space:  global
        .offset:         56
        .size:           8
        .value_kind:     global_buffer
      - .actual_access:  read_only
        .address_space:  global
        .offset:         64
        .size:           8
        .value_kind:     global_buffer
      - .actual_access:  read_only
        .address_space:  global
        .offset:         72
        .size:           8
        .value_kind:     global_buffer
      - .actual_access:  read_only
        .address_space:  global
        .offset:         80
        .size:           8
        .value_kind:     global_buffer
      - .offset:         88
        .size:           16
        .value_kind:     by_value
      - .actual_access:  read_only
        .address_space:  global
        .offset:         104
        .size:           8
        .value_kind:     global_buffer
      - .actual_access:  read_only
        .address_space:  global
        .offset:         112
        .size:           8
        .value_kind:     global_buffer
      - .actual_access:  read_only
        .address_space:  global
        .offset:         120
        .size:           8
        .value_kind:     global_buffer
      - .actual_access:  read_only
        .address_space:  global
        .offset:         128
        .size:           8
        .value_kind:     global_buffer
      - .actual_access:  read_only
        .address_space:  global
        .offset:         136
        .size:           8
        .value_kind:     global_buffer
      - .actual_access:  write_only
        .address_space:  global
        .offset:         144
        .size:           8
        .value_kind:     global_buffer
      - .offset:         152
        .size:           4
        .value_kind:     by_value
      - .offset:         156
        .size:           4
        .value_kind:     by_value
      - .offset:         160
        .size:           4
        .value_kind:     by_value
      - .offset:         164
        .size:           4
        .value_kind:     by_value
      - .offset:         168
        .size:           1
        .value_kind:     by_value
      - .offset:         169
        .size:           1
        .value_kind:     by_value
      - .offset:         170
        .size:           1
        .value_kind:     by_value
    .group_segment_fixed_size: 0
    .kernarg_segment_align: 8
    .kernarg_segment_size: 172
    .language:       OpenCL C
    .language_version:
      - 2
      - 0
    .max_flat_workgroup_size: 256
    .name:           _ZN9rocsparseL41csrgemm_numeric_fill_block_per_row_kernelILj256ELj32ELj512ELj137ELj32Ell21rocsparse_complex_numIdEEEvT5_PKS3_S5_NS_24const_host_device_scalarIT6_EEPKT4_S5_PKS7_SB_S5_SD_S8_SB_S5_SD_SB_S5_PS7_21rocsparse_index_base_SF_SF_SF_bbb
    .private_segment_fixed_size: 40
    .sgpr_count:     64
    .sgpr_spill_count: 0
    .symbol:         _ZN9rocsparseL41csrgemm_numeric_fill_block_per_row_kernelILj256ELj32ELj512ELj137ELj32Ell21rocsparse_complex_numIdEEEvT5_PKS3_S5_NS_24const_host_device_scalarIT6_EEPKT4_S5_PKS7_SB_S5_SD_S8_SB_S5_SD_SB_S5_PS7_21rocsparse_index_base_SF_SF_SF_bbb.kd
    .uniform_work_group_size: 1
    .uses_dynamic_stack: false
    .vgpr_count:     40
    .vgpr_spill_count: 0
    .wavefront_size: 64
  - .agpr_count:     0
    .args:
      - .offset:         0
        .size:           8
        .value_kind:     by_value
      - .actual_access:  read_only
        .address_space:  global
        .offset:         8
        .size:           8
        .value_kind:     global_buffer
      - .actual_access:  read_only
        .address_space:  global
        .offset:         16
        .size:           8
        .value_kind:     global_buffer
      - .offset:         24
        .size:           16
        .value_kind:     by_value
      - .actual_access:  read_only
        .address_space:  global
        .offset:         40
        .size:           8
        .value_kind:     global_buffer
      - .actual_access:  read_only
        .address_space:  global
        .offset:         48
        .size:           8
        .value_kind:     global_buffer
      - .actual_access:  read_only
        .address_space:  global
        .offset:         56
        .size:           8
        .value_kind:     global_buffer
      - .actual_access:  read_only
        .address_space:  global
        .offset:         64
        .size:           8
        .value_kind:     global_buffer
      - .actual_access:  read_only
        .address_space:  global
        .offset:         72
        .size:           8
        .value_kind:     global_buffer
      - .actual_access:  read_only
        .address_space:  global
        .offset:         80
        .size:           8
        .value_kind:     global_buffer
      - .offset:         88
        .size:           16
        .value_kind:     by_value
      - .actual_access:  read_only
        .address_space:  global
        .offset:         104
        .size:           8
        .value_kind:     global_buffer
      - .actual_access:  read_only
        .address_space:  global
        .offset:         112
        .size:           8
        .value_kind:     global_buffer
      - .actual_access:  read_only
        .address_space:  global
        .offset:         120
        .size:           8
        .value_kind:     global_buffer
      - .actual_access:  read_only
        .address_space:  global
        .offset:         128
        .size:           8
        .value_kind:     global_buffer
      - .actual_access:  read_only
        .address_space:  global
        .offset:         136
        .size:           8
        .value_kind:     global_buffer
      - .actual_access:  write_only
        .address_space:  global
        .offset:         144
        .size:           8
        .value_kind:     global_buffer
      - .offset:         152
        .size:           4
        .value_kind:     by_value
      - .offset:         156
        .size:           4
        .value_kind:     by_value
      - .offset:         160
        .size:           4
        .value_kind:     by_value
      - .offset:         164
        .size:           4
        .value_kind:     by_value
      - .offset:         168
        .size:           1
        .value_kind:     by_value
      - .offset:         169
        .size:           1
        .value_kind:     by_value
      - .offset:         170
        .size:           1
        .value_kind:     by_value
    .group_segment_fixed_size: 0
    .kernarg_segment_align: 8
    .kernarg_segment_size: 172
    .language:       OpenCL C
    .language_version:
      - 2
      - 0
    .max_flat_workgroup_size: 256
    .name:           _ZN9rocsparseL41csrgemm_numeric_fill_block_per_row_kernelILj256ELj32ELj512ELj137ELj64Ell21rocsparse_complex_numIdEEEvT5_PKS3_S5_NS_24const_host_device_scalarIT6_EEPKT4_S5_PKS7_SB_S5_SD_S8_SB_S5_SD_SB_S5_PS7_21rocsparse_index_base_SF_SF_SF_bbb
    .private_segment_fixed_size: 40
    .sgpr_count:     64
    .sgpr_spill_count: 0
    .symbol:         _ZN9rocsparseL41csrgemm_numeric_fill_block_per_row_kernelILj256ELj32ELj512ELj137ELj64Ell21rocsparse_complex_numIdEEEvT5_PKS3_S5_NS_24const_host_device_scalarIT6_EEPKT4_S5_PKS7_SB_S5_SD_S8_SB_S5_SD_SB_S5_PS7_21rocsparse_index_base_SF_SF_SF_bbb.kd
    .uniform_work_group_size: 1
    .uses_dynamic_stack: false
    .vgpr_count:     40
    .vgpr_spill_count: 0
    .wavefront_size: 64
  - .agpr_count:     0
    .args:
      - .offset:         0
        .size:           8
        .value_kind:     by_value
      - .actual_access:  read_only
        .address_space:  global
        .offset:         8
        .size:           8
        .value_kind:     global_buffer
      - .actual_access:  read_only
        .address_space:  global
        .offset:         16
        .size:           8
        .value_kind:     global_buffer
      - .offset:         24
        .size:           16
        .value_kind:     by_value
      - .actual_access:  read_only
        .address_space:  global
        .offset:         40
        .size:           8
        .value_kind:     global_buffer
      - .actual_access:  read_only
        .address_space:  global
        .offset:         48
        .size:           8
        .value_kind:     global_buffer
      - .actual_access:  read_only
        .address_space:  global
        .offset:         56
        .size:           8
        .value_kind:     global_buffer
      - .actual_access:  read_only
        .address_space:  global
        .offset:         64
        .size:           8
        .value_kind:     global_buffer
      - .actual_access:  read_only
        .address_space:  global
        .offset:         72
        .size:           8
        .value_kind:     global_buffer
      - .actual_access:  read_only
        .address_space:  global
        .offset:         80
        .size:           8
        .value_kind:     global_buffer
      - .offset:         88
        .size:           16
        .value_kind:     by_value
      - .actual_access:  read_only
        .address_space:  global
        .offset:         104
        .size:           8
        .value_kind:     global_buffer
      - .actual_access:  read_only
        .address_space:  global
        .offset:         112
        .size:           8
        .value_kind:     global_buffer
      - .actual_access:  read_only
        .address_space:  global
        .offset:         120
        .size:           8
        .value_kind:     global_buffer
      - .actual_access:  read_only
        .address_space:  global
        .offset:         128
        .size:           8
        .value_kind:     global_buffer
      - .actual_access:  read_only
        .address_space:  global
        .offset:         136
        .size:           8
        .value_kind:     global_buffer
      - .actual_access:  write_only
        .address_space:  global
        .offset:         144
        .size:           8
        .value_kind:     global_buffer
      - .offset:         152
        .size:           4
        .value_kind:     by_value
      - .offset:         156
        .size:           4
        .value_kind:     by_value
      - .offset:         160
        .size:           4
        .value_kind:     by_value
      - .offset:         164
        .size:           4
        .value_kind:     by_value
      - .offset:         168
        .size:           1
        .value_kind:     by_value
      - .offset:         169
        .size:           1
        .value_kind:     by_value
      - .offset:         170
        .size:           1
        .value_kind:     by_value
    .group_segment_fixed_size: 0
    .kernarg_segment_align: 8
    .kernarg_segment_size: 172
    .language:       OpenCL C
    .language_version:
      - 2
      - 0
    .max_flat_workgroup_size: 512
    .name:           _ZN9rocsparseL41csrgemm_numeric_fill_block_per_row_kernelILj512ELj32ELj1024ELj137ELj32Ell21rocsparse_complex_numIdEEEvT5_PKS3_S5_NS_24const_host_device_scalarIT6_EEPKT4_S5_PKS7_SB_S5_SD_S8_SB_S5_SD_SB_S5_PS7_21rocsparse_index_base_SF_SF_SF_bbb
    .private_segment_fixed_size: 40
    .sgpr_count:     62
    .sgpr_spill_count: 0
    .symbol:         _ZN9rocsparseL41csrgemm_numeric_fill_block_per_row_kernelILj512ELj32ELj1024ELj137ELj32Ell21rocsparse_complex_numIdEEEvT5_PKS3_S5_NS_24const_host_device_scalarIT6_EEPKT4_S5_PKS7_SB_S5_SD_S8_SB_S5_SD_SB_S5_PS7_21rocsparse_index_base_SF_SF_SF_bbb.kd
    .uniform_work_group_size: 1
    .uses_dynamic_stack: false
    .vgpr_count:     40
    .vgpr_spill_count: 0
    .wavefront_size: 64
  - .agpr_count:     0
    .args:
      - .offset:         0
        .size:           8
        .value_kind:     by_value
      - .actual_access:  read_only
        .address_space:  global
        .offset:         8
        .size:           8
        .value_kind:     global_buffer
      - .actual_access:  read_only
        .address_space:  global
        .offset:         16
        .size:           8
        .value_kind:     global_buffer
      - .offset:         24
        .size:           16
        .value_kind:     by_value
      - .actual_access:  read_only
        .address_space:  global
        .offset:         40
        .size:           8
        .value_kind:     global_buffer
      - .actual_access:  read_only
        .address_space:  global
        .offset:         48
        .size:           8
        .value_kind:     global_buffer
      - .actual_access:  read_only
        .address_space:  global
        .offset:         56
        .size:           8
        .value_kind:     global_buffer
      - .actual_access:  read_only
        .address_space:  global
        .offset:         64
        .size:           8
        .value_kind:     global_buffer
      - .actual_access:  read_only
        .address_space:  global
        .offset:         72
        .size:           8
        .value_kind:     global_buffer
      - .actual_access:  read_only
        .address_space:  global
        .offset:         80
        .size:           8
        .value_kind:     global_buffer
      - .offset:         88
        .size:           16
        .value_kind:     by_value
      - .actual_access:  read_only
        .address_space:  global
        .offset:         104
        .size:           8
        .value_kind:     global_buffer
      - .actual_access:  read_only
        .address_space:  global
        .offset:         112
        .size:           8
        .value_kind:     global_buffer
      - .actual_access:  read_only
        .address_space:  global
        .offset:         120
        .size:           8
        .value_kind:     global_buffer
      - .actual_access:  read_only
        .address_space:  global
        .offset:         128
        .size:           8
        .value_kind:     global_buffer
      - .actual_access:  read_only
        .address_space:  global
        .offset:         136
        .size:           8
        .value_kind:     global_buffer
      - .actual_access:  write_only
        .address_space:  global
        .offset:         144
        .size:           8
        .value_kind:     global_buffer
      - .offset:         152
        .size:           4
        .value_kind:     by_value
      - .offset:         156
        .size:           4
        .value_kind:     by_value
      - .offset:         160
        .size:           4
        .value_kind:     by_value
      - .offset:         164
        .size:           4
        .value_kind:     by_value
      - .offset:         168
        .size:           1
        .value_kind:     by_value
      - .offset:         169
        .size:           1
        .value_kind:     by_value
      - .offset:         170
        .size:           1
        .value_kind:     by_value
    .group_segment_fixed_size: 0
    .kernarg_segment_align: 8
    .kernarg_segment_size: 172
    .language:       OpenCL C
    .language_version:
      - 2
      - 0
    .max_flat_workgroup_size: 512
    .name:           _ZN9rocsparseL41csrgemm_numeric_fill_block_per_row_kernelILj512ELj32ELj1024ELj137ELj64Ell21rocsparse_complex_numIdEEEvT5_PKS3_S5_NS_24const_host_device_scalarIT6_EEPKT4_S5_PKS7_SB_S5_SD_S8_SB_S5_SD_SB_S5_PS7_21rocsparse_index_base_SF_SF_SF_bbb
    .private_segment_fixed_size: 40
    .sgpr_count:     62
    .sgpr_spill_count: 0
    .symbol:         _ZN9rocsparseL41csrgemm_numeric_fill_block_per_row_kernelILj512ELj32ELj1024ELj137ELj64Ell21rocsparse_complex_numIdEEEvT5_PKS3_S5_NS_24const_host_device_scalarIT6_EEPKT4_S5_PKS7_SB_S5_SD_S8_SB_S5_SD_SB_S5_PS7_21rocsparse_index_base_SF_SF_SF_bbb.kd
    .uniform_work_group_size: 1
    .uses_dynamic_stack: false
    .vgpr_count:     40
    .vgpr_spill_count: 0
    .wavefront_size: 64
  - .agpr_count:     0
    .args:
      - .offset:         0
        .size:           8
        .value_kind:     by_value
      - .actual_access:  read_only
        .address_space:  global
        .offset:         8
        .size:           8
        .value_kind:     global_buffer
      - .actual_access:  read_only
        .address_space:  global
        .offset:         16
        .size:           8
        .value_kind:     global_buffer
      - .offset:         24
        .size:           16
        .value_kind:     by_value
      - .actual_access:  read_only
        .address_space:  global
        .offset:         40
        .size:           8
        .value_kind:     global_buffer
      - .actual_access:  read_only
        .address_space:  global
        .offset:         48
        .size:           8
        .value_kind:     global_buffer
      - .actual_access:  read_only
        .address_space:  global
        .offset:         56
        .size:           8
        .value_kind:     global_buffer
      - .actual_access:  read_only
        .address_space:  global
        .offset:         64
        .size:           8
        .value_kind:     global_buffer
      - .actual_access:  read_only
        .address_space:  global
        .offset:         72
        .size:           8
        .value_kind:     global_buffer
      - .actual_access:  read_only
        .address_space:  global
        .offset:         80
        .size:           8
        .value_kind:     global_buffer
      - .offset:         88
        .size:           16
        .value_kind:     by_value
      - .actual_access:  read_only
        .address_space:  global
        .offset:         104
        .size:           8
        .value_kind:     global_buffer
      - .actual_access:  read_only
        .address_space:  global
        .offset:         112
        .size:           8
        .value_kind:     global_buffer
      - .actual_access:  read_only
        .address_space:  global
        .offset:         120
        .size:           8
        .value_kind:     global_buffer
      - .actual_access:  read_only
        .address_space:  global
        .offset:         128
        .size:           8
        .value_kind:     global_buffer
      - .actual_access:  read_only
        .address_space:  global
        .offset:         136
        .size:           8
        .value_kind:     global_buffer
      - .actual_access:  write_only
        .address_space:  global
        .offset:         144
        .size:           8
        .value_kind:     global_buffer
      - .offset:         152
        .size:           4
        .value_kind:     by_value
      - .offset:         156
        .size:           4
        .value_kind:     by_value
      - .offset:         160
        .size:           4
        .value_kind:     by_value
      - .offset:         164
        .size:           4
        .value_kind:     by_value
      - .offset:         168
        .size:           1
        .value_kind:     by_value
      - .offset:         169
        .size:           1
        .value_kind:     by_value
      - .offset:         170
        .size:           1
        .value_kind:     by_value
    .group_segment_fixed_size: 0
    .kernarg_segment_align: 8
    .kernarg_segment_size: 172
    .language:       OpenCL C
    .language_version:
      - 2
      - 0
    .max_flat_workgroup_size: 1024
    .name:           _ZN9rocsparseL41csrgemm_numeric_fill_block_per_row_kernelILj1024ELj32ELj2048ELj137ELj32Ell21rocsparse_complex_numIdEEEvT5_PKS3_S5_NS_24const_host_device_scalarIT6_EEPKT4_S5_PKS7_SB_S5_SD_S8_SB_S5_SD_SB_S5_PS7_21rocsparse_index_base_SF_SF_SF_bbb
    .private_segment_fixed_size: 40
    .sgpr_count:     86
    .sgpr_spill_count: 0
    .symbol:         _ZN9rocsparseL41csrgemm_numeric_fill_block_per_row_kernelILj1024ELj32ELj2048ELj137ELj32Ell21rocsparse_complex_numIdEEEvT5_PKS3_S5_NS_24const_host_device_scalarIT6_EEPKT4_S5_PKS7_SB_S5_SD_S8_SB_S5_SD_SB_S5_PS7_21rocsparse_index_base_SF_SF_SF_bbb.kd
    .uniform_work_group_size: 1
    .uses_dynamic_stack: false
    .vgpr_count:     40
    .vgpr_spill_count: 0
    .wavefront_size: 64
  - .agpr_count:     0
    .args:
      - .offset:         0
        .size:           8
        .value_kind:     by_value
      - .actual_access:  read_only
        .address_space:  global
        .offset:         8
        .size:           8
        .value_kind:     global_buffer
      - .actual_access:  read_only
        .address_space:  global
        .offset:         16
        .size:           8
        .value_kind:     global_buffer
      - .offset:         24
        .size:           16
        .value_kind:     by_value
      - .actual_access:  read_only
        .address_space:  global
        .offset:         40
        .size:           8
        .value_kind:     global_buffer
      - .actual_access:  read_only
        .address_space:  global
        .offset:         48
        .size:           8
        .value_kind:     global_buffer
      - .actual_access:  read_only
        .address_space:  global
        .offset:         56
        .size:           8
        .value_kind:     global_buffer
      - .actual_access:  read_only
        .address_space:  global
        .offset:         64
        .size:           8
        .value_kind:     global_buffer
      - .actual_access:  read_only
        .address_space:  global
        .offset:         72
        .size:           8
        .value_kind:     global_buffer
      - .actual_access:  read_only
        .address_space:  global
        .offset:         80
        .size:           8
        .value_kind:     global_buffer
      - .offset:         88
        .size:           16
        .value_kind:     by_value
      - .actual_access:  read_only
        .address_space:  global
        .offset:         104
        .size:           8
        .value_kind:     global_buffer
      - .actual_access:  read_only
        .address_space:  global
        .offset:         112
        .size:           8
        .value_kind:     global_buffer
      - .actual_access:  read_only
        .address_space:  global
        .offset:         120
        .size:           8
        .value_kind:     global_buffer
      - .actual_access:  read_only
        .address_space:  global
        .offset:         128
        .size:           8
        .value_kind:     global_buffer
      - .actual_access:  read_only
        .address_space:  global
        .offset:         136
        .size:           8
        .value_kind:     global_buffer
      - .actual_access:  write_only
        .address_space:  global
        .offset:         144
        .size:           8
        .value_kind:     global_buffer
      - .offset:         152
        .size:           4
        .value_kind:     by_value
      - .offset:         156
        .size:           4
        .value_kind:     by_value
      - .offset:         160
        .size:           4
        .value_kind:     by_value
      - .offset:         164
        .size:           4
        .value_kind:     by_value
      - .offset:         168
        .size:           1
        .value_kind:     by_value
      - .offset:         169
        .size:           1
        .value_kind:     by_value
      - .offset:         170
        .size:           1
        .value_kind:     by_value
    .group_segment_fixed_size: 0
    .kernarg_segment_align: 8
    .kernarg_segment_size: 172
    .language:       OpenCL C
    .language_version:
      - 2
      - 0
    .max_flat_workgroup_size: 1024
    .name:           _ZN9rocsparseL41csrgemm_numeric_fill_block_per_row_kernelILj1024ELj32ELj2048ELj137ELj64Ell21rocsparse_complex_numIdEEEvT5_PKS3_S5_NS_24const_host_device_scalarIT6_EEPKT4_S5_PKS7_SB_S5_SD_S8_SB_S5_SD_SB_S5_PS7_21rocsparse_index_base_SF_SF_SF_bbb
    .private_segment_fixed_size: 40
    .sgpr_count:     62
    .sgpr_spill_count: 0
    .symbol:         _ZN9rocsparseL41csrgemm_numeric_fill_block_per_row_kernelILj1024ELj32ELj2048ELj137ELj64Ell21rocsparse_complex_numIdEEEvT5_PKS3_S5_NS_24const_host_device_scalarIT6_EEPKT4_S5_PKS7_SB_S5_SD_S8_SB_S5_SD_SB_S5_PS7_21rocsparse_index_base_SF_SF_SF_bbb.kd
    .uniform_work_group_size: 1
    .uses_dynamic_stack: false
    .vgpr_count:     40
    .vgpr_spill_count: 0
    .wavefront_size: 64
  - .agpr_count:     0
    .args:
      - .offset:         0
        .size:           8
        .value_kind:     by_value
      - .actual_access:  read_only
        .address_space:  global
        .offset:         8
        .size:           8
        .value_kind:     global_buffer
      - .actual_access:  read_only
        .address_space:  global
        .offset:         16
        .size:           8
        .value_kind:     global_buffer
      - .offset:         24
        .size:           16
        .value_kind:     by_value
      - .actual_access:  read_only
        .address_space:  global
        .offset:         40
        .size:           8
        .value_kind:     global_buffer
      - .actual_access:  read_only
        .address_space:  global
        .offset:         48
        .size:           8
        .value_kind:     global_buffer
      - .actual_access:  read_only
        .address_space:  global
        .offset:         56
        .size:           8
        .value_kind:     global_buffer
      - .actual_access:  read_only
        .address_space:  global
        .offset:         64
        .size:           8
        .value_kind:     global_buffer
      - .actual_access:  read_only
        .address_space:  global
        .offset:         72
        .size:           8
        .value_kind:     global_buffer
      - .actual_access:  read_only
        .address_space:  global
        .offset:         80
        .size:           8
        .value_kind:     global_buffer
      - .offset:         88
        .size:           16
        .value_kind:     by_value
      - .actual_access:  read_only
        .address_space:  global
        .offset:         104
        .size:           8
        .value_kind:     global_buffer
      - .actual_access:  read_only
        .address_space:  global
        .offset:         112
        .size:           8
        .value_kind:     global_buffer
      - .actual_access:  read_only
        .address_space:  global
        .offset:         120
        .size:           8
        .value_kind:     global_buffer
      - .actual_access:  read_only
        .address_space:  global
        .offset:         128
        .size:           8
        .value_kind:     global_buffer
      - .actual_access:  read_only
        .address_space:  global
        .offset:         136
        .size:           8
        .value_kind:     global_buffer
      - .actual_access:  write_only
        .address_space:  global
        .offset:         144
        .size:           8
        .value_kind:     global_buffer
      - .offset:         152
        .size:           4
        .value_kind:     by_value
      - .offset:         156
        .size:           4
        .value_kind:     by_value
      - .offset:         160
        .size:           4
        .value_kind:     by_value
      - .offset:         164
        .size:           4
        .value_kind:     by_value
      - .offset:         168
        .size:           1
        .value_kind:     by_value
      - .offset:         169
        .size:           1
        .value_kind:     by_value
      - .offset:         170
        .size:           1
        .value_kind:     by_value
    .group_segment_fixed_size: 0
    .kernarg_segment_align: 8
    .kernarg_segment_size: 172
    .language:       OpenCL C
    .language_version:
      - 2
      - 0
    .max_flat_workgroup_size: 1024
    .name:           _ZN9rocsparseL41csrgemm_numeric_fill_block_per_row_kernelILj1024ELj64ELj4096ELj137ELj32Ell21rocsparse_complex_numIdEEEvT5_PKS3_S5_NS_24const_host_device_scalarIT6_EEPKT4_S5_PKS7_SB_S5_SD_S8_SB_S5_SD_SB_S5_PS7_21rocsparse_index_base_SF_SF_SF_bbb
    .private_segment_fixed_size: 40
    .sgpr_count:     106
    .sgpr_spill_count: 21
    .symbol:         _ZN9rocsparseL41csrgemm_numeric_fill_block_per_row_kernelILj1024ELj64ELj4096ELj137ELj32Ell21rocsparse_complex_numIdEEEvT5_PKS3_S5_NS_24const_host_device_scalarIT6_EEPKT4_S5_PKS7_SB_S5_SD_S8_SB_S5_SD_SB_S5_PS7_21rocsparse_index_base_SF_SF_SF_bbb.kd
    .uniform_work_group_size: 1
    .uses_dynamic_stack: false
    .vgpr_count:     41
    .vgpr_spill_count: 0
    .wavefront_size: 64
  - .agpr_count:     0
    .args:
      - .offset:         0
        .size:           8
        .value_kind:     by_value
      - .actual_access:  read_only
        .address_space:  global
        .offset:         8
        .size:           8
        .value_kind:     global_buffer
      - .actual_access:  read_only
        .address_space:  global
        .offset:         16
        .size:           8
        .value_kind:     global_buffer
      - .offset:         24
        .size:           16
        .value_kind:     by_value
      - .actual_access:  read_only
        .address_space:  global
        .offset:         40
        .size:           8
        .value_kind:     global_buffer
      - .actual_access:  read_only
        .address_space:  global
        .offset:         48
        .size:           8
        .value_kind:     global_buffer
      - .actual_access:  read_only
        .address_space:  global
        .offset:         56
        .size:           8
        .value_kind:     global_buffer
      - .actual_access:  read_only
        .address_space:  global
        .offset:         64
        .size:           8
        .value_kind:     global_buffer
      - .actual_access:  read_only
        .address_space:  global
        .offset:         72
        .size:           8
        .value_kind:     global_buffer
      - .actual_access:  read_only
        .address_space:  global
        .offset:         80
        .size:           8
        .value_kind:     global_buffer
      - .offset:         88
        .size:           16
        .value_kind:     by_value
      - .actual_access:  read_only
        .address_space:  global
        .offset:         104
        .size:           8
        .value_kind:     global_buffer
      - .actual_access:  read_only
        .address_space:  global
        .offset:         112
        .size:           8
        .value_kind:     global_buffer
      - .actual_access:  read_only
        .address_space:  global
        .offset:         120
        .size:           8
        .value_kind:     global_buffer
      - .actual_access:  read_only
        .address_space:  global
        .offset:         128
        .size:           8
        .value_kind:     global_buffer
      - .actual_access:  read_only
        .address_space:  global
        .offset:         136
        .size:           8
        .value_kind:     global_buffer
      - .actual_access:  write_only
        .address_space:  global
        .offset:         144
        .size:           8
        .value_kind:     global_buffer
      - .offset:         152
        .size:           4
        .value_kind:     by_value
      - .offset:         156
        .size:           4
        .value_kind:     by_value
      - .offset:         160
        .size:           4
        .value_kind:     by_value
      - .offset:         164
        .size:           4
        .value_kind:     by_value
      - .offset:         168
        .size:           1
        .value_kind:     by_value
      - .offset:         169
        .size:           1
        .value_kind:     by_value
      - .offset:         170
        .size:           1
        .value_kind:     by_value
    .group_segment_fixed_size: 0
    .kernarg_segment_align: 8
    .kernarg_segment_size: 172
    .language:       OpenCL C
    .language_version:
      - 2
      - 0
    .max_flat_workgroup_size: 1024
    .name:           _ZN9rocsparseL41csrgemm_numeric_fill_block_per_row_kernelILj1024ELj64ELj4096ELj137ELj64Ell21rocsparse_complex_numIdEEEvT5_PKS3_S5_NS_24const_host_device_scalarIT6_EEPKT4_S5_PKS7_SB_S5_SD_S8_SB_S5_SD_SB_S5_PS7_21rocsparse_index_base_SF_SF_SF_bbb
    .private_segment_fixed_size: 40
    .sgpr_count:     69
    .sgpr_spill_count: 0
    .symbol:         _ZN9rocsparseL41csrgemm_numeric_fill_block_per_row_kernelILj1024ELj64ELj4096ELj137ELj64Ell21rocsparse_complex_numIdEEEvT5_PKS3_S5_NS_24const_host_device_scalarIT6_EEPKT4_S5_PKS7_SB_S5_SD_S8_SB_S5_SD_SB_S5_PS7_21rocsparse_index_base_SF_SF_SF_bbb.kd
    .uniform_work_group_size: 1
    .uses_dynamic_stack: false
    .vgpr_count:     40
    .vgpr_spill_count: 0
    .wavefront_size: 64
  - .agpr_count:     0
    .args:
      - .offset:         0
        .size:           8
        .value_kind:     by_value
      - .actual_access:  read_only
        .address_space:  global
        .offset:         8
        .size:           8
        .value_kind:     global_buffer
      - .actual_access:  read_only
        .address_space:  global
        .offset:         16
        .size:           8
        .value_kind:     global_buffer
      - .offset:         24
        .size:           16
        .value_kind:     by_value
      - .actual_access:  read_only
        .address_space:  global
        .offset:         40
        .size:           8
        .value_kind:     global_buffer
      - .actual_access:  read_only
        .address_space:  global
        .offset:         48
        .size:           8
        .value_kind:     global_buffer
      - .actual_access:  read_only
        .address_space:  global
        .offset:         56
        .size:           8
        .value_kind:     global_buffer
      - .actual_access:  read_only
        .address_space:  global
        .offset:         64
        .size:           8
        .value_kind:     global_buffer
      - .actual_access:  read_only
        .address_space:  global
        .offset:         72
        .size:           8
        .value_kind:     global_buffer
      - .actual_access:  read_only
        .address_space:  global
        .offset:         80
        .size:           8
        .value_kind:     global_buffer
      - .offset:         88
        .size:           16
        .value_kind:     by_value
      - .actual_access:  read_only
        .address_space:  global
        .offset:         104
        .size:           8
        .value_kind:     global_buffer
      - .actual_access:  read_only
        .address_space:  global
        .offset:         112
        .size:           8
        .value_kind:     global_buffer
      - .actual_access:  read_only
        .address_space:  global
        .offset:         120
        .size:           8
        .value_kind:     global_buffer
      - .actual_access:  read_only
        .address_space:  global
        .offset:         128
        .size:           8
        .value_kind:     global_buffer
      - .actual_access:  read_only
        .address_space:  global
        .offset:         136
        .size:           8
        .value_kind:     global_buffer
      - .actual_access:  write_only
        .address_space:  global
        .offset:         144
        .size:           8
        .value_kind:     global_buffer
      - .offset:         152
        .size:           4
        .value_kind:     by_value
      - .offset:         156
        .size:           4
        .value_kind:     by_value
      - .offset:         160
        .size:           4
        .value_kind:     by_value
      - .offset:         164
        .size:           4
        .value_kind:     by_value
      - .offset:         168
        .size:           1
        .value_kind:     by_value
      - .offset:         169
        .size:           1
        .value_kind:     by_value
      - .offset:         170
        .size:           1
        .value_kind:     by_value
    .group_segment_fixed_size: 0
    .kernarg_segment_align: 8
    .kernarg_segment_size: 172
    .language:       OpenCL C
    .language_version:
      - 2
      - 0
    .max_flat_workgroup_size: 1024
    .name:           _ZN9rocsparseL41csrgemm_numeric_fill_block_per_row_kernelILj1024ELj64ELj8192ELj137ELj32Ell21rocsparse_complex_numIdEEEvT5_PKS3_S5_NS_24const_host_device_scalarIT6_EEPKT4_S5_PKS7_SB_S5_SD_S8_SB_S5_SD_SB_S5_PS7_21rocsparse_index_base_SF_SF_SF_bbb
    .private_segment_fixed_size: 40
    .sgpr_count:     106
    .sgpr_spill_count: 15
    .symbol:         _ZN9rocsparseL41csrgemm_numeric_fill_block_per_row_kernelILj1024ELj64ELj8192ELj137ELj32Ell21rocsparse_complex_numIdEEEvT5_PKS3_S5_NS_24const_host_device_scalarIT6_EEPKT4_S5_PKS7_SB_S5_SD_S8_SB_S5_SD_SB_S5_PS7_21rocsparse_index_base_SF_SF_SF_bbb.kd
    .uniform_work_group_size: 1
    .uses_dynamic_stack: false
    .vgpr_count:     39
    .vgpr_spill_count: 0
    .wavefront_size: 64
  - .agpr_count:     0
    .args:
      - .offset:         0
        .size:           8
        .value_kind:     by_value
      - .actual_access:  read_only
        .address_space:  global
        .offset:         8
        .size:           8
        .value_kind:     global_buffer
      - .actual_access:  read_only
        .address_space:  global
        .offset:         16
        .size:           8
        .value_kind:     global_buffer
      - .offset:         24
        .size:           16
        .value_kind:     by_value
      - .actual_access:  read_only
        .address_space:  global
        .offset:         40
        .size:           8
        .value_kind:     global_buffer
      - .actual_access:  read_only
        .address_space:  global
        .offset:         48
        .size:           8
        .value_kind:     global_buffer
      - .actual_access:  read_only
        .address_space:  global
        .offset:         56
        .size:           8
        .value_kind:     global_buffer
      - .actual_access:  read_only
        .address_space:  global
        .offset:         64
        .size:           8
        .value_kind:     global_buffer
      - .actual_access:  read_only
        .address_space:  global
        .offset:         72
        .size:           8
        .value_kind:     global_buffer
      - .actual_access:  read_only
        .address_space:  global
        .offset:         80
        .size:           8
        .value_kind:     global_buffer
      - .offset:         88
        .size:           16
        .value_kind:     by_value
      - .actual_access:  read_only
        .address_space:  global
        .offset:         104
        .size:           8
        .value_kind:     global_buffer
      - .actual_access:  read_only
        .address_space:  global
        .offset:         112
        .size:           8
        .value_kind:     global_buffer
      - .actual_access:  read_only
        .address_space:  global
        .offset:         120
        .size:           8
        .value_kind:     global_buffer
      - .actual_access:  read_only
        .address_space:  global
        .offset:         128
        .size:           8
        .value_kind:     global_buffer
      - .actual_access:  read_only
        .address_space:  global
        .offset:         136
        .size:           8
        .value_kind:     global_buffer
      - .actual_access:  write_only
        .address_space:  global
        .offset:         144
        .size:           8
        .value_kind:     global_buffer
      - .offset:         152
        .size:           4
        .value_kind:     by_value
      - .offset:         156
        .size:           4
        .value_kind:     by_value
      - .offset:         160
        .size:           4
        .value_kind:     by_value
      - .offset:         164
        .size:           4
        .value_kind:     by_value
      - .offset:         168
        .size:           1
        .value_kind:     by_value
      - .offset:         169
        .size:           1
        .value_kind:     by_value
      - .offset:         170
        .size:           1
        .value_kind:     by_value
    .group_segment_fixed_size: 0
    .kernarg_segment_align: 8
    .kernarg_segment_size: 172
    .language:       OpenCL C
    .language_version:
      - 2
      - 0
    .max_flat_workgroup_size: 1024
    .name:           _ZN9rocsparseL41csrgemm_numeric_fill_block_per_row_kernelILj1024ELj64ELj8192ELj137ELj64Ell21rocsparse_complex_numIdEEEvT5_PKS3_S5_NS_24const_host_device_scalarIT6_EEPKT4_S5_PKS7_SB_S5_SD_S8_SB_S5_SD_SB_S5_PS7_21rocsparse_index_base_SF_SF_SF_bbb
    .private_segment_fixed_size: 40
    .sgpr_count:     69
    .sgpr_spill_count: 0
    .symbol:         _ZN9rocsparseL41csrgemm_numeric_fill_block_per_row_kernelILj1024ELj64ELj8192ELj137ELj64Ell21rocsparse_complex_numIdEEEvT5_PKS3_S5_NS_24const_host_device_scalarIT6_EEPKT4_S5_PKS7_SB_S5_SD_S8_SB_S5_SD_SB_S5_PS7_21rocsparse_index_base_SF_SF_SF_bbb.kd
    .uniform_work_group_size: 1
    .uses_dynamic_stack: false
    .vgpr_count:     38
    .vgpr_spill_count: 0
    .wavefront_size: 64
  - .agpr_count:     0
    .args:
      - .offset:         0
        .size:           8
        .value_kind:     by_value
      - .actual_access:  read_only
        .address_space:  global
        .offset:         8
        .size:           8
        .value_kind:     global_buffer
      - .actual_access:  read_only
        .address_space:  global
        .offset:         16
        .size:           8
        .value_kind:     global_buffer
      - .offset:         24
        .size:           16
        .value_kind:     by_value
      - .actual_access:  read_only
        .address_space:  global
        .offset:         40
        .size:           8
        .value_kind:     global_buffer
      - .actual_access:  read_only
        .address_space:  global
        .offset:         48
        .size:           8
        .value_kind:     global_buffer
      - .actual_access:  read_only
        .address_space:  global
        .offset:         56
        .size:           8
        .value_kind:     global_buffer
      - .actual_access:  read_only
        .address_space:  global
        .offset:         64
        .size:           8
        .value_kind:     global_buffer
      - .actual_access:  read_only
        .address_space:  global
        .offset:         72
        .size:           8
        .value_kind:     global_buffer
      - .actual_access:  read_only
        .address_space:  global
        .offset:         80
        .size:           8
        .value_kind:     global_buffer
      - .offset:         88
        .size:           16
        .value_kind:     by_value
      - .actual_access:  read_only
        .address_space:  global
        .offset:         104
        .size:           8
        .value_kind:     global_buffer
      - .actual_access:  read_only
        .address_space:  global
        .offset:         112
        .size:           8
        .value_kind:     global_buffer
      - .actual_access:  read_only
        .address_space:  global
        .offset:         120
        .size:           8
        .value_kind:     global_buffer
      - .actual_access:  read_only
        .address_space:  global
        .offset:         128
        .size:           8
        .value_kind:     global_buffer
      - .actual_access:  read_only
        .address_space:  global
        .offset:         136
        .size:           8
        .value_kind:     global_buffer
      - .actual_access:  write_only
        .address_space:  global
        .offset:         144
        .size:           8
        .value_kind:     global_buffer
      - .offset:         152
        .size:           4
        .value_kind:     by_value
      - .offset:         156
        .size:           4
        .value_kind:     by_value
      - .offset:         160
        .size:           4
        .value_kind:     by_value
      - .offset:         164
        .size:           4
        .value_kind:     by_value
      - .offset:         168
        .size:           1
        .value_kind:     by_value
      - .offset:         169
        .size:           1
        .value_kind:     by_value
      - .offset:         170
        .size:           1
        .value_kind:     by_value
    .group_segment_fixed_size: 0
    .kernarg_segment_align: 8
    .kernarg_segment_size: 172
    .language:       OpenCL C
    .language_version:
      - 2
      - 0
    .max_flat_workgroup_size: 1024
    .name:           _ZN9rocsparseL41csrgemm_numeric_fill_block_per_row_kernelILj1024ELj64ELj16384ELj137ELj32Ell21rocsparse_complex_numIdEEEvT5_PKS3_S5_NS_24const_host_device_scalarIT6_EEPKT4_S5_PKS7_SB_S5_SD_S8_SB_S5_SD_SB_S5_PS7_21rocsparse_index_base_SF_SF_SF_bbb
    .private_segment_fixed_size: 40
    .sgpr_count:     106
    .sgpr_spill_count: 21
    .symbol:         _ZN9rocsparseL41csrgemm_numeric_fill_block_per_row_kernelILj1024ELj64ELj16384ELj137ELj32Ell21rocsparse_complex_numIdEEEvT5_PKS3_S5_NS_24const_host_device_scalarIT6_EEPKT4_S5_PKS7_SB_S5_SD_S8_SB_S5_SD_SB_S5_PS7_21rocsparse_index_base_SF_SF_SF_bbb.kd
    .uniform_work_group_size: 1
    .uses_dynamic_stack: false
    .vgpr_count:     39
    .vgpr_spill_count: 0
    .wavefront_size: 64
  - .agpr_count:     0
    .args:
      - .offset:         0
        .size:           8
        .value_kind:     by_value
      - .actual_access:  read_only
        .address_space:  global
        .offset:         8
        .size:           8
        .value_kind:     global_buffer
      - .actual_access:  read_only
        .address_space:  global
        .offset:         16
        .size:           8
        .value_kind:     global_buffer
      - .offset:         24
        .size:           16
        .value_kind:     by_value
      - .actual_access:  read_only
        .address_space:  global
        .offset:         40
        .size:           8
        .value_kind:     global_buffer
      - .actual_access:  read_only
        .address_space:  global
        .offset:         48
        .size:           8
        .value_kind:     global_buffer
      - .actual_access:  read_only
        .address_space:  global
        .offset:         56
        .size:           8
        .value_kind:     global_buffer
      - .actual_access:  read_only
        .address_space:  global
        .offset:         64
        .size:           8
        .value_kind:     global_buffer
      - .actual_access:  read_only
        .address_space:  global
        .offset:         72
        .size:           8
        .value_kind:     global_buffer
      - .actual_access:  read_only
        .address_space:  global
        .offset:         80
        .size:           8
        .value_kind:     global_buffer
      - .offset:         88
        .size:           16
        .value_kind:     by_value
      - .actual_access:  read_only
        .address_space:  global
        .offset:         104
        .size:           8
        .value_kind:     global_buffer
      - .actual_access:  read_only
        .address_space:  global
        .offset:         112
        .size:           8
        .value_kind:     global_buffer
      - .actual_access:  read_only
        .address_space:  global
        .offset:         120
        .size:           8
        .value_kind:     global_buffer
      - .actual_access:  read_only
        .address_space:  global
        .offset:         128
        .size:           8
        .value_kind:     global_buffer
      - .actual_access:  read_only
        .address_space:  global
        .offset:         136
        .size:           8
        .value_kind:     global_buffer
      - .actual_access:  write_only
        .address_space:  global
        .offset:         144
        .size:           8
        .value_kind:     global_buffer
      - .offset:         152
        .size:           4
        .value_kind:     by_value
      - .offset:         156
        .size:           4
        .value_kind:     by_value
      - .offset:         160
        .size:           4
        .value_kind:     by_value
      - .offset:         164
        .size:           4
        .value_kind:     by_value
      - .offset:         168
        .size:           1
        .value_kind:     by_value
      - .offset:         169
        .size:           1
        .value_kind:     by_value
      - .offset:         170
        .size:           1
        .value_kind:     by_value
    .group_segment_fixed_size: 0
    .kernarg_segment_align: 8
    .kernarg_segment_size: 172
    .language:       OpenCL C
    .language_version:
      - 2
      - 0
    .max_flat_workgroup_size: 1024
    .name:           _ZN9rocsparseL41csrgemm_numeric_fill_block_per_row_kernelILj1024ELj64ELj16384ELj137ELj64Ell21rocsparse_complex_numIdEEEvT5_PKS3_S5_NS_24const_host_device_scalarIT6_EEPKT4_S5_PKS7_SB_S5_SD_S8_SB_S5_SD_SB_S5_PS7_21rocsparse_index_base_SF_SF_SF_bbb
    .private_segment_fixed_size: 40
    .sgpr_count:     69
    .sgpr_spill_count: 0
    .symbol:         _ZN9rocsparseL41csrgemm_numeric_fill_block_per_row_kernelILj1024ELj64ELj16384ELj137ELj64Ell21rocsparse_complex_numIdEEEvT5_PKS3_S5_NS_24const_host_device_scalarIT6_EEPKT4_S5_PKS7_SB_S5_SD_S8_SB_S5_SD_SB_S5_PS7_21rocsparse_index_base_SF_SF_SF_bbb.kd
    .uniform_work_group_size: 1
    .uses_dynamic_stack: false
    .vgpr_count:     38
    .vgpr_spill_count: 0
    .wavefront_size: 64
  - .agpr_count:     0
    .args:
      - .offset:         0
        .size:           8
        .value_kind:     by_value
      - .actual_access:  read_only
        .address_space:  global
        .offset:         8
        .size:           8
        .value_kind:     global_buffer
      - .actual_access:  read_only
        .address_space:  global
        .offset:         16
        .size:           8
        .value_kind:     global_buffer
      - .offset:         24
        .size:           16
        .value_kind:     by_value
      - .actual_access:  read_only
        .address_space:  global
        .offset:         40
        .size:           8
        .value_kind:     global_buffer
      - .actual_access:  read_only
        .address_space:  global
        .offset:         48
        .size:           8
        .value_kind:     global_buffer
      - .actual_access:  read_only
        .address_space:  global
        .offset:         56
        .size:           8
        .value_kind:     global_buffer
      - .actual_access:  read_only
        .address_space:  global
        .offset:         64
        .size:           8
        .value_kind:     global_buffer
      - .actual_access:  read_only
        .address_space:  global
        .offset:         72
        .size:           8
        .value_kind:     global_buffer
      - .actual_access:  read_only
        .address_space:  global
        .offset:         80
        .size:           8
        .value_kind:     global_buffer
      - .offset:         88
        .size:           16
        .value_kind:     by_value
      - .actual_access:  read_only
        .address_space:  global
        .offset:         104
        .size:           8
        .value_kind:     global_buffer
      - .actual_access:  read_only
        .address_space:  global
        .offset:         112
        .size:           8
        .value_kind:     global_buffer
      - .actual_access:  read_only
        .address_space:  global
        .offset:         120
        .size:           8
        .value_kind:     global_buffer
      - .actual_access:  read_only
        .address_space:  global
        .offset:         128
        .size:           8
        .value_kind:     global_buffer
      - .actual_access:  read_only
        .address_space:  global
        .offset:         136
        .size:           8
        .value_kind:     global_buffer
      - .actual_access:  write_only
        .address_space:  global
        .offset:         144
        .size:           8
        .value_kind:     global_buffer
      - .offset:         152
        .size:           4
        .value_kind:     by_value
      - .offset:         156
        .size:           4
        .value_kind:     by_value
      - .offset:         160
        .size:           4
        .value_kind:     by_value
      - .offset:         164
        .size:           4
        .value_kind:     by_value
      - .offset:         168
        .size:           1
        .value_kind:     by_value
      - .offset:         169
        .size:           1
        .value_kind:     by_value
      - .offset:         170
        .size:           1
        .value_kind:     by_value
    .group_segment_fixed_size: 0
    .kernarg_segment_align: 8
    .kernarg_segment_size: 172
    .language:       OpenCL C
    .language_version:
      - 2
      - 0
    .max_flat_workgroup_size: 1024
    .name:           _ZN9rocsparseL41csrgemm_numeric_fill_block_per_row_kernelILj1024ELj64ELj32768ELj137ELj32Ell21rocsparse_complex_numIdEEEvT5_PKS3_S5_NS_24const_host_device_scalarIT6_EEPKT4_S5_PKS7_SB_S5_SD_S8_SB_S5_SD_SB_S5_PS7_21rocsparse_index_base_SF_SF_SF_bbb
    .private_segment_fixed_size: 40
    .sgpr_count:     106
    .sgpr_spill_count: 21
    .symbol:         _ZN9rocsparseL41csrgemm_numeric_fill_block_per_row_kernelILj1024ELj64ELj32768ELj137ELj32Ell21rocsparse_complex_numIdEEEvT5_PKS3_S5_NS_24const_host_device_scalarIT6_EEPKT4_S5_PKS7_SB_S5_SD_S8_SB_S5_SD_SB_S5_PS7_21rocsparse_index_base_SF_SF_SF_bbb.kd
    .uniform_work_group_size: 1
    .uses_dynamic_stack: false
    .vgpr_count:     39
    .vgpr_spill_count: 0
    .wavefront_size: 64
  - .agpr_count:     0
    .args:
      - .offset:         0
        .size:           8
        .value_kind:     by_value
      - .actual_access:  read_only
        .address_space:  global
        .offset:         8
        .size:           8
        .value_kind:     global_buffer
      - .actual_access:  read_only
        .address_space:  global
        .offset:         16
        .size:           8
        .value_kind:     global_buffer
      - .offset:         24
        .size:           16
        .value_kind:     by_value
      - .actual_access:  read_only
        .address_space:  global
        .offset:         40
        .size:           8
        .value_kind:     global_buffer
      - .actual_access:  read_only
        .address_space:  global
        .offset:         48
        .size:           8
        .value_kind:     global_buffer
      - .actual_access:  read_only
        .address_space:  global
        .offset:         56
        .size:           8
        .value_kind:     global_buffer
      - .actual_access:  read_only
        .address_space:  global
        .offset:         64
        .size:           8
        .value_kind:     global_buffer
      - .actual_access:  read_only
        .address_space:  global
        .offset:         72
        .size:           8
        .value_kind:     global_buffer
      - .actual_access:  read_only
        .address_space:  global
        .offset:         80
        .size:           8
        .value_kind:     global_buffer
      - .offset:         88
        .size:           16
        .value_kind:     by_value
      - .actual_access:  read_only
        .address_space:  global
        .offset:         104
        .size:           8
        .value_kind:     global_buffer
      - .actual_access:  read_only
        .address_space:  global
        .offset:         112
        .size:           8
        .value_kind:     global_buffer
      - .actual_access:  read_only
        .address_space:  global
        .offset:         120
        .size:           8
        .value_kind:     global_buffer
      - .actual_access:  read_only
        .address_space:  global
        .offset:         128
        .size:           8
        .value_kind:     global_buffer
      - .actual_access:  read_only
        .address_space:  global
        .offset:         136
        .size:           8
        .value_kind:     global_buffer
      - .actual_access:  write_only
        .address_space:  global
        .offset:         144
        .size:           8
        .value_kind:     global_buffer
      - .offset:         152
        .size:           4
        .value_kind:     by_value
      - .offset:         156
        .size:           4
        .value_kind:     by_value
      - .offset:         160
        .size:           4
        .value_kind:     by_value
      - .offset:         164
        .size:           4
        .value_kind:     by_value
      - .offset:         168
        .size:           1
        .value_kind:     by_value
      - .offset:         169
        .size:           1
        .value_kind:     by_value
      - .offset:         170
        .size:           1
        .value_kind:     by_value
    .group_segment_fixed_size: 0
    .kernarg_segment_align: 8
    .kernarg_segment_size: 172
    .language:       OpenCL C
    .language_version:
      - 2
      - 0
    .max_flat_workgroup_size: 1024
    .name:           _ZN9rocsparseL41csrgemm_numeric_fill_block_per_row_kernelILj1024ELj64ELj32768ELj137ELj64Ell21rocsparse_complex_numIdEEEvT5_PKS3_S5_NS_24const_host_device_scalarIT6_EEPKT4_S5_PKS7_SB_S5_SD_S8_SB_S5_SD_SB_S5_PS7_21rocsparse_index_base_SF_SF_SF_bbb
    .private_segment_fixed_size: 40
    .sgpr_count:     69
    .sgpr_spill_count: 0
    .symbol:         _ZN9rocsparseL41csrgemm_numeric_fill_block_per_row_kernelILj1024ELj64ELj32768ELj137ELj64Ell21rocsparse_complex_numIdEEEvT5_PKS3_S5_NS_24const_host_device_scalarIT6_EEPKT4_S5_PKS7_SB_S5_SD_S8_SB_S5_SD_SB_S5_PS7_21rocsparse_index_base_SF_SF_SF_bbb.kd
    .uniform_work_group_size: 1
    .uses_dynamic_stack: false
    .vgpr_count:     38
    .vgpr_spill_count: 0
    .wavefront_size: 64
  - .agpr_count:     0
    .args:
      - .offset:         0
        .size:           8
        .value_kind:     by_value
      - .actual_access:  read_only
        .address_space:  global
        .offset:         8
        .size:           8
        .value_kind:     global_buffer
      - .actual_access:  read_only
        .address_space:  global
        .offset:         16
        .size:           8
        .value_kind:     global_buffer
      - .offset:         24
        .size:           16
        .value_kind:     by_value
      - .actual_access:  read_only
        .address_space:  global
        .offset:         40
        .size:           8
        .value_kind:     global_buffer
      - .actual_access:  read_only
        .address_space:  global
        .offset:         48
        .size:           8
        .value_kind:     global_buffer
      - .actual_access:  read_only
        .address_space:  global
        .offset:         56
        .size:           8
        .value_kind:     global_buffer
      - .actual_access:  read_only
        .address_space:  global
        .offset:         64
        .size:           8
        .value_kind:     global_buffer
      - .actual_access:  read_only
        .address_space:  global
        .offset:         72
        .size:           8
        .value_kind:     global_buffer
      - .actual_access:  read_only
        .address_space:  global
        .offset:         80
        .size:           8
        .value_kind:     global_buffer
      - .offset:         88
        .size:           16
        .value_kind:     by_value
      - .actual_access:  read_only
        .address_space:  global
        .offset:         104
        .size:           8
        .value_kind:     global_buffer
      - .actual_access:  read_only
        .address_space:  global
        .offset:         112
        .size:           8
        .value_kind:     global_buffer
      - .actual_access:  read_only
        .address_space:  global
        .offset:         120
        .size:           8
        .value_kind:     global_buffer
      - .actual_access:  read_only
        .address_space:  global
        .offset:         128
        .size:           8
        .value_kind:     global_buffer
      - .actual_access:  read_only
        .address_space:  global
        .offset:         136
        .size:           8
        .value_kind:     global_buffer
      - .actual_access:  write_only
        .address_space:  global
        .offset:         144
        .size:           8
        .value_kind:     global_buffer
      - .address_space:  global
        .offset:         152
        .size:           8
        .value_kind:     global_buffer
      - .offset:         160
        .size:           4
        .value_kind:     by_value
      - .offset:         164
        .size:           4
        .value_kind:     by_value
      - .offset:         168
        .size:           4
        .value_kind:     by_value
      - .offset:         172
        .size:           4
        .value_kind:     by_value
      - .offset:         176
        .size:           1
        .value_kind:     by_value
      - .offset:         177
        .size:           1
        .value_kind:     by_value
      - .offset:         178
        .size:           1
        .value_kind:     by_value
    .group_segment_fixed_size: 34824
    .kernarg_segment_align: 8
    .kernarg_segment_size: 180
    .language:       OpenCL C
    .language_version:
      - 2
      - 0
    .max_flat_workgroup_size: 512
    .name:           _ZN9rocsparseL51csrgemm_numeric_fill_block_per_row_multipass_kernelILj512ELj16ELj2048ELj32Ell21rocsparse_complex_numIdEEEvT4_PKS3_S5_NS_24const_host_device_scalarIT5_EEPKT3_S5_PKS7_SB_S5_SD_S8_SB_S5_SD_SB_S5_PS7_PS9_21rocsparse_index_base_SG_SG_SG_bbb
    .private_segment_fixed_size: 40
    .sgpr_count:     106
    .sgpr_spill_count: 2
    .symbol:         _ZN9rocsparseL51csrgemm_numeric_fill_block_per_row_multipass_kernelILj512ELj16ELj2048ELj32Ell21rocsparse_complex_numIdEEEvT4_PKS3_S5_NS_24const_host_device_scalarIT5_EEPKT3_S5_PKS7_SB_S5_SD_S8_SB_S5_SD_SB_S5_PS7_PS9_21rocsparse_index_base_SG_SG_SG_bbb.kd
    .uniform_work_group_size: 1
    .uses_dynamic_stack: false
    .vgpr_count:     62
    .vgpr_spill_count: 0
    .wavefront_size: 64
  - .agpr_count:     0
    .args:
      - .offset:         0
        .size:           8
        .value_kind:     by_value
      - .actual_access:  read_only
        .address_space:  global
        .offset:         8
        .size:           8
        .value_kind:     global_buffer
      - .actual_access:  read_only
        .address_space:  global
        .offset:         16
        .size:           8
        .value_kind:     global_buffer
      - .offset:         24
        .size:           16
        .value_kind:     by_value
      - .actual_access:  read_only
        .address_space:  global
        .offset:         40
        .size:           8
        .value_kind:     global_buffer
      - .actual_access:  read_only
        .address_space:  global
        .offset:         48
        .size:           8
        .value_kind:     global_buffer
      - .actual_access:  read_only
        .address_space:  global
        .offset:         56
        .size:           8
        .value_kind:     global_buffer
      - .actual_access:  read_only
        .address_space:  global
        .offset:         64
        .size:           8
        .value_kind:     global_buffer
      - .actual_access:  read_only
        .address_space:  global
        .offset:         72
        .size:           8
        .value_kind:     global_buffer
      - .actual_access:  read_only
        .address_space:  global
        .offset:         80
        .size:           8
        .value_kind:     global_buffer
      - .offset:         88
        .size:           16
        .value_kind:     by_value
      - .actual_access:  read_only
        .address_space:  global
        .offset:         104
        .size:           8
        .value_kind:     global_buffer
      - .actual_access:  read_only
        .address_space:  global
        .offset:         112
        .size:           8
        .value_kind:     global_buffer
      - .actual_access:  read_only
        .address_space:  global
        .offset:         120
        .size:           8
        .value_kind:     global_buffer
      - .actual_access:  read_only
        .address_space:  global
        .offset:         128
        .size:           8
        .value_kind:     global_buffer
      - .actual_access:  read_only
        .address_space:  global
        .offset:         136
        .size:           8
        .value_kind:     global_buffer
      - .actual_access:  write_only
        .address_space:  global
        .offset:         144
        .size:           8
        .value_kind:     global_buffer
      - .address_space:  global
        .offset:         152
        .size:           8
        .value_kind:     global_buffer
      - .offset:         160
        .size:           4
        .value_kind:     by_value
      - .offset:         164
        .size:           4
        .value_kind:     by_value
      - .offset:         168
        .size:           4
        .value_kind:     by_value
      - .offset:         172
        .size:           4
        .value_kind:     by_value
      - .offset:         176
        .size:           1
        .value_kind:     by_value
      - .offset:         177
        .size:           1
        .value_kind:     by_value
      - .offset:         178
        .size:           1
        .value_kind:     by_value
    .group_segment_fixed_size: 34824
    .kernarg_segment_align: 8
    .kernarg_segment_size: 180
    .language:       OpenCL C
    .language_version:
      - 2
      - 0
    .max_flat_workgroup_size: 512
    .name:           _ZN9rocsparseL51csrgemm_numeric_fill_block_per_row_multipass_kernelILj512ELj16ELj2048ELj64Ell21rocsparse_complex_numIdEEEvT4_PKS3_S5_NS_24const_host_device_scalarIT5_EEPKT3_S5_PKS7_SB_S5_SD_S8_SB_S5_SD_SB_S5_PS7_PS9_21rocsparse_index_base_SG_SG_SG_bbb
    .private_segment_fixed_size: 40
    .sgpr_count:     91
    .sgpr_spill_count: 0
    .symbol:         _ZN9rocsparseL51csrgemm_numeric_fill_block_per_row_multipass_kernelILj512ELj16ELj2048ELj64Ell21rocsparse_complex_numIdEEEvT4_PKS3_S5_NS_24const_host_device_scalarIT5_EEPKT3_S5_PKS7_SB_S5_SD_S8_SB_S5_SD_SB_S5_PS7_PS9_21rocsparse_index_base_SG_SG_SG_bbb.kd
    .uniform_work_group_size: 1
    .uses_dynamic_stack: false
    .vgpr_count:     61
    .vgpr_spill_count: 0
    .wavefront_size: 64
  - .agpr_count:     0
    .args:
      - .offset:         0
        .size:           4
        .value_kind:     by_value
      - .offset:         4
        .size:           4
        .value_kind:     by_value
      - .actual_access:  read_only
        .address_space:  global
        .offset:         8
        .size:           8
        .value_kind:     global_buffer
      - .actual_access:  read_only
        .address_space:  global
        .offset:         16
        .size:           8
        .value_kind:     global_buffer
      - .offset:         24
        .size:           8
        .value_kind:     by_value
      - .actual_access:  read_only
        .address_space:  global
        .offset:         32
        .size:           8
        .value_kind:     global_buffer
      - .actual_access:  read_only
        .address_space:  global
        .offset:         40
        .size:           8
        .value_kind:     global_buffer
      - .actual_access:  read_only
        .address_space:  global
        .offset:         48
        .size:           8
        .value_kind:     global_buffer
      - .actual_access:  read_only
        .address_space:  global
        .offset:         56
        .size:           8
        .value_kind:     global_buffer
      - .actual_access:  read_only
        .address_space:  global
        .offset:         64
        .size:           8
        .value_kind:     global_buffer
      - .actual_access:  read_only
        .address_space:  global
        .offset:         72
        .size:           8
        .value_kind:     global_buffer
      - .offset:         80
        .size:           8
        .value_kind:     by_value
      - .actual_access:  read_only
        .address_space:  global
        .offset:         88
        .size:           8
        .value_kind:     global_buffer
      - .actual_access:  read_only
        .address_space:  global
        .offset:         96
        .size:           8
        .value_kind:     global_buffer
      - .actual_access:  read_only
        .address_space:  global
        .offset:         104
        .size:           8
        .value_kind:     global_buffer
      - .actual_access:  read_only
        .address_space:  global
        .offset:         112
        .size:           8
        .value_kind:     global_buffer
      - .actual_access:  read_only
        .address_space:  global
        .offset:         120
        .size:           8
        .value_kind:     global_buffer
      - .actual_access:  write_only
        .address_space:  global
        .offset:         128
        .size:           8
        .value_kind:     global_buffer
      - .offset:         136
        .size:           4
        .value_kind:     by_value
      - .offset:         140
        .size:           4
        .value_kind:     by_value
      - .offset:         144
        .size:           4
        .value_kind:     by_value
      - .offset:         148
        .size:           4
        .value_kind:     by_value
      - .offset:         152
        .size:           1
        .value_kind:     by_value
      - .offset:         153
        .size:           1
        .value_kind:     by_value
      - .offset:         154
        .size:           1
        .value_kind:     by_value
    .group_segment_fixed_size: 4096
    .kernarg_segment_align: 8
    .kernarg_segment_size: 156
    .language:       OpenCL C
    .language_version:
      - 2
      - 0
    .max_flat_workgroup_size: 256
    .name:           _ZN9rocsparseL38csrgemm_numeric_fill_wf_per_row_kernelILj256ELj8ELj16ELj137ElifEEvT4_S1_PKS1_S3_NS_24const_host_device_scalarIT5_EEPKT3_S3_PKS5_S9_S3_SB_S6_S9_S3_SB_S9_S3_PS5_21rocsparse_index_base_SD_SD_SD_bbb
    .private_segment_fixed_size: 0
    .sgpr_count:     54
    .sgpr_spill_count: 0
    .symbol:         _ZN9rocsparseL38csrgemm_numeric_fill_wf_per_row_kernelILj256ELj8ELj16ELj137ElifEEvT4_S1_PKS1_S3_NS_24const_host_device_scalarIT5_EEPKT3_S3_PKS5_S9_S3_SB_S6_S9_S3_SB_S9_S3_PS5_21rocsparse_index_base_SD_SD_SD_bbb.kd
    .uniform_work_group_size: 1
    .uses_dynamic_stack: false
    .vgpr_count:     28
    .vgpr_spill_count: 0
    .wavefront_size: 64
  - .agpr_count:     0
    .args:
      - .offset:         0
        .size:           4
        .value_kind:     by_value
      - .offset:         4
        .size:           4
        .value_kind:     by_value
      - .actual_access:  read_only
        .address_space:  global
        .offset:         8
        .size:           8
        .value_kind:     global_buffer
      - .actual_access:  read_only
        .address_space:  global
        .offset:         16
        .size:           8
        .value_kind:     global_buffer
      - .offset:         24
        .size:           8
        .value_kind:     by_value
      - .actual_access:  read_only
        .address_space:  global
        .offset:         32
        .size:           8
        .value_kind:     global_buffer
      - .actual_access:  read_only
        .address_space:  global
        .offset:         40
        .size:           8
        .value_kind:     global_buffer
      - .actual_access:  read_only
        .address_space:  global
        .offset:         48
        .size:           8
        .value_kind:     global_buffer
      - .actual_access:  read_only
        .address_space:  global
        .offset:         56
        .size:           8
        .value_kind:     global_buffer
      - .actual_access:  read_only
        .address_space:  global
        .offset:         64
        .size:           8
        .value_kind:     global_buffer
      - .actual_access:  read_only
        .address_space:  global
        .offset:         72
        .size:           8
        .value_kind:     global_buffer
      - .offset:         80
        .size:           8
        .value_kind:     by_value
      - .actual_access:  read_only
        .address_space:  global
        .offset:         88
        .size:           8
        .value_kind:     global_buffer
      - .actual_access:  read_only
        .address_space:  global
        .offset:         96
        .size:           8
        .value_kind:     global_buffer
      - .actual_access:  read_only
        .address_space:  global
        .offset:         104
        .size:           8
        .value_kind:     global_buffer
      - .actual_access:  read_only
        .address_space:  global
        .offset:         112
        .size:           8
        .value_kind:     global_buffer
      - .actual_access:  read_only
        .address_space:  global
        .offset:         120
        .size:           8
        .value_kind:     global_buffer
      - .actual_access:  write_only
        .address_space:  global
        .offset:         128
        .size:           8
        .value_kind:     global_buffer
      - .offset:         136
        .size:           4
        .value_kind:     by_value
      - .offset:         140
        .size:           4
        .value_kind:     by_value
      - .offset:         144
        .size:           4
        .value_kind:     by_value
      - .offset:         148
        .size:           4
        .value_kind:     by_value
      - .offset:         152
        .size:           1
        .value_kind:     by_value
      - .offset:         153
        .size:           1
        .value_kind:     by_value
      - .offset:         154
        .size:           1
        .value_kind:     by_value
    .group_segment_fixed_size: 4096
    .kernarg_segment_align: 8
    .kernarg_segment_size: 156
    .language:       OpenCL C
    .language_version:
      - 2
      - 0
    .max_flat_workgroup_size: 256
    .name:           _ZN9rocsparseL38csrgemm_numeric_fill_wf_per_row_kernelILj256ELj16ELj32ELj137ElifEEvT4_S1_PKS1_S3_NS_24const_host_device_scalarIT5_EEPKT3_S3_PKS5_S9_S3_SB_S6_S9_S3_SB_S9_S3_PS5_21rocsparse_index_base_SD_SD_SD_bbb
    .private_segment_fixed_size: 0
    .sgpr_count:     54
    .sgpr_spill_count: 0
    .symbol:         _ZN9rocsparseL38csrgemm_numeric_fill_wf_per_row_kernelILj256ELj16ELj32ELj137ElifEEvT4_S1_PKS1_S3_NS_24const_host_device_scalarIT5_EEPKT3_S3_PKS5_S9_S3_SB_S6_S9_S3_SB_S9_S3_PS5_21rocsparse_index_base_SD_SD_SD_bbb.kd
    .uniform_work_group_size: 1
    .uses_dynamic_stack: false
    .vgpr_count:     44
    .vgpr_spill_count: 0
    .wavefront_size: 64
  - .agpr_count:     0
    .args:
      - .offset:         0
        .size:           4
        .value_kind:     by_value
      - .actual_access:  read_only
        .address_space:  global
        .offset:         8
        .size:           8
        .value_kind:     global_buffer
      - .actual_access:  read_only
        .address_space:  global
        .offset:         16
        .size:           8
        .value_kind:     global_buffer
      - .offset:         24
        .size:           8
        .value_kind:     by_value
      - .actual_access:  read_only
        .address_space:  global
        .offset:         32
        .size:           8
        .value_kind:     global_buffer
      - .actual_access:  read_only
        .address_space:  global
        .offset:         40
        .size:           8
        .value_kind:     global_buffer
      - .actual_access:  read_only
        .address_space:  global
        .offset:         48
        .size:           8
        .value_kind:     global_buffer
      - .actual_access:  read_only
        .address_space:  global
        .offset:         56
        .size:           8
        .value_kind:     global_buffer
      - .actual_access:  read_only
        .address_space:  global
        .offset:         64
        .size:           8
        .value_kind:     global_buffer
      - .actual_access:  read_only
        .address_space:  global
        .offset:         72
        .size:           8
        .value_kind:     global_buffer
      - .offset:         80
        .size:           8
        .value_kind:     by_value
      - .actual_access:  read_only
        .address_space:  global
        .offset:         88
        .size:           8
        .value_kind:     global_buffer
      - .actual_access:  read_only
        .address_space:  global
        .offset:         96
        .size:           8
        .value_kind:     global_buffer
      - .actual_access:  read_only
        .address_space:  global
        .offset:         104
        .size:           8
        .value_kind:     global_buffer
      - .actual_access:  read_only
        .address_space:  global
        .offset:         112
        .size:           8
        .value_kind:     global_buffer
      - .actual_access:  read_only
        .address_space:  global
        .offset:         120
        .size:           8
        .value_kind:     global_buffer
      - .actual_access:  write_only
        .address_space:  global
        .offset:         128
        .size:           8
        .value_kind:     global_buffer
      - .offset:         136
        .size:           4
        .value_kind:     by_value
      - .offset:         140
        .size:           4
        .value_kind:     by_value
      - .offset:         144
        .size:           4
        .value_kind:     by_value
      - .offset:         148
        .size:           4
        .value_kind:     by_value
      - .offset:         152
        .size:           1
        .value_kind:     by_value
      - .offset:         153
        .size:           1
        .value_kind:     by_value
      - .offset:         154
        .size:           1
        .value_kind:     by_value
    .group_segment_fixed_size: 0
    .kernarg_segment_align: 8
    .kernarg_segment_size: 156
    .language:       OpenCL C
    .language_version:
      - 2
      - 0
    .max_flat_workgroup_size: 128
    .name:           _ZN9rocsparseL41csrgemm_numeric_fill_block_per_row_kernelILj128ELj16ELj256ELj137ELj32ElifEEvT5_PKS1_S3_NS_24const_host_device_scalarIT6_EEPKT4_S3_PKS5_S9_S3_SB_S6_S9_S3_SB_S9_S3_PS5_21rocsparse_index_base_SD_SD_SD_bbb
    .private_segment_fixed_size: 0
    .sgpr_count:     59
    .sgpr_spill_count: 0
    .symbol:         _ZN9rocsparseL41csrgemm_numeric_fill_block_per_row_kernelILj128ELj16ELj256ELj137ELj32ElifEEvT5_PKS1_S3_NS_24const_host_device_scalarIT6_EEPKT4_S3_PKS5_S9_S3_SB_S6_S9_S3_SB_S9_S3_PS5_21rocsparse_index_base_SD_SD_SD_bbb.kd
    .uniform_work_group_size: 1
    .uses_dynamic_stack: false
    .vgpr_count:     30
    .vgpr_spill_count: 0
    .wavefront_size: 64
  - .agpr_count:     0
    .args:
      - .offset:         0
        .size:           4
        .value_kind:     by_value
      - .actual_access:  read_only
        .address_space:  global
        .offset:         8
        .size:           8
        .value_kind:     global_buffer
      - .actual_access:  read_only
        .address_space:  global
        .offset:         16
        .size:           8
        .value_kind:     global_buffer
      - .offset:         24
        .size:           8
        .value_kind:     by_value
      - .actual_access:  read_only
        .address_space:  global
        .offset:         32
        .size:           8
        .value_kind:     global_buffer
      - .actual_access:  read_only
        .address_space:  global
        .offset:         40
        .size:           8
        .value_kind:     global_buffer
      - .actual_access:  read_only
        .address_space:  global
        .offset:         48
        .size:           8
        .value_kind:     global_buffer
      - .actual_access:  read_only
        .address_space:  global
        .offset:         56
        .size:           8
        .value_kind:     global_buffer
      - .actual_access:  read_only
        .address_space:  global
        .offset:         64
        .size:           8
        .value_kind:     global_buffer
      - .actual_access:  read_only
        .address_space:  global
        .offset:         72
        .size:           8
        .value_kind:     global_buffer
      - .offset:         80
        .size:           8
        .value_kind:     by_value
      - .actual_access:  read_only
        .address_space:  global
        .offset:         88
        .size:           8
        .value_kind:     global_buffer
      - .actual_access:  read_only
        .address_space:  global
        .offset:         96
        .size:           8
        .value_kind:     global_buffer
      - .actual_access:  read_only
        .address_space:  global
        .offset:         104
        .size:           8
        .value_kind:     global_buffer
      - .actual_access:  read_only
        .address_space:  global
        .offset:         112
        .size:           8
        .value_kind:     global_buffer
      - .actual_access:  read_only
        .address_space:  global
        .offset:         120
        .size:           8
        .value_kind:     global_buffer
      - .actual_access:  write_only
        .address_space:  global
        .offset:         128
        .size:           8
        .value_kind:     global_buffer
      - .offset:         136
        .size:           4
        .value_kind:     by_value
      - .offset:         140
        .size:           4
        .value_kind:     by_value
      - .offset:         144
        .size:           4
        .value_kind:     by_value
      - .offset:         148
        .size:           4
        .value_kind:     by_value
      - .offset:         152
        .size:           1
        .value_kind:     by_value
      - .offset:         153
        .size:           1
        .value_kind:     by_value
      - .offset:         154
        .size:           1
        .value_kind:     by_value
    .group_segment_fixed_size: 0
    .kernarg_segment_align: 8
    .kernarg_segment_size: 156
    .language:       OpenCL C
    .language_version:
      - 2
      - 0
    .max_flat_workgroup_size: 128
    .name:           _ZN9rocsparseL41csrgemm_numeric_fill_block_per_row_kernelILj128ELj16ELj256ELj137ELj64ElifEEvT5_PKS1_S3_NS_24const_host_device_scalarIT6_EEPKT4_S3_PKS5_S9_S3_SB_S6_S9_S3_SB_S9_S3_PS5_21rocsparse_index_base_SD_SD_SD_bbb
    .private_segment_fixed_size: 0
    .sgpr_count:     59
    .sgpr_spill_count: 0
    .symbol:         _ZN9rocsparseL41csrgemm_numeric_fill_block_per_row_kernelILj128ELj16ELj256ELj137ELj64ElifEEvT5_PKS1_S3_NS_24const_host_device_scalarIT6_EEPKT4_S3_PKS5_S9_S3_SB_S6_S9_S3_SB_S9_S3_PS5_21rocsparse_index_base_SD_SD_SD_bbb.kd
    .uniform_work_group_size: 1
    .uses_dynamic_stack: false
    .vgpr_count:     30
    .vgpr_spill_count: 0
    .wavefront_size: 64
  - .agpr_count:     0
    .args:
      - .offset:         0
        .size:           4
        .value_kind:     by_value
      - .actual_access:  read_only
        .address_space:  global
        .offset:         8
        .size:           8
        .value_kind:     global_buffer
      - .actual_access:  read_only
        .address_space:  global
        .offset:         16
        .size:           8
        .value_kind:     global_buffer
      - .offset:         24
        .size:           8
        .value_kind:     by_value
      - .actual_access:  read_only
        .address_space:  global
        .offset:         32
        .size:           8
        .value_kind:     global_buffer
      - .actual_access:  read_only
        .address_space:  global
        .offset:         40
        .size:           8
        .value_kind:     global_buffer
      - .actual_access:  read_only
        .address_space:  global
        .offset:         48
        .size:           8
        .value_kind:     global_buffer
      - .actual_access:  read_only
        .address_space:  global
        .offset:         56
        .size:           8
        .value_kind:     global_buffer
      - .actual_access:  read_only
        .address_space:  global
        .offset:         64
        .size:           8
        .value_kind:     global_buffer
      - .actual_access:  read_only
        .address_space:  global
        .offset:         72
        .size:           8
        .value_kind:     global_buffer
      - .offset:         80
        .size:           8
        .value_kind:     by_value
      - .actual_access:  read_only
        .address_space:  global
        .offset:         88
        .size:           8
        .value_kind:     global_buffer
      - .actual_access:  read_only
        .address_space:  global
        .offset:         96
        .size:           8
        .value_kind:     global_buffer
      - .actual_access:  read_only
        .address_space:  global
        .offset:         104
        .size:           8
        .value_kind:     global_buffer
      - .actual_access:  read_only
        .address_space:  global
        .offset:         112
        .size:           8
        .value_kind:     global_buffer
      - .actual_access:  read_only
        .address_space:  global
        .offset:         120
        .size:           8
        .value_kind:     global_buffer
      - .actual_access:  write_only
        .address_space:  global
        .offset:         128
        .size:           8
        .value_kind:     global_buffer
      - .offset:         136
        .size:           4
        .value_kind:     by_value
      - .offset:         140
        .size:           4
        .value_kind:     by_value
      - .offset:         144
        .size:           4
        .value_kind:     by_value
      - .offset:         148
        .size:           4
        .value_kind:     by_value
      - .offset:         152
        .size:           1
        .value_kind:     by_value
      - .offset:         153
        .size:           1
        .value_kind:     by_value
      - .offset:         154
        .size:           1
        .value_kind:     by_value
    .group_segment_fixed_size: 0
    .kernarg_segment_align: 8
    .kernarg_segment_size: 156
    .language:       OpenCL C
    .language_version:
      - 2
      - 0
    .max_flat_workgroup_size: 256
    .name:           _ZN9rocsparseL41csrgemm_numeric_fill_block_per_row_kernelILj256ELj32ELj512ELj137ELj32ElifEEvT5_PKS1_S3_NS_24const_host_device_scalarIT6_EEPKT4_S3_PKS5_S9_S3_SB_S6_S9_S3_SB_S9_S3_PS5_21rocsparse_index_base_SD_SD_SD_bbb
    .private_segment_fixed_size: 0
    .sgpr_count:     59
    .sgpr_spill_count: 0
    .symbol:         _ZN9rocsparseL41csrgemm_numeric_fill_block_per_row_kernelILj256ELj32ELj512ELj137ELj32ElifEEvT5_PKS1_S3_NS_24const_host_device_scalarIT6_EEPKT4_S3_PKS5_S9_S3_SB_S6_S9_S3_SB_S9_S3_PS5_21rocsparse_index_base_SD_SD_SD_bbb.kd
    .uniform_work_group_size: 1
    .uses_dynamic_stack: false
    .vgpr_count:     30
    .vgpr_spill_count: 0
    .wavefront_size: 64
  - .agpr_count:     0
    .args:
      - .offset:         0
        .size:           4
        .value_kind:     by_value
      - .actual_access:  read_only
        .address_space:  global
        .offset:         8
        .size:           8
        .value_kind:     global_buffer
      - .actual_access:  read_only
        .address_space:  global
        .offset:         16
        .size:           8
        .value_kind:     global_buffer
      - .offset:         24
        .size:           8
        .value_kind:     by_value
      - .actual_access:  read_only
        .address_space:  global
        .offset:         32
        .size:           8
        .value_kind:     global_buffer
      - .actual_access:  read_only
        .address_space:  global
        .offset:         40
        .size:           8
        .value_kind:     global_buffer
      - .actual_access:  read_only
        .address_space:  global
        .offset:         48
        .size:           8
        .value_kind:     global_buffer
      - .actual_access:  read_only
        .address_space:  global
        .offset:         56
        .size:           8
        .value_kind:     global_buffer
      - .actual_access:  read_only
        .address_space:  global
        .offset:         64
        .size:           8
        .value_kind:     global_buffer
      - .actual_access:  read_only
        .address_space:  global
        .offset:         72
        .size:           8
        .value_kind:     global_buffer
      - .offset:         80
        .size:           8
        .value_kind:     by_value
      - .actual_access:  read_only
        .address_space:  global
        .offset:         88
        .size:           8
        .value_kind:     global_buffer
      - .actual_access:  read_only
        .address_space:  global
        .offset:         96
        .size:           8
        .value_kind:     global_buffer
      - .actual_access:  read_only
        .address_space:  global
        .offset:         104
        .size:           8
        .value_kind:     global_buffer
      - .actual_access:  read_only
        .address_space:  global
        .offset:         112
        .size:           8
        .value_kind:     global_buffer
      - .actual_access:  read_only
        .address_space:  global
        .offset:         120
        .size:           8
        .value_kind:     global_buffer
      - .actual_access:  write_only
        .address_space:  global
        .offset:         128
        .size:           8
        .value_kind:     global_buffer
      - .offset:         136
        .size:           4
        .value_kind:     by_value
      - .offset:         140
        .size:           4
        .value_kind:     by_value
      - .offset:         144
        .size:           4
        .value_kind:     by_value
      - .offset:         148
        .size:           4
        .value_kind:     by_value
      - .offset:         152
        .size:           1
        .value_kind:     by_value
      - .offset:         153
        .size:           1
        .value_kind:     by_value
      - .offset:         154
        .size:           1
        .value_kind:     by_value
    .group_segment_fixed_size: 0
    .kernarg_segment_align: 8
    .kernarg_segment_size: 156
    .language:       OpenCL C
    .language_version:
      - 2
      - 0
    .max_flat_workgroup_size: 256
    .name:           _ZN9rocsparseL41csrgemm_numeric_fill_block_per_row_kernelILj256ELj32ELj512ELj137ELj64ElifEEvT5_PKS1_S3_NS_24const_host_device_scalarIT6_EEPKT4_S3_PKS5_S9_S3_SB_S6_S9_S3_SB_S9_S3_PS5_21rocsparse_index_base_SD_SD_SD_bbb
    .private_segment_fixed_size: 0
    .sgpr_count:     59
    .sgpr_spill_count: 0
    .symbol:         _ZN9rocsparseL41csrgemm_numeric_fill_block_per_row_kernelILj256ELj32ELj512ELj137ELj64ElifEEvT5_PKS1_S3_NS_24const_host_device_scalarIT6_EEPKT4_S3_PKS5_S9_S3_SB_S6_S9_S3_SB_S9_S3_PS5_21rocsparse_index_base_SD_SD_SD_bbb.kd
    .uniform_work_group_size: 1
    .uses_dynamic_stack: false
    .vgpr_count:     30
    .vgpr_spill_count: 0
    .wavefront_size: 64
  - .agpr_count:     0
    .args:
      - .offset:         0
        .size:           4
        .value_kind:     by_value
      - .actual_access:  read_only
        .address_space:  global
        .offset:         8
        .size:           8
        .value_kind:     global_buffer
      - .actual_access:  read_only
        .address_space:  global
        .offset:         16
        .size:           8
        .value_kind:     global_buffer
      - .offset:         24
        .size:           8
        .value_kind:     by_value
      - .actual_access:  read_only
        .address_space:  global
        .offset:         32
        .size:           8
        .value_kind:     global_buffer
      - .actual_access:  read_only
        .address_space:  global
        .offset:         40
        .size:           8
        .value_kind:     global_buffer
      - .actual_access:  read_only
        .address_space:  global
        .offset:         48
        .size:           8
        .value_kind:     global_buffer
      - .actual_access:  read_only
        .address_space:  global
        .offset:         56
        .size:           8
        .value_kind:     global_buffer
      - .actual_access:  read_only
        .address_space:  global
        .offset:         64
        .size:           8
        .value_kind:     global_buffer
      - .actual_access:  read_only
        .address_space:  global
        .offset:         72
        .size:           8
        .value_kind:     global_buffer
      - .offset:         80
        .size:           8
        .value_kind:     by_value
      - .actual_access:  read_only
        .address_space:  global
        .offset:         88
        .size:           8
        .value_kind:     global_buffer
      - .actual_access:  read_only
        .address_space:  global
        .offset:         96
        .size:           8
        .value_kind:     global_buffer
      - .actual_access:  read_only
        .address_space:  global
        .offset:         104
        .size:           8
        .value_kind:     global_buffer
      - .actual_access:  read_only
        .address_space:  global
        .offset:         112
        .size:           8
        .value_kind:     global_buffer
      - .actual_access:  read_only
        .address_space:  global
        .offset:         120
        .size:           8
        .value_kind:     global_buffer
      - .actual_access:  write_only
        .address_space:  global
        .offset:         128
        .size:           8
        .value_kind:     global_buffer
      - .offset:         136
        .size:           4
        .value_kind:     by_value
      - .offset:         140
        .size:           4
        .value_kind:     by_value
      - .offset:         144
        .size:           4
        .value_kind:     by_value
      - .offset:         148
        .size:           4
        .value_kind:     by_value
      - .offset:         152
        .size:           1
        .value_kind:     by_value
      - .offset:         153
        .size:           1
        .value_kind:     by_value
      - .offset:         154
        .size:           1
        .value_kind:     by_value
    .group_segment_fixed_size: 0
    .kernarg_segment_align: 8
    .kernarg_segment_size: 156
    .language:       OpenCL C
    .language_version:
      - 2
      - 0
    .max_flat_workgroup_size: 512
    .name:           _ZN9rocsparseL41csrgemm_numeric_fill_block_per_row_kernelILj512ELj32ELj1024ELj137ELj32ElifEEvT5_PKS1_S3_NS_24const_host_device_scalarIT6_EEPKT4_S3_PKS5_S9_S3_SB_S6_S9_S3_SB_S9_S3_PS5_21rocsparse_index_base_SD_SD_SD_bbb
    .private_segment_fixed_size: 0
    .sgpr_count:     57
    .sgpr_spill_count: 0
    .symbol:         _ZN9rocsparseL41csrgemm_numeric_fill_block_per_row_kernelILj512ELj32ELj1024ELj137ELj32ElifEEvT5_PKS1_S3_NS_24const_host_device_scalarIT6_EEPKT4_S3_PKS5_S9_S3_SB_S6_S9_S3_SB_S9_S3_PS5_21rocsparse_index_base_SD_SD_SD_bbb.kd
    .uniform_work_group_size: 1
    .uses_dynamic_stack: false
    .vgpr_count:     30
    .vgpr_spill_count: 0
    .wavefront_size: 64
  - .agpr_count:     0
    .args:
      - .offset:         0
        .size:           4
        .value_kind:     by_value
      - .actual_access:  read_only
        .address_space:  global
        .offset:         8
        .size:           8
        .value_kind:     global_buffer
      - .actual_access:  read_only
        .address_space:  global
        .offset:         16
        .size:           8
        .value_kind:     global_buffer
      - .offset:         24
        .size:           8
        .value_kind:     by_value
      - .actual_access:  read_only
        .address_space:  global
        .offset:         32
        .size:           8
        .value_kind:     global_buffer
      - .actual_access:  read_only
        .address_space:  global
        .offset:         40
        .size:           8
        .value_kind:     global_buffer
      - .actual_access:  read_only
        .address_space:  global
        .offset:         48
        .size:           8
        .value_kind:     global_buffer
      - .actual_access:  read_only
        .address_space:  global
        .offset:         56
        .size:           8
        .value_kind:     global_buffer
      - .actual_access:  read_only
        .address_space:  global
        .offset:         64
        .size:           8
        .value_kind:     global_buffer
      - .actual_access:  read_only
        .address_space:  global
        .offset:         72
        .size:           8
        .value_kind:     global_buffer
      - .offset:         80
        .size:           8
        .value_kind:     by_value
      - .actual_access:  read_only
        .address_space:  global
        .offset:         88
        .size:           8
        .value_kind:     global_buffer
      - .actual_access:  read_only
        .address_space:  global
        .offset:         96
        .size:           8
        .value_kind:     global_buffer
      - .actual_access:  read_only
        .address_space:  global
        .offset:         104
        .size:           8
        .value_kind:     global_buffer
      - .actual_access:  read_only
        .address_space:  global
        .offset:         112
        .size:           8
        .value_kind:     global_buffer
      - .actual_access:  read_only
        .address_space:  global
        .offset:         120
        .size:           8
        .value_kind:     global_buffer
      - .actual_access:  write_only
        .address_space:  global
        .offset:         128
        .size:           8
        .value_kind:     global_buffer
      - .offset:         136
        .size:           4
        .value_kind:     by_value
      - .offset:         140
        .size:           4
        .value_kind:     by_value
      - .offset:         144
        .size:           4
        .value_kind:     by_value
      - .offset:         148
        .size:           4
        .value_kind:     by_value
      - .offset:         152
        .size:           1
        .value_kind:     by_value
      - .offset:         153
        .size:           1
        .value_kind:     by_value
      - .offset:         154
        .size:           1
        .value_kind:     by_value
    .group_segment_fixed_size: 0
    .kernarg_segment_align: 8
    .kernarg_segment_size: 156
    .language:       OpenCL C
    .language_version:
      - 2
      - 0
    .max_flat_workgroup_size: 512
    .name:           _ZN9rocsparseL41csrgemm_numeric_fill_block_per_row_kernelILj512ELj32ELj1024ELj137ELj64ElifEEvT5_PKS1_S3_NS_24const_host_device_scalarIT6_EEPKT4_S3_PKS5_S9_S3_SB_S6_S9_S3_SB_S9_S3_PS5_21rocsparse_index_base_SD_SD_SD_bbb
    .private_segment_fixed_size: 0
    .sgpr_count:     57
    .sgpr_spill_count: 0
    .symbol:         _ZN9rocsparseL41csrgemm_numeric_fill_block_per_row_kernelILj512ELj32ELj1024ELj137ELj64ElifEEvT5_PKS1_S3_NS_24const_host_device_scalarIT6_EEPKT4_S3_PKS5_S9_S3_SB_S6_S9_S3_SB_S9_S3_PS5_21rocsparse_index_base_SD_SD_SD_bbb.kd
    .uniform_work_group_size: 1
    .uses_dynamic_stack: false
    .vgpr_count:     30
    .vgpr_spill_count: 0
    .wavefront_size: 64
  - .agpr_count:     0
    .args:
      - .offset:         0
        .size:           4
        .value_kind:     by_value
      - .actual_access:  read_only
        .address_space:  global
        .offset:         8
        .size:           8
        .value_kind:     global_buffer
      - .actual_access:  read_only
        .address_space:  global
        .offset:         16
        .size:           8
        .value_kind:     global_buffer
      - .offset:         24
        .size:           8
        .value_kind:     by_value
      - .actual_access:  read_only
        .address_space:  global
        .offset:         32
        .size:           8
        .value_kind:     global_buffer
      - .actual_access:  read_only
        .address_space:  global
        .offset:         40
        .size:           8
        .value_kind:     global_buffer
      - .actual_access:  read_only
        .address_space:  global
        .offset:         48
        .size:           8
        .value_kind:     global_buffer
      - .actual_access:  read_only
        .address_space:  global
        .offset:         56
        .size:           8
        .value_kind:     global_buffer
      - .actual_access:  read_only
        .address_space:  global
        .offset:         64
        .size:           8
        .value_kind:     global_buffer
      - .actual_access:  read_only
        .address_space:  global
        .offset:         72
        .size:           8
        .value_kind:     global_buffer
      - .offset:         80
        .size:           8
        .value_kind:     by_value
      - .actual_access:  read_only
        .address_space:  global
        .offset:         88
        .size:           8
        .value_kind:     global_buffer
      - .actual_access:  read_only
        .address_space:  global
        .offset:         96
        .size:           8
        .value_kind:     global_buffer
      - .actual_access:  read_only
        .address_space:  global
        .offset:         104
        .size:           8
        .value_kind:     global_buffer
      - .actual_access:  read_only
        .address_space:  global
        .offset:         112
        .size:           8
        .value_kind:     global_buffer
      - .actual_access:  read_only
        .address_space:  global
        .offset:         120
        .size:           8
        .value_kind:     global_buffer
      - .actual_access:  write_only
        .address_space:  global
        .offset:         128
        .size:           8
        .value_kind:     global_buffer
      - .offset:         136
        .size:           4
        .value_kind:     by_value
      - .offset:         140
        .size:           4
        .value_kind:     by_value
      - .offset:         144
        .size:           4
        .value_kind:     by_value
      - .offset:         148
        .size:           4
        .value_kind:     by_value
      - .offset:         152
        .size:           1
        .value_kind:     by_value
      - .offset:         153
        .size:           1
        .value_kind:     by_value
      - .offset:         154
        .size:           1
        .value_kind:     by_value
    .group_segment_fixed_size: 0
    .kernarg_segment_align: 8
    .kernarg_segment_size: 156
    .language:       OpenCL C
    .language_version:
      - 2
      - 0
    .max_flat_workgroup_size: 1024
    .name:           _ZN9rocsparseL41csrgemm_numeric_fill_block_per_row_kernelILj1024ELj32ELj2048ELj137ELj32ElifEEvT5_PKS1_S3_NS_24const_host_device_scalarIT6_EEPKT4_S3_PKS5_S9_S3_SB_S6_S9_S3_SB_S9_S3_PS5_21rocsparse_index_base_SD_SD_SD_bbb
    .private_segment_fixed_size: 0
    .sgpr_count:     84
    .sgpr_spill_count: 0
    .symbol:         _ZN9rocsparseL41csrgemm_numeric_fill_block_per_row_kernelILj1024ELj32ELj2048ELj137ELj32ElifEEvT5_PKS1_S3_NS_24const_host_device_scalarIT6_EEPKT4_S3_PKS5_S9_S3_SB_S6_S9_S3_SB_S9_S3_PS5_21rocsparse_index_base_SD_SD_SD_bbb.kd
    .uniform_work_group_size: 1
    .uses_dynamic_stack: false
    .vgpr_count:     30
    .vgpr_spill_count: 0
    .wavefront_size: 64
  - .agpr_count:     0
    .args:
      - .offset:         0
        .size:           4
        .value_kind:     by_value
      - .actual_access:  read_only
        .address_space:  global
        .offset:         8
        .size:           8
        .value_kind:     global_buffer
      - .actual_access:  read_only
        .address_space:  global
        .offset:         16
        .size:           8
        .value_kind:     global_buffer
      - .offset:         24
        .size:           8
        .value_kind:     by_value
      - .actual_access:  read_only
        .address_space:  global
        .offset:         32
        .size:           8
        .value_kind:     global_buffer
      - .actual_access:  read_only
        .address_space:  global
        .offset:         40
        .size:           8
        .value_kind:     global_buffer
      - .actual_access:  read_only
        .address_space:  global
        .offset:         48
        .size:           8
        .value_kind:     global_buffer
      - .actual_access:  read_only
        .address_space:  global
        .offset:         56
        .size:           8
        .value_kind:     global_buffer
      - .actual_access:  read_only
        .address_space:  global
        .offset:         64
        .size:           8
        .value_kind:     global_buffer
      - .actual_access:  read_only
        .address_space:  global
        .offset:         72
        .size:           8
        .value_kind:     global_buffer
      - .offset:         80
        .size:           8
        .value_kind:     by_value
      - .actual_access:  read_only
        .address_space:  global
        .offset:         88
        .size:           8
        .value_kind:     global_buffer
      - .actual_access:  read_only
        .address_space:  global
        .offset:         96
        .size:           8
        .value_kind:     global_buffer
      - .actual_access:  read_only
        .address_space:  global
        .offset:         104
        .size:           8
        .value_kind:     global_buffer
      - .actual_access:  read_only
        .address_space:  global
        .offset:         112
        .size:           8
        .value_kind:     global_buffer
      - .actual_access:  read_only
        .address_space:  global
        .offset:         120
        .size:           8
        .value_kind:     global_buffer
      - .actual_access:  write_only
        .address_space:  global
        .offset:         128
        .size:           8
        .value_kind:     global_buffer
      - .offset:         136
        .size:           4
        .value_kind:     by_value
      - .offset:         140
        .size:           4
        .value_kind:     by_value
      - .offset:         144
        .size:           4
        .value_kind:     by_value
      - .offset:         148
        .size:           4
        .value_kind:     by_value
      - .offset:         152
        .size:           1
        .value_kind:     by_value
      - .offset:         153
        .size:           1
        .value_kind:     by_value
      - .offset:         154
        .size:           1
        .value_kind:     by_value
    .group_segment_fixed_size: 0
    .kernarg_segment_align: 8
    .kernarg_segment_size: 156
    .language:       OpenCL C
    .language_version:
      - 2
      - 0
    .max_flat_workgroup_size: 1024
    .name:           _ZN9rocsparseL41csrgemm_numeric_fill_block_per_row_kernelILj1024ELj32ELj2048ELj137ELj64ElifEEvT5_PKS1_S3_NS_24const_host_device_scalarIT6_EEPKT4_S3_PKS5_S9_S3_SB_S6_S9_S3_SB_S9_S3_PS5_21rocsparse_index_base_SD_SD_SD_bbb
    .private_segment_fixed_size: 0
    .sgpr_count:     57
    .sgpr_spill_count: 0
    .symbol:         _ZN9rocsparseL41csrgemm_numeric_fill_block_per_row_kernelILj1024ELj32ELj2048ELj137ELj64ElifEEvT5_PKS1_S3_NS_24const_host_device_scalarIT6_EEPKT4_S3_PKS5_S9_S3_SB_S6_S9_S3_SB_S9_S3_PS5_21rocsparse_index_base_SD_SD_SD_bbb.kd
    .uniform_work_group_size: 1
    .uses_dynamic_stack: false
    .vgpr_count:     30
    .vgpr_spill_count: 0
    .wavefront_size: 64
  - .agpr_count:     0
    .args:
      - .offset:         0
        .size:           4
        .value_kind:     by_value
      - .actual_access:  read_only
        .address_space:  global
        .offset:         8
        .size:           8
        .value_kind:     global_buffer
      - .actual_access:  read_only
        .address_space:  global
        .offset:         16
        .size:           8
        .value_kind:     global_buffer
      - .offset:         24
        .size:           8
        .value_kind:     by_value
      - .actual_access:  read_only
        .address_space:  global
        .offset:         32
        .size:           8
        .value_kind:     global_buffer
      - .actual_access:  read_only
        .address_space:  global
        .offset:         40
        .size:           8
        .value_kind:     global_buffer
      - .actual_access:  read_only
        .address_space:  global
        .offset:         48
        .size:           8
        .value_kind:     global_buffer
      - .actual_access:  read_only
        .address_space:  global
        .offset:         56
        .size:           8
        .value_kind:     global_buffer
      - .actual_access:  read_only
        .address_space:  global
        .offset:         64
        .size:           8
        .value_kind:     global_buffer
      - .actual_access:  read_only
        .address_space:  global
        .offset:         72
        .size:           8
        .value_kind:     global_buffer
      - .offset:         80
        .size:           8
        .value_kind:     by_value
      - .actual_access:  read_only
        .address_space:  global
        .offset:         88
        .size:           8
        .value_kind:     global_buffer
      - .actual_access:  read_only
        .address_space:  global
        .offset:         96
        .size:           8
        .value_kind:     global_buffer
      - .actual_access:  read_only
        .address_space:  global
        .offset:         104
        .size:           8
        .value_kind:     global_buffer
      - .actual_access:  read_only
        .address_space:  global
        .offset:         112
        .size:           8
        .value_kind:     global_buffer
      - .actual_access:  read_only
        .address_space:  global
        .offset:         120
        .size:           8
        .value_kind:     global_buffer
      - .actual_access:  write_only
        .address_space:  global
        .offset:         128
        .size:           8
        .value_kind:     global_buffer
      - .offset:         136
        .size:           4
        .value_kind:     by_value
      - .offset:         140
        .size:           4
        .value_kind:     by_value
      - .offset:         144
        .size:           4
        .value_kind:     by_value
      - .offset:         148
        .size:           4
        .value_kind:     by_value
      - .offset:         152
        .size:           1
        .value_kind:     by_value
      - .offset:         153
        .size:           1
        .value_kind:     by_value
      - .offset:         154
        .size:           1
        .value_kind:     by_value
    .group_segment_fixed_size: 0
    .kernarg_segment_align: 8
    .kernarg_segment_size: 156
    .language:       OpenCL C
    .language_version:
      - 2
      - 0
    .max_flat_workgroup_size: 1024
    .name:           _ZN9rocsparseL41csrgemm_numeric_fill_block_per_row_kernelILj1024ELj64ELj4096ELj137ELj32ElifEEvT5_PKS1_S3_NS_24const_host_device_scalarIT6_EEPKT4_S3_PKS5_S9_S3_SB_S6_S9_S3_SB_S9_S3_PS5_21rocsparse_index_base_SD_SD_SD_bbb
    .private_segment_fixed_size: 0
    .sgpr_count:     84
    .sgpr_spill_count: 0
    .symbol:         _ZN9rocsparseL41csrgemm_numeric_fill_block_per_row_kernelILj1024ELj64ELj4096ELj137ELj32ElifEEvT5_PKS1_S3_NS_24const_host_device_scalarIT6_EEPKT4_S3_PKS5_S9_S3_SB_S6_S9_S3_SB_S9_S3_PS5_21rocsparse_index_base_SD_SD_SD_bbb.kd
    .uniform_work_group_size: 1
    .uses_dynamic_stack: false
    .vgpr_count:     30
    .vgpr_spill_count: 0
    .wavefront_size: 64
  - .agpr_count:     0
    .args:
      - .offset:         0
        .size:           4
        .value_kind:     by_value
      - .actual_access:  read_only
        .address_space:  global
        .offset:         8
        .size:           8
        .value_kind:     global_buffer
      - .actual_access:  read_only
        .address_space:  global
        .offset:         16
        .size:           8
        .value_kind:     global_buffer
      - .offset:         24
        .size:           8
        .value_kind:     by_value
      - .actual_access:  read_only
        .address_space:  global
        .offset:         32
        .size:           8
        .value_kind:     global_buffer
      - .actual_access:  read_only
        .address_space:  global
        .offset:         40
        .size:           8
        .value_kind:     global_buffer
      - .actual_access:  read_only
        .address_space:  global
        .offset:         48
        .size:           8
        .value_kind:     global_buffer
      - .actual_access:  read_only
        .address_space:  global
        .offset:         56
        .size:           8
        .value_kind:     global_buffer
      - .actual_access:  read_only
        .address_space:  global
        .offset:         64
        .size:           8
        .value_kind:     global_buffer
      - .actual_access:  read_only
        .address_space:  global
        .offset:         72
        .size:           8
        .value_kind:     global_buffer
      - .offset:         80
        .size:           8
        .value_kind:     by_value
      - .actual_access:  read_only
        .address_space:  global
        .offset:         88
        .size:           8
        .value_kind:     global_buffer
      - .actual_access:  read_only
        .address_space:  global
        .offset:         96
        .size:           8
        .value_kind:     global_buffer
      - .actual_access:  read_only
        .address_space:  global
        .offset:         104
        .size:           8
        .value_kind:     global_buffer
      - .actual_access:  read_only
        .address_space:  global
        .offset:         112
        .size:           8
        .value_kind:     global_buffer
      - .actual_access:  read_only
        .address_space:  global
        .offset:         120
        .size:           8
        .value_kind:     global_buffer
      - .actual_access:  write_only
        .address_space:  global
        .offset:         128
        .size:           8
        .value_kind:     global_buffer
      - .offset:         136
        .size:           4
        .value_kind:     by_value
      - .offset:         140
        .size:           4
        .value_kind:     by_value
      - .offset:         144
        .size:           4
        .value_kind:     by_value
      - .offset:         148
        .size:           4
        .value_kind:     by_value
      - .offset:         152
        .size:           1
        .value_kind:     by_value
      - .offset:         153
        .size:           1
        .value_kind:     by_value
      - .offset:         154
        .size:           1
        .value_kind:     by_value
    .group_segment_fixed_size: 0
    .kernarg_segment_align: 8
    .kernarg_segment_size: 156
    .language:       OpenCL C
    .language_version:
      - 2
      - 0
    .max_flat_workgroup_size: 1024
    .name:           _ZN9rocsparseL41csrgemm_numeric_fill_block_per_row_kernelILj1024ELj64ELj4096ELj137ELj64ElifEEvT5_PKS1_S3_NS_24const_host_device_scalarIT6_EEPKT4_S3_PKS5_S9_S3_SB_S6_S9_S3_SB_S9_S3_PS5_21rocsparse_index_base_SD_SD_SD_bbb
    .private_segment_fixed_size: 0
    .sgpr_count:     57
    .sgpr_spill_count: 0
    .symbol:         _ZN9rocsparseL41csrgemm_numeric_fill_block_per_row_kernelILj1024ELj64ELj4096ELj137ELj64ElifEEvT5_PKS1_S3_NS_24const_host_device_scalarIT6_EEPKT4_S3_PKS5_S9_S3_SB_S6_S9_S3_SB_S9_S3_PS5_21rocsparse_index_base_SD_SD_SD_bbb.kd
    .uniform_work_group_size: 1
    .uses_dynamic_stack: false
    .vgpr_count:     30
    .vgpr_spill_count: 0
    .wavefront_size: 64
  - .agpr_count:     0
    .args:
      - .offset:         0
        .size:           4
        .value_kind:     by_value
      - .actual_access:  read_only
        .address_space:  global
        .offset:         8
        .size:           8
        .value_kind:     global_buffer
      - .actual_access:  read_only
        .address_space:  global
        .offset:         16
        .size:           8
        .value_kind:     global_buffer
      - .offset:         24
        .size:           8
        .value_kind:     by_value
      - .actual_access:  read_only
        .address_space:  global
        .offset:         32
        .size:           8
        .value_kind:     global_buffer
      - .actual_access:  read_only
        .address_space:  global
        .offset:         40
        .size:           8
        .value_kind:     global_buffer
      - .actual_access:  read_only
        .address_space:  global
        .offset:         48
        .size:           8
        .value_kind:     global_buffer
      - .actual_access:  read_only
        .address_space:  global
        .offset:         56
        .size:           8
        .value_kind:     global_buffer
      - .actual_access:  read_only
        .address_space:  global
        .offset:         64
        .size:           8
        .value_kind:     global_buffer
      - .actual_access:  read_only
        .address_space:  global
        .offset:         72
        .size:           8
        .value_kind:     global_buffer
      - .offset:         80
        .size:           8
        .value_kind:     by_value
      - .actual_access:  read_only
        .address_space:  global
        .offset:         88
        .size:           8
        .value_kind:     global_buffer
      - .actual_access:  read_only
        .address_space:  global
        .offset:         96
        .size:           8
        .value_kind:     global_buffer
      - .actual_access:  read_only
        .address_space:  global
        .offset:         104
        .size:           8
        .value_kind:     global_buffer
      - .actual_access:  read_only
        .address_space:  global
        .offset:         112
        .size:           8
        .value_kind:     global_buffer
      - .actual_access:  read_only
        .address_space:  global
        .offset:         120
        .size:           8
        .value_kind:     global_buffer
      - .actual_access:  write_only
        .address_space:  global
        .offset:         128
        .size:           8
        .value_kind:     global_buffer
      - .offset:         136
        .size:           4
        .value_kind:     by_value
      - .offset:         140
        .size:           4
        .value_kind:     by_value
      - .offset:         144
        .size:           4
        .value_kind:     by_value
      - .offset:         148
        .size:           4
        .value_kind:     by_value
      - .offset:         152
        .size:           1
        .value_kind:     by_value
      - .offset:         153
        .size:           1
        .value_kind:     by_value
      - .offset:         154
        .size:           1
        .value_kind:     by_value
    .group_segment_fixed_size: 0
    .kernarg_segment_align: 8
    .kernarg_segment_size: 156
    .language:       OpenCL C
    .language_version:
      - 2
      - 0
    .max_flat_workgroup_size: 1024
    .name:           _ZN9rocsparseL41csrgemm_numeric_fill_block_per_row_kernelILj1024ELj64ELj8192ELj137ELj32ElifEEvT5_PKS1_S3_NS_24const_host_device_scalarIT6_EEPKT4_S3_PKS5_S9_S3_SB_S6_S9_S3_SB_S9_S3_PS5_21rocsparse_index_base_SD_SD_SD_bbb
    .private_segment_fixed_size: 0
    .sgpr_count:     106
    .sgpr_spill_count: 11
    .symbol:         _ZN9rocsparseL41csrgemm_numeric_fill_block_per_row_kernelILj1024ELj64ELj8192ELj137ELj32ElifEEvT5_PKS1_S3_NS_24const_host_device_scalarIT6_EEPKT4_S3_PKS5_S9_S3_SB_S6_S9_S3_SB_S9_S3_PS5_21rocsparse_index_base_SD_SD_SD_bbb.kd
    .uniform_work_group_size: 1
    .uses_dynamic_stack: false
    .vgpr_count:     31
    .vgpr_spill_count: 0
    .wavefront_size: 64
  - .agpr_count:     0
    .args:
      - .offset:         0
        .size:           4
        .value_kind:     by_value
      - .actual_access:  read_only
        .address_space:  global
        .offset:         8
        .size:           8
        .value_kind:     global_buffer
      - .actual_access:  read_only
        .address_space:  global
        .offset:         16
        .size:           8
        .value_kind:     global_buffer
      - .offset:         24
        .size:           8
        .value_kind:     by_value
      - .actual_access:  read_only
        .address_space:  global
        .offset:         32
        .size:           8
        .value_kind:     global_buffer
      - .actual_access:  read_only
        .address_space:  global
        .offset:         40
        .size:           8
        .value_kind:     global_buffer
      - .actual_access:  read_only
        .address_space:  global
        .offset:         48
        .size:           8
        .value_kind:     global_buffer
      - .actual_access:  read_only
        .address_space:  global
        .offset:         56
        .size:           8
        .value_kind:     global_buffer
      - .actual_access:  read_only
        .address_space:  global
        .offset:         64
        .size:           8
        .value_kind:     global_buffer
      - .actual_access:  read_only
        .address_space:  global
        .offset:         72
        .size:           8
        .value_kind:     global_buffer
      - .offset:         80
        .size:           8
        .value_kind:     by_value
      - .actual_access:  read_only
        .address_space:  global
        .offset:         88
        .size:           8
        .value_kind:     global_buffer
      - .actual_access:  read_only
        .address_space:  global
        .offset:         96
        .size:           8
        .value_kind:     global_buffer
      - .actual_access:  read_only
        .address_space:  global
        .offset:         104
        .size:           8
        .value_kind:     global_buffer
      - .actual_access:  read_only
        .address_space:  global
        .offset:         112
        .size:           8
        .value_kind:     global_buffer
      - .actual_access:  read_only
        .address_space:  global
        .offset:         120
        .size:           8
        .value_kind:     global_buffer
      - .actual_access:  write_only
        .address_space:  global
        .offset:         128
        .size:           8
        .value_kind:     global_buffer
      - .offset:         136
        .size:           4
        .value_kind:     by_value
      - .offset:         140
        .size:           4
        .value_kind:     by_value
      - .offset:         144
        .size:           4
        .value_kind:     by_value
      - .offset:         148
        .size:           4
        .value_kind:     by_value
      - .offset:         152
        .size:           1
        .value_kind:     by_value
      - .offset:         153
        .size:           1
        .value_kind:     by_value
      - .offset:         154
        .size:           1
        .value_kind:     by_value
    .group_segment_fixed_size: 0
    .kernarg_segment_align: 8
    .kernarg_segment_size: 156
    .language:       OpenCL C
    .language_version:
      - 2
      - 0
    .max_flat_workgroup_size: 1024
    .name:           _ZN9rocsparseL41csrgemm_numeric_fill_block_per_row_kernelILj1024ELj64ELj8192ELj137ELj64ElifEEvT5_PKS1_S3_NS_24const_host_device_scalarIT6_EEPKT4_S3_PKS5_S9_S3_SB_S6_S9_S3_SB_S9_S3_PS5_21rocsparse_index_base_SD_SD_SD_bbb
    .private_segment_fixed_size: 0
    .sgpr_count:     67
    .sgpr_spill_count: 0
    .symbol:         _ZN9rocsparseL41csrgemm_numeric_fill_block_per_row_kernelILj1024ELj64ELj8192ELj137ELj64ElifEEvT5_PKS1_S3_NS_24const_host_device_scalarIT6_EEPKT4_S3_PKS5_S9_S3_SB_S6_S9_S3_SB_S9_S3_PS5_21rocsparse_index_base_SD_SD_SD_bbb.kd
    .uniform_work_group_size: 1
    .uses_dynamic_stack: false
    .vgpr_count:     30
    .vgpr_spill_count: 0
    .wavefront_size: 64
  - .agpr_count:     0
    .args:
      - .offset:         0
        .size:           4
        .value_kind:     by_value
      - .actual_access:  read_only
        .address_space:  global
        .offset:         8
        .size:           8
        .value_kind:     global_buffer
      - .actual_access:  read_only
        .address_space:  global
        .offset:         16
        .size:           8
        .value_kind:     global_buffer
      - .offset:         24
        .size:           8
        .value_kind:     by_value
      - .actual_access:  read_only
        .address_space:  global
        .offset:         32
        .size:           8
        .value_kind:     global_buffer
      - .actual_access:  read_only
        .address_space:  global
        .offset:         40
        .size:           8
        .value_kind:     global_buffer
      - .actual_access:  read_only
        .address_space:  global
        .offset:         48
        .size:           8
        .value_kind:     global_buffer
      - .actual_access:  read_only
        .address_space:  global
        .offset:         56
        .size:           8
        .value_kind:     global_buffer
      - .actual_access:  read_only
        .address_space:  global
        .offset:         64
        .size:           8
        .value_kind:     global_buffer
      - .actual_access:  read_only
        .address_space:  global
        .offset:         72
        .size:           8
        .value_kind:     global_buffer
      - .offset:         80
        .size:           8
        .value_kind:     by_value
      - .actual_access:  read_only
        .address_space:  global
        .offset:         88
        .size:           8
        .value_kind:     global_buffer
      - .actual_access:  read_only
        .address_space:  global
        .offset:         96
        .size:           8
        .value_kind:     global_buffer
      - .actual_access:  read_only
        .address_space:  global
        .offset:         104
        .size:           8
        .value_kind:     global_buffer
      - .actual_access:  read_only
        .address_space:  global
        .offset:         112
        .size:           8
        .value_kind:     global_buffer
      - .actual_access:  read_only
        .address_space:  global
        .offset:         120
        .size:           8
        .value_kind:     global_buffer
      - .actual_access:  write_only
        .address_space:  global
        .offset:         128
        .size:           8
        .value_kind:     global_buffer
      - .offset:         136
        .size:           4
        .value_kind:     by_value
      - .offset:         140
        .size:           4
        .value_kind:     by_value
      - .offset:         144
        .size:           4
        .value_kind:     by_value
      - .offset:         148
        .size:           4
        .value_kind:     by_value
      - .offset:         152
        .size:           1
        .value_kind:     by_value
      - .offset:         153
        .size:           1
        .value_kind:     by_value
      - .offset:         154
        .size:           1
        .value_kind:     by_value
    .group_segment_fixed_size: 0
    .kernarg_segment_align: 8
    .kernarg_segment_size: 156
    .language:       OpenCL C
    .language_version:
      - 2
      - 0
    .max_flat_workgroup_size: 1024
    .name:           _ZN9rocsparseL41csrgemm_numeric_fill_block_per_row_kernelILj1024ELj64ELj16384ELj137ELj32ElifEEvT5_PKS1_S3_NS_24const_host_device_scalarIT6_EEPKT4_S3_PKS5_S9_S3_SB_S6_S9_S3_SB_S9_S3_PS5_21rocsparse_index_base_SD_SD_SD_bbb
    .private_segment_fixed_size: 0
    .sgpr_count:     106
    .sgpr_spill_count: 11
    .symbol:         _ZN9rocsparseL41csrgemm_numeric_fill_block_per_row_kernelILj1024ELj64ELj16384ELj137ELj32ElifEEvT5_PKS1_S3_NS_24const_host_device_scalarIT6_EEPKT4_S3_PKS5_S9_S3_SB_S6_S9_S3_SB_S9_S3_PS5_21rocsparse_index_base_SD_SD_SD_bbb.kd
    .uniform_work_group_size: 1
    .uses_dynamic_stack: false
    .vgpr_count:     31
    .vgpr_spill_count: 0
    .wavefront_size: 64
  - .agpr_count:     0
    .args:
      - .offset:         0
        .size:           4
        .value_kind:     by_value
      - .actual_access:  read_only
        .address_space:  global
        .offset:         8
        .size:           8
        .value_kind:     global_buffer
      - .actual_access:  read_only
        .address_space:  global
        .offset:         16
        .size:           8
        .value_kind:     global_buffer
      - .offset:         24
        .size:           8
        .value_kind:     by_value
      - .actual_access:  read_only
        .address_space:  global
        .offset:         32
        .size:           8
        .value_kind:     global_buffer
      - .actual_access:  read_only
        .address_space:  global
        .offset:         40
        .size:           8
        .value_kind:     global_buffer
      - .actual_access:  read_only
        .address_space:  global
        .offset:         48
        .size:           8
        .value_kind:     global_buffer
      - .actual_access:  read_only
        .address_space:  global
        .offset:         56
        .size:           8
        .value_kind:     global_buffer
      - .actual_access:  read_only
        .address_space:  global
        .offset:         64
        .size:           8
        .value_kind:     global_buffer
      - .actual_access:  read_only
        .address_space:  global
        .offset:         72
        .size:           8
        .value_kind:     global_buffer
      - .offset:         80
        .size:           8
        .value_kind:     by_value
      - .actual_access:  read_only
        .address_space:  global
        .offset:         88
        .size:           8
        .value_kind:     global_buffer
      - .actual_access:  read_only
        .address_space:  global
        .offset:         96
        .size:           8
        .value_kind:     global_buffer
      - .actual_access:  read_only
        .address_space:  global
        .offset:         104
        .size:           8
        .value_kind:     global_buffer
      - .actual_access:  read_only
        .address_space:  global
        .offset:         112
        .size:           8
        .value_kind:     global_buffer
      - .actual_access:  read_only
        .address_space:  global
        .offset:         120
        .size:           8
        .value_kind:     global_buffer
      - .actual_access:  write_only
        .address_space:  global
        .offset:         128
        .size:           8
        .value_kind:     global_buffer
      - .offset:         136
        .size:           4
        .value_kind:     by_value
      - .offset:         140
        .size:           4
        .value_kind:     by_value
      - .offset:         144
        .size:           4
        .value_kind:     by_value
      - .offset:         148
        .size:           4
        .value_kind:     by_value
      - .offset:         152
        .size:           1
        .value_kind:     by_value
      - .offset:         153
        .size:           1
        .value_kind:     by_value
      - .offset:         154
        .size:           1
        .value_kind:     by_value
    .group_segment_fixed_size: 0
    .kernarg_segment_align: 8
    .kernarg_segment_size: 156
    .language:       OpenCL C
    .language_version:
      - 2
      - 0
    .max_flat_workgroup_size: 1024
    .name:           _ZN9rocsparseL41csrgemm_numeric_fill_block_per_row_kernelILj1024ELj64ELj16384ELj137ELj64ElifEEvT5_PKS1_S3_NS_24const_host_device_scalarIT6_EEPKT4_S3_PKS5_S9_S3_SB_S6_S9_S3_SB_S9_S3_PS5_21rocsparse_index_base_SD_SD_SD_bbb
    .private_segment_fixed_size: 0
    .sgpr_count:     67
    .sgpr_spill_count: 0
    .symbol:         _ZN9rocsparseL41csrgemm_numeric_fill_block_per_row_kernelILj1024ELj64ELj16384ELj137ELj64ElifEEvT5_PKS1_S3_NS_24const_host_device_scalarIT6_EEPKT4_S3_PKS5_S9_S3_SB_S6_S9_S3_SB_S9_S3_PS5_21rocsparse_index_base_SD_SD_SD_bbb.kd
    .uniform_work_group_size: 1
    .uses_dynamic_stack: false
    .vgpr_count:     30
    .vgpr_spill_count: 0
    .wavefront_size: 64
  - .agpr_count:     0
    .args:
      - .offset:         0
        .size:           4
        .value_kind:     by_value
      - .actual_access:  read_only
        .address_space:  global
        .offset:         8
        .size:           8
        .value_kind:     global_buffer
      - .actual_access:  read_only
        .address_space:  global
        .offset:         16
        .size:           8
        .value_kind:     global_buffer
      - .offset:         24
        .size:           8
        .value_kind:     by_value
      - .actual_access:  read_only
        .address_space:  global
        .offset:         32
        .size:           8
        .value_kind:     global_buffer
      - .actual_access:  read_only
        .address_space:  global
        .offset:         40
        .size:           8
        .value_kind:     global_buffer
      - .actual_access:  read_only
        .address_space:  global
        .offset:         48
        .size:           8
        .value_kind:     global_buffer
      - .actual_access:  read_only
        .address_space:  global
        .offset:         56
        .size:           8
        .value_kind:     global_buffer
      - .actual_access:  read_only
        .address_space:  global
        .offset:         64
        .size:           8
        .value_kind:     global_buffer
      - .actual_access:  read_only
        .address_space:  global
        .offset:         72
        .size:           8
        .value_kind:     global_buffer
      - .offset:         80
        .size:           8
        .value_kind:     by_value
      - .actual_access:  read_only
        .address_space:  global
        .offset:         88
        .size:           8
        .value_kind:     global_buffer
      - .actual_access:  read_only
        .address_space:  global
        .offset:         96
        .size:           8
        .value_kind:     global_buffer
      - .actual_access:  read_only
        .address_space:  global
        .offset:         104
        .size:           8
        .value_kind:     global_buffer
      - .actual_access:  read_only
        .address_space:  global
        .offset:         112
        .size:           8
        .value_kind:     global_buffer
      - .actual_access:  read_only
        .address_space:  global
        .offset:         120
        .size:           8
        .value_kind:     global_buffer
      - .actual_access:  write_only
        .address_space:  global
        .offset:         128
        .size:           8
        .value_kind:     global_buffer
      - .offset:         136
        .size:           4
        .value_kind:     by_value
      - .offset:         140
        .size:           4
        .value_kind:     by_value
      - .offset:         144
        .size:           4
        .value_kind:     by_value
      - .offset:         148
        .size:           4
        .value_kind:     by_value
      - .offset:         152
        .size:           1
        .value_kind:     by_value
      - .offset:         153
        .size:           1
        .value_kind:     by_value
      - .offset:         154
        .size:           1
        .value_kind:     by_value
    .group_segment_fixed_size: 0
    .kernarg_segment_align: 8
    .kernarg_segment_size: 156
    .language:       OpenCL C
    .language_version:
      - 2
      - 0
    .max_flat_workgroup_size: 1024
    .name:           _ZN9rocsparseL41csrgemm_numeric_fill_block_per_row_kernelILj1024ELj64ELj32768ELj137ELj32ElifEEvT5_PKS1_S3_NS_24const_host_device_scalarIT6_EEPKT4_S3_PKS5_S9_S3_SB_S6_S9_S3_SB_S9_S3_PS5_21rocsparse_index_base_SD_SD_SD_bbb
    .private_segment_fixed_size: 0
    .sgpr_count:     106
    .sgpr_spill_count: 11
    .symbol:         _ZN9rocsparseL41csrgemm_numeric_fill_block_per_row_kernelILj1024ELj64ELj32768ELj137ELj32ElifEEvT5_PKS1_S3_NS_24const_host_device_scalarIT6_EEPKT4_S3_PKS5_S9_S3_SB_S6_S9_S3_SB_S9_S3_PS5_21rocsparse_index_base_SD_SD_SD_bbb.kd
    .uniform_work_group_size: 1
    .uses_dynamic_stack: false
    .vgpr_count:     31
    .vgpr_spill_count: 0
    .wavefront_size: 64
  - .agpr_count:     0
    .args:
      - .offset:         0
        .size:           4
        .value_kind:     by_value
      - .actual_access:  read_only
        .address_space:  global
        .offset:         8
        .size:           8
        .value_kind:     global_buffer
      - .actual_access:  read_only
        .address_space:  global
        .offset:         16
        .size:           8
        .value_kind:     global_buffer
      - .offset:         24
        .size:           8
        .value_kind:     by_value
      - .actual_access:  read_only
        .address_space:  global
        .offset:         32
        .size:           8
        .value_kind:     global_buffer
      - .actual_access:  read_only
        .address_space:  global
        .offset:         40
        .size:           8
        .value_kind:     global_buffer
      - .actual_access:  read_only
        .address_space:  global
        .offset:         48
        .size:           8
        .value_kind:     global_buffer
      - .actual_access:  read_only
        .address_space:  global
        .offset:         56
        .size:           8
        .value_kind:     global_buffer
      - .actual_access:  read_only
        .address_space:  global
        .offset:         64
        .size:           8
        .value_kind:     global_buffer
      - .actual_access:  read_only
        .address_space:  global
        .offset:         72
        .size:           8
        .value_kind:     global_buffer
      - .offset:         80
        .size:           8
        .value_kind:     by_value
      - .actual_access:  read_only
        .address_space:  global
        .offset:         88
        .size:           8
        .value_kind:     global_buffer
      - .actual_access:  read_only
        .address_space:  global
        .offset:         96
        .size:           8
        .value_kind:     global_buffer
      - .actual_access:  read_only
        .address_space:  global
        .offset:         104
        .size:           8
        .value_kind:     global_buffer
      - .actual_access:  read_only
        .address_space:  global
        .offset:         112
        .size:           8
        .value_kind:     global_buffer
      - .actual_access:  read_only
        .address_space:  global
        .offset:         120
        .size:           8
        .value_kind:     global_buffer
      - .actual_access:  write_only
        .address_space:  global
        .offset:         128
        .size:           8
        .value_kind:     global_buffer
      - .offset:         136
        .size:           4
        .value_kind:     by_value
      - .offset:         140
        .size:           4
        .value_kind:     by_value
      - .offset:         144
        .size:           4
        .value_kind:     by_value
      - .offset:         148
        .size:           4
        .value_kind:     by_value
      - .offset:         152
        .size:           1
        .value_kind:     by_value
      - .offset:         153
        .size:           1
        .value_kind:     by_value
      - .offset:         154
        .size:           1
        .value_kind:     by_value
    .group_segment_fixed_size: 0
    .kernarg_segment_align: 8
    .kernarg_segment_size: 156
    .language:       OpenCL C
    .language_version:
      - 2
      - 0
    .max_flat_workgroup_size: 1024
    .name:           _ZN9rocsparseL41csrgemm_numeric_fill_block_per_row_kernelILj1024ELj64ELj32768ELj137ELj64ElifEEvT5_PKS1_S3_NS_24const_host_device_scalarIT6_EEPKT4_S3_PKS5_S9_S3_SB_S6_S9_S3_SB_S9_S3_PS5_21rocsparse_index_base_SD_SD_SD_bbb
    .private_segment_fixed_size: 0
    .sgpr_count:     67
    .sgpr_spill_count: 0
    .symbol:         _ZN9rocsparseL41csrgemm_numeric_fill_block_per_row_kernelILj1024ELj64ELj32768ELj137ELj64ElifEEvT5_PKS1_S3_NS_24const_host_device_scalarIT6_EEPKT4_S3_PKS5_S9_S3_SB_S6_S9_S3_SB_S9_S3_PS5_21rocsparse_index_base_SD_SD_SD_bbb.kd
    .uniform_work_group_size: 1
    .uses_dynamic_stack: false
    .vgpr_count:     30
    .vgpr_spill_count: 0
    .wavefront_size: 64
  - .agpr_count:     0
    .args:
      - .offset:         0
        .size:           4
        .value_kind:     by_value
      - .actual_access:  read_only
        .address_space:  global
        .offset:         8
        .size:           8
        .value_kind:     global_buffer
      - .actual_access:  read_only
        .address_space:  global
        .offset:         16
        .size:           8
        .value_kind:     global_buffer
      - .offset:         24
        .size:           8
        .value_kind:     by_value
      - .actual_access:  read_only
        .address_space:  global
        .offset:         32
        .size:           8
        .value_kind:     global_buffer
      - .actual_access:  read_only
        .address_space:  global
        .offset:         40
        .size:           8
        .value_kind:     global_buffer
      - .actual_access:  read_only
        .address_space:  global
        .offset:         48
        .size:           8
        .value_kind:     global_buffer
      - .actual_access:  read_only
        .address_space:  global
        .offset:         56
        .size:           8
        .value_kind:     global_buffer
      - .actual_access:  read_only
        .address_space:  global
        .offset:         64
        .size:           8
        .value_kind:     global_buffer
      - .actual_access:  read_only
        .address_space:  global
        .offset:         72
        .size:           8
        .value_kind:     global_buffer
      - .offset:         80
        .size:           8
        .value_kind:     by_value
      - .actual_access:  read_only
        .address_space:  global
        .offset:         88
        .size:           8
        .value_kind:     global_buffer
      - .actual_access:  read_only
        .address_space:  global
        .offset:         96
        .size:           8
        .value_kind:     global_buffer
      - .actual_access:  read_only
        .address_space:  global
        .offset:         104
        .size:           8
        .value_kind:     global_buffer
      - .actual_access:  read_only
        .address_space:  global
        .offset:         112
        .size:           8
        .value_kind:     global_buffer
      - .actual_access:  read_only
        .address_space:  global
        .offset:         120
        .size:           8
        .value_kind:     global_buffer
      - .actual_access:  write_only
        .address_space:  global
        .offset:         128
        .size:           8
        .value_kind:     global_buffer
      - .address_space:  global
        .offset:         136
        .size:           8
        .value_kind:     global_buffer
      - .offset:         144
        .size:           4
        .value_kind:     by_value
      - .offset:         148
        .size:           4
        .value_kind:     by_value
      - .offset:         152
        .size:           4
        .value_kind:     by_value
      - .offset:         156
        .size:           4
        .value_kind:     by_value
      - .offset:         160
        .size:           1
        .value_kind:     by_value
      - .offset:         161
        .size:           1
        .value_kind:     by_value
      - .offset:         162
        .size:           1
        .value_kind:     by_value
    .group_segment_fixed_size: 10244
    .kernarg_segment_align: 8
    .kernarg_segment_size: 164
    .language:       OpenCL C
    .language_version:
      - 2
      - 0
    .max_flat_workgroup_size: 512
    .name:           _ZN9rocsparseL51csrgemm_numeric_fill_block_per_row_multipass_kernelILj512ELj16ELj2048ELj32ElifEEvT4_PKS1_S3_NS_24const_host_device_scalarIT5_EEPKT3_S3_PKS5_S9_S3_SB_S6_S9_S3_SB_S9_S3_PS5_PS7_21rocsparse_index_base_SE_SE_SE_bbb
    .private_segment_fixed_size: 0
    .sgpr_count:     100
    .sgpr_spill_count: 0
    .symbol:         _ZN9rocsparseL51csrgemm_numeric_fill_block_per_row_multipass_kernelILj512ELj16ELj2048ELj32ElifEEvT4_PKS1_S3_NS_24const_host_device_scalarIT5_EEPKT3_S3_PKS5_S9_S3_SB_S6_S9_S3_SB_S9_S3_PS5_PS7_21rocsparse_index_base_SE_SE_SE_bbb.kd
    .uniform_work_group_size: 1
    .uses_dynamic_stack: false
    .vgpr_count:     41
    .vgpr_spill_count: 0
    .wavefront_size: 64
  - .agpr_count:     0
    .args:
      - .offset:         0
        .size:           4
        .value_kind:     by_value
      - .actual_access:  read_only
        .address_space:  global
        .offset:         8
        .size:           8
        .value_kind:     global_buffer
      - .actual_access:  read_only
        .address_space:  global
        .offset:         16
        .size:           8
        .value_kind:     global_buffer
      - .offset:         24
        .size:           8
        .value_kind:     by_value
      - .actual_access:  read_only
        .address_space:  global
        .offset:         32
        .size:           8
        .value_kind:     global_buffer
      - .actual_access:  read_only
        .address_space:  global
        .offset:         40
        .size:           8
        .value_kind:     global_buffer
      - .actual_access:  read_only
        .address_space:  global
        .offset:         48
        .size:           8
        .value_kind:     global_buffer
      - .actual_access:  read_only
        .address_space:  global
        .offset:         56
        .size:           8
        .value_kind:     global_buffer
      - .actual_access:  read_only
        .address_space:  global
        .offset:         64
        .size:           8
        .value_kind:     global_buffer
      - .actual_access:  read_only
        .address_space:  global
        .offset:         72
        .size:           8
        .value_kind:     global_buffer
      - .offset:         80
        .size:           8
        .value_kind:     by_value
      - .actual_access:  read_only
        .address_space:  global
        .offset:         88
        .size:           8
        .value_kind:     global_buffer
      - .actual_access:  read_only
        .address_space:  global
        .offset:         96
        .size:           8
        .value_kind:     global_buffer
      - .actual_access:  read_only
        .address_space:  global
        .offset:         104
        .size:           8
        .value_kind:     global_buffer
      - .actual_access:  read_only
        .address_space:  global
        .offset:         112
        .size:           8
        .value_kind:     global_buffer
      - .actual_access:  read_only
        .address_space:  global
        .offset:         120
        .size:           8
        .value_kind:     global_buffer
      - .actual_access:  write_only
        .address_space:  global
        .offset:         128
        .size:           8
        .value_kind:     global_buffer
      - .address_space:  global
        .offset:         136
        .size:           8
        .value_kind:     global_buffer
      - .offset:         144
        .size:           4
        .value_kind:     by_value
      - .offset:         148
        .size:           4
        .value_kind:     by_value
      - .offset:         152
        .size:           4
        .value_kind:     by_value
      - .offset:         156
        .size:           4
        .value_kind:     by_value
      - .offset:         160
        .size:           1
        .value_kind:     by_value
      - .offset:         161
        .size:           1
        .value_kind:     by_value
      - .offset:         162
        .size:           1
        .value_kind:     by_value
    .group_segment_fixed_size: 10244
    .kernarg_segment_align: 8
    .kernarg_segment_size: 164
    .language:       OpenCL C
    .language_version:
      - 2
      - 0
    .max_flat_workgroup_size: 512
    .name:           _ZN9rocsparseL51csrgemm_numeric_fill_block_per_row_multipass_kernelILj512ELj16ELj2048ELj64ElifEEvT4_PKS1_S3_NS_24const_host_device_scalarIT5_EEPKT3_S3_PKS5_S9_S3_SB_S6_S9_S3_SB_S9_S3_PS5_PS7_21rocsparse_index_base_SE_SE_SE_bbb
    .private_segment_fixed_size: 0
    .sgpr_count:     84
    .sgpr_spill_count: 0
    .symbol:         _ZN9rocsparseL51csrgemm_numeric_fill_block_per_row_multipass_kernelILj512ELj16ELj2048ELj64ElifEEvT4_PKS1_S3_NS_24const_host_device_scalarIT5_EEPKT3_S3_PKS5_S9_S3_SB_S6_S9_S3_SB_S9_S3_PS5_PS7_21rocsparse_index_base_SE_SE_SE_bbb.kd
    .uniform_work_group_size: 1
    .uses_dynamic_stack: false
    .vgpr_count:     38
    .vgpr_spill_count: 0
    .wavefront_size: 64
  - .agpr_count:     0
    .args:
      - .offset:         0
        .size:           4
        .value_kind:     by_value
      - .offset:         4
        .size:           4
        .value_kind:     by_value
      - .actual_access:  read_only
        .address_space:  global
        .offset:         8
        .size:           8
        .value_kind:     global_buffer
      - .actual_access:  read_only
        .address_space:  global
        .offset:         16
        .size:           8
        .value_kind:     global_buffer
      - .offset:         24
        .size:           8
        .value_kind:     by_value
      - .actual_access:  read_only
        .address_space:  global
        .offset:         32
        .size:           8
        .value_kind:     global_buffer
      - .actual_access:  read_only
        .address_space:  global
        .offset:         40
        .size:           8
        .value_kind:     global_buffer
      - .actual_access:  read_only
        .address_space:  global
        .offset:         48
        .size:           8
        .value_kind:     global_buffer
      - .actual_access:  read_only
        .address_space:  global
        .offset:         56
        .size:           8
        .value_kind:     global_buffer
      - .actual_access:  read_only
        .address_space:  global
        .offset:         64
        .size:           8
        .value_kind:     global_buffer
      - .actual_access:  read_only
        .address_space:  global
        .offset:         72
        .size:           8
        .value_kind:     global_buffer
      - .offset:         80
        .size:           8
        .value_kind:     by_value
      - .actual_access:  read_only
        .address_space:  global
        .offset:         88
        .size:           8
        .value_kind:     global_buffer
      - .actual_access:  read_only
        .address_space:  global
        .offset:         96
        .size:           8
        .value_kind:     global_buffer
      - .actual_access:  read_only
        .address_space:  global
        .offset:         104
        .size:           8
        .value_kind:     global_buffer
      - .actual_access:  read_only
        .address_space:  global
        .offset:         112
        .size:           8
        .value_kind:     global_buffer
      - .actual_access:  read_only
        .address_space:  global
        .offset:         120
        .size:           8
        .value_kind:     global_buffer
      - .actual_access:  write_only
        .address_space:  global
        .offset:         128
        .size:           8
        .value_kind:     global_buffer
      - .offset:         136
        .size:           4
        .value_kind:     by_value
      - .offset:         140
        .size:           4
        .value_kind:     by_value
      - .offset:         144
        .size:           4
        .value_kind:     by_value
      - .offset:         148
        .size:           4
        .value_kind:     by_value
      - .offset:         152
        .size:           1
        .value_kind:     by_value
      - .offset:         153
        .size:           1
        .value_kind:     by_value
      - .offset:         154
        .size:           1
        .value_kind:     by_value
    .group_segment_fixed_size: 6144
    .kernarg_segment_align: 8
    .kernarg_segment_size: 156
    .language:       OpenCL C
    .language_version:
      - 2
      - 0
    .max_flat_workgroup_size: 256
    .name:           _ZN9rocsparseL38csrgemm_numeric_fill_wf_per_row_kernelILj256ELj8ELj16ELj137ElidEEvT4_S1_PKS1_S3_NS_24const_host_device_scalarIT5_EEPKT3_S3_PKS5_S9_S3_SB_S6_S9_S3_SB_S9_S3_PS5_21rocsparse_index_base_SD_SD_SD_bbb
    .private_segment_fixed_size: 0
    .sgpr_count:     54
    .sgpr_spill_count: 0
    .symbol:         _ZN9rocsparseL38csrgemm_numeric_fill_wf_per_row_kernelILj256ELj8ELj16ELj137ElidEEvT4_S1_PKS1_S3_NS_24const_host_device_scalarIT5_EEPKT3_S3_PKS5_S9_S3_SB_S6_S9_S3_SB_S9_S3_PS5_21rocsparse_index_base_SD_SD_SD_bbb.kd
    .uniform_work_group_size: 1
    .uses_dynamic_stack: false
    .vgpr_count:     30
    .vgpr_spill_count: 0
    .wavefront_size: 64
  - .agpr_count:     0
    .args:
      - .offset:         0
        .size:           4
        .value_kind:     by_value
      - .offset:         4
        .size:           4
        .value_kind:     by_value
      - .actual_access:  read_only
        .address_space:  global
        .offset:         8
        .size:           8
        .value_kind:     global_buffer
      - .actual_access:  read_only
        .address_space:  global
        .offset:         16
        .size:           8
        .value_kind:     global_buffer
      - .offset:         24
        .size:           8
        .value_kind:     by_value
      - .actual_access:  read_only
        .address_space:  global
        .offset:         32
        .size:           8
        .value_kind:     global_buffer
      - .actual_access:  read_only
        .address_space:  global
        .offset:         40
        .size:           8
        .value_kind:     global_buffer
      - .actual_access:  read_only
        .address_space:  global
        .offset:         48
        .size:           8
        .value_kind:     global_buffer
      - .actual_access:  read_only
        .address_space:  global
        .offset:         56
        .size:           8
        .value_kind:     global_buffer
      - .actual_access:  read_only
        .address_space:  global
        .offset:         64
        .size:           8
        .value_kind:     global_buffer
      - .actual_access:  read_only
        .address_space:  global
        .offset:         72
        .size:           8
        .value_kind:     global_buffer
      - .offset:         80
        .size:           8
        .value_kind:     by_value
      - .actual_access:  read_only
        .address_space:  global
        .offset:         88
        .size:           8
        .value_kind:     global_buffer
      - .actual_access:  read_only
        .address_space:  global
        .offset:         96
        .size:           8
        .value_kind:     global_buffer
      - .actual_access:  read_only
        .address_space:  global
        .offset:         104
        .size:           8
        .value_kind:     global_buffer
      - .actual_access:  read_only
        .address_space:  global
        .offset:         112
        .size:           8
        .value_kind:     global_buffer
      - .actual_access:  read_only
        .address_space:  global
        .offset:         120
        .size:           8
        .value_kind:     global_buffer
      - .actual_access:  write_only
        .address_space:  global
        .offset:         128
        .size:           8
        .value_kind:     global_buffer
      - .offset:         136
        .size:           4
        .value_kind:     by_value
      - .offset:         140
        .size:           4
        .value_kind:     by_value
      - .offset:         144
        .size:           4
        .value_kind:     by_value
      - .offset:         148
        .size:           4
        .value_kind:     by_value
      - .offset:         152
        .size:           1
        .value_kind:     by_value
      - .offset:         153
        .size:           1
        .value_kind:     by_value
      - .offset:         154
        .size:           1
        .value_kind:     by_value
    .group_segment_fixed_size: 6144
    .kernarg_segment_align: 8
    .kernarg_segment_size: 156
    .language:       OpenCL C
    .language_version:
      - 2
      - 0
    .max_flat_workgroup_size: 256
    .name:           _ZN9rocsparseL38csrgemm_numeric_fill_wf_per_row_kernelILj256ELj16ELj32ELj137ElidEEvT4_S1_PKS1_S3_NS_24const_host_device_scalarIT5_EEPKT3_S3_PKS5_S9_S3_SB_S6_S9_S3_SB_S9_S3_PS5_21rocsparse_index_base_SD_SD_SD_bbb
    .private_segment_fixed_size: 0
    .sgpr_count:     54
    .sgpr_spill_count: 0
    .symbol:         _ZN9rocsparseL38csrgemm_numeric_fill_wf_per_row_kernelILj256ELj16ELj32ELj137ElidEEvT4_S1_PKS1_S3_NS_24const_host_device_scalarIT5_EEPKT3_S3_PKS5_S9_S3_SB_S6_S9_S3_SB_S9_S3_PS5_21rocsparse_index_base_SD_SD_SD_bbb.kd
    .uniform_work_group_size: 1
    .uses_dynamic_stack: false
    .vgpr_count:     46
    .vgpr_spill_count: 0
    .wavefront_size: 64
  - .agpr_count:     0
    .args:
      - .offset:         0
        .size:           4
        .value_kind:     by_value
      - .actual_access:  read_only
        .address_space:  global
        .offset:         8
        .size:           8
        .value_kind:     global_buffer
      - .actual_access:  read_only
        .address_space:  global
        .offset:         16
        .size:           8
        .value_kind:     global_buffer
      - .offset:         24
        .size:           8
        .value_kind:     by_value
      - .actual_access:  read_only
        .address_space:  global
        .offset:         32
        .size:           8
        .value_kind:     global_buffer
      - .actual_access:  read_only
        .address_space:  global
        .offset:         40
        .size:           8
        .value_kind:     global_buffer
      - .actual_access:  read_only
        .address_space:  global
        .offset:         48
        .size:           8
        .value_kind:     global_buffer
      - .actual_access:  read_only
        .address_space:  global
        .offset:         56
        .size:           8
        .value_kind:     global_buffer
      - .actual_access:  read_only
        .address_space:  global
        .offset:         64
        .size:           8
        .value_kind:     global_buffer
      - .actual_access:  read_only
        .address_space:  global
        .offset:         72
        .size:           8
        .value_kind:     global_buffer
      - .offset:         80
        .size:           8
        .value_kind:     by_value
      - .actual_access:  read_only
        .address_space:  global
        .offset:         88
        .size:           8
        .value_kind:     global_buffer
      - .actual_access:  read_only
        .address_space:  global
        .offset:         96
        .size:           8
        .value_kind:     global_buffer
      - .actual_access:  read_only
        .address_space:  global
        .offset:         104
        .size:           8
        .value_kind:     global_buffer
      - .actual_access:  read_only
        .address_space:  global
        .offset:         112
        .size:           8
        .value_kind:     global_buffer
      - .actual_access:  read_only
        .address_space:  global
        .offset:         120
        .size:           8
        .value_kind:     global_buffer
      - .actual_access:  write_only
        .address_space:  global
        .offset:         128
        .size:           8
        .value_kind:     global_buffer
      - .offset:         136
        .size:           4
        .value_kind:     by_value
      - .offset:         140
        .size:           4
        .value_kind:     by_value
      - .offset:         144
        .size:           4
        .value_kind:     by_value
      - .offset:         148
        .size:           4
        .value_kind:     by_value
      - .offset:         152
        .size:           1
        .value_kind:     by_value
      - .offset:         153
        .size:           1
        .value_kind:     by_value
      - .offset:         154
        .size:           1
        .value_kind:     by_value
    .group_segment_fixed_size: 0
    .kernarg_segment_align: 8
    .kernarg_segment_size: 156
    .language:       OpenCL C
    .language_version:
      - 2
      - 0
    .max_flat_workgroup_size: 128
    .name:           _ZN9rocsparseL41csrgemm_numeric_fill_block_per_row_kernelILj128ELj16ELj256ELj137ELj32ElidEEvT5_PKS1_S3_NS_24const_host_device_scalarIT6_EEPKT4_S3_PKS5_S9_S3_SB_S6_S9_S3_SB_S9_S3_PS5_21rocsparse_index_base_SD_SD_SD_bbb
    .private_segment_fixed_size: 0
    .sgpr_count:     59
    .sgpr_spill_count: 0
    .symbol:         _ZN9rocsparseL41csrgemm_numeric_fill_block_per_row_kernelILj128ELj16ELj256ELj137ELj32ElidEEvT5_PKS1_S3_NS_24const_host_device_scalarIT6_EEPKT4_S3_PKS5_S9_S3_SB_S6_S9_S3_SB_S9_S3_PS5_21rocsparse_index_base_SD_SD_SD_bbb.kd
    .uniform_work_group_size: 1
    .uses_dynamic_stack: false
    .vgpr_count:     30
    .vgpr_spill_count: 0
    .wavefront_size: 64
  - .agpr_count:     0
    .args:
      - .offset:         0
        .size:           4
        .value_kind:     by_value
      - .actual_access:  read_only
        .address_space:  global
        .offset:         8
        .size:           8
        .value_kind:     global_buffer
      - .actual_access:  read_only
        .address_space:  global
        .offset:         16
        .size:           8
        .value_kind:     global_buffer
      - .offset:         24
        .size:           8
        .value_kind:     by_value
      - .actual_access:  read_only
        .address_space:  global
        .offset:         32
        .size:           8
        .value_kind:     global_buffer
      - .actual_access:  read_only
        .address_space:  global
        .offset:         40
        .size:           8
        .value_kind:     global_buffer
      - .actual_access:  read_only
        .address_space:  global
        .offset:         48
        .size:           8
        .value_kind:     global_buffer
      - .actual_access:  read_only
        .address_space:  global
        .offset:         56
        .size:           8
        .value_kind:     global_buffer
      - .actual_access:  read_only
        .address_space:  global
        .offset:         64
        .size:           8
        .value_kind:     global_buffer
      - .actual_access:  read_only
        .address_space:  global
        .offset:         72
        .size:           8
        .value_kind:     global_buffer
      - .offset:         80
        .size:           8
        .value_kind:     by_value
      - .actual_access:  read_only
        .address_space:  global
        .offset:         88
        .size:           8
        .value_kind:     global_buffer
      - .actual_access:  read_only
        .address_space:  global
        .offset:         96
        .size:           8
        .value_kind:     global_buffer
      - .actual_access:  read_only
        .address_space:  global
        .offset:         104
        .size:           8
        .value_kind:     global_buffer
      - .actual_access:  read_only
        .address_space:  global
        .offset:         112
        .size:           8
        .value_kind:     global_buffer
      - .actual_access:  read_only
        .address_space:  global
        .offset:         120
        .size:           8
        .value_kind:     global_buffer
      - .actual_access:  write_only
        .address_space:  global
        .offset:         128
        .size:           8
        .value_kind:     global_buffer
      - .offset:         136
        .size:           4
        .value_kind:     by_value
      - .offset:         140
        .size:           4
        .value_kind:     by_value
      - .offset:         144
        .size:           4
        .value_kind:     by_value
      - .offset:         148
        .size:           4
        .value_kind:     by_value
      - .offset:         152
        .size:           1
        .value_kind:     by_value
      - .offset:         153
        .size:           1
        .value_kind:     by_value
      - .offset:         154
        .size:           1
        .value_kind:     by_value
    .group_segment_fixed_size: 0
    .kernarg_segment_align: 8
    .kernarg_segment_size: 156
    .language:       OpenCL C
    .language_version:
      - 2
      - 0
    .max_flat_workgroup_size: 128
    .name:           _ZN9rocsparseL41csrgemm_numeric_fill_block_per_row_kernelILj128ELj16ELj256ELj137ELj64ElidEEvT5_PKS1_S3_NS_24const_host_device_scalarIT6_EEPKT4_S3_PKS5_S9_S3_SB_S6_S9_S3_SB_S9_S3_PS5_21rocsparse_index_base_SD_SD_SD_bbb
    .private_segment_fixed_size: 0
    .sgpr_count:     59
    .sgpr_spill_count: 0
    .symbol:         _ZN9rocsparseL41csrgemm_numeric_fill_block_per_row_kernelILj128ELj16ELj256ELj137ELj64ElidEEvT5_PKS1_S3_NS_24const_host_device_scalarIT6_EEPKT4_S3_PKS5_S9_S3_SB_S6_S9_S3_SB_S9_S3_PS5_21rocsparse_index_base_SD_SD_SD_bbb.kd
    .uniform_work_group_size: 1
    .uses_dynamic_stack: false
    .vgpr_count:     30
    .vgpr_spill_count: 0
    .wavefront_size: 64
  - .agpr_count:     0
    .args:
      - .offset:         0
        .size:           4
        .value_kind:     by_value
      - .actual_access:  read_only
        .address_space:  global
        .offset:         8
        .size:           8
        .value_kind:     global_buffer
      - .actual_access:  read_only
        .address_space:  global
        .offset:         16
        .size:           8
        .value_kind:     global_buffer
      - .offset:         24
        .size:           8
        .value_kind:     by_value
      - .actual_access:  read_only
        .address_space:  global
        .offset:         32
        .size:           8
        .value_kind:     global_buffer
      - .actual_access:  read_only
        .address_space:  global
        .offset:         40
        .size:           8
        .value_kind:     global_buffer
      - .actual_access:  read_only
        .address_space:  global
        .offset:         48
        .size:           8
        .value_kind:     global_buffer
      - .actual_access:  read_only
        .address_space:  global
        .offset:         56
        .size:           8
        .value_kind:     global_buffer
      - .actual_access:  read_only
        .address_space:  global
        .offset:         64
        .size:           8
        .value_kind:     global_buffer
      - .actual_access:  read_only
        .address_space:  global
        .offset:         72
        .size:           8
        .value_kind:     global_buffer
      - .offset:         80
        .size:           8
        .value_kind:     by_value
      - .actual_access:  read_only
        .address_space:  global
        .offset:         88
        .size:           8
        .value_kind:     global_buffer
      - .actual_access:  read_only
        .address_space:  global
        .offset:         96
        .size:           8
        .value_kind:     global_buffer
      - .actual_access:  read_only
        .address_space:  global
        .offset:         104
        .size:           8
        .value_kind:     global_buffer
      - .actual_access:  read_only
        .address_space:  global
        .offset:         112
        .size:           8
        .value_kind:     global_buffer
      - .actual_access:  read_only
        .address_space:  global
        .offset:         120
        .size:           8
        .value_kind:     global_buffer
      - .actual_access:  write_only
        .address_space:  global
        .offset:         128
        .size:           8
        .value_kind:     global_buffer
      - .offset:         136
        .size:           4
        .value_kind:     by_value
      - .offset:         140
        .size:           4
        .value_kind:     by_value
      - .offset:         144
        .size:           4
        .value_kind:     by_value
      - .offset:         148
        .size:           4
        .value_kind:     by_value
      - .offset:         152
        .size:           1
        .value_kind:     by_value
      - .offset:         153
        .size:           1
        .value_kind:     by_value
      - .offset:         154
        .size:           1
        .value_kind:     by_value
    .group_segment_fixed_size: 0
    .kernarg_segment_align: 8
    .kernarg_segment_size: 156
    .language:       OpenCL C
    .language_version:
      - 2
      - 0
    .max_flat_workgroup_size: 256
    .name:           _ZN9rocsparseL41csrgemm_numeric_fill_block_per_row_kernelILj256ELj32ELj512ELj137ELj32ElidEEvT5_PKS1_S3_NS_24const_host_device_scalarIT6_EEPKT4_S3_PKS5_S9_S3_SB_S6_S9_S3_SB_S9_S3_PS5_21rocsparse_index_base_SD_SD_SD_bbb
    .private_segment_fixed_size: 0
    .sgpr_count:     59
    .sgpr_spill_count: 0
    .symbol:         _ZN9rocsparseL41csrgemm_numeric_fill_block_per_row_kernelILj256ELj32ELj512ELj137ELj32ElidEEvT5_PKS1_S3_NS_24const_host_device_scalarIT6_EEPKT4_S3_PKS5_S9_S3_SB_S6_S9_S3_SB_S9_S3_PS5_21rocsparse_index_base_SD_SD_SD_bbb.kd
    .uniform_work_group_size: 1
    .uses_dynamic_stack: false
    .vgpr_count:     30
    .vgpr_spill_count: 0
    .wavefront_size: 64
  - .agpr_count:     0
    .args:
      - .offset:         0
        .size:           4
        .value_kind:     by_value
      - .actual_access:  read_only
        .address_space:  global
        .offset:         8
        .size:           8
        .value_kind:     global_buffer
      - .actual_access:  read_only
        .address_space:  global
        .offset:         16
        .size:           8
        .value_kind:     global_buffer
      - .offset:         24
        .size:           8
        .value_kind:     by_value
      - .actual_access:  read_only
        .address_space:  global
        .offset:         32
        .size:           8
        .value_kind:     global_buffer
      - .actual_access:  read_only
        .address_space:  global
        .offset:         40
        .size:           8
        .value_kind:     global_buffer
      - .actual_access:  read_only
        .address_space:  global
        .offset:         48
        .size:           8
        .value_kind:     global_buffer
      - .actual_access:  read_only
        .address_space:  global
        .offset:         56
        .size:           8
        .value_kind:     global_buffer
      - .actual_access:  read_only
        .address_space:  global
        .offset:         64
        .size:           8
        .value_kind:     global_buffer
      - .actual_access:  read_only
        .address_space:  global
        .offset:         72
        .size:           8
        .value_kind:     global_buffer
      - .offset:         80
        .size:           8
        .value_kind:     by_value
      - .actual_access:  read_only
        .address_space:  global
        .offset:         88
        .size:           8
        .value_kind:     global_buffer
      - .actual_access:  read_only
        .address_space:  global
        .offset:         96
        .size:           8
        .value_kind:     global_buffer
      - .actual_access:  read_only
        .address_space:  global
        .offset:         104
        .size:           8
        .value_kind:     global_buffer
      - .actual_access:  read_only
        .address_space:  global
        .offset:         112
        .size:           8
        .value_kind:     global_buffer
      - .actual_access:  read_only
        .address_space:  global
        .offset:         120
        .size:           8
        .value_kind:     global_buffer
      - .actual_access:  write_only
        .address_space:  global
        .offset:         128
        .size:           8
        .value_kind:     global_buffer
      - .offset:         136
        .size:           4
        .value_kind:     by_value
      - .offset:         140
        .size:           4
        .value_kind:     by_value
      - .offset:         144
        .size:           4
        .value_kind:     by_value
      - .offset:         148
        .size:           4
        .value_kind:     by_value
      - .offset:         152
        .size:           1
        .value_kind:     by_value
      - .offset:         153
        .size:           1
        .value_kind:     by_value
      - .offset:         154
        .size:           1
        .value_kind:     by_value
    .group_segment_fixed_size: 0
    .kernarg_segment_align: 8
    .kernarg_segment_size: 156
    .language:       OpenCL C
    .language_version:
      - 2
      - 0
    .max_flat_workgroup_size: 256
    .name:           _ZN9rocsparseL41csrgemm_numeric_fill_block_per_row_kernelILj256ELj32ELj512ELj137ELj64ElidEEvT5_PKS1_S3_NS_24const_host_device_scalarIT6_EEPKT4_S3_PKS5_S9_S3_SB_S6_S9_S3_SB_S9_S3_PS5_21rocsparse_index_base_SD_SD_SD_bbb
    .private_segment_fixed_size: 0
    .sgpr_count:     59
    .sgpr_spill_count: 0
    .symbol:         _ZN9rocsparseL41csrgemm_numeric_fill_block_per_row_kernelILj256ELj32ELj512ELj137ELj64ElidEEvT5_PKS1_S3_NS_24const_host_device_scalarIT6_EEPKT4_S3_PKS5_S9_S3_SB_S6_S9_S3_SB_S9_S3_PS5_21rocsparse_index_base_SD_SD_SD_bbb.kd
    .uniform_work_group_size: 1
    .uses_dynamic_stack: false
    .vgpr_count:     30
    .vgpr_spill_count: 0
    .wavefront_size: 64
  - .agpr_count:     0
    .args:
      - .offset:         0
        .size:           4
        .value_kind:     by_value
      - .actual_access:  read_only
        .address_space:  global
        .offset:         8
        .size:           8
        .value_kind:     global_buffer
      - .actual_access:  read_only
        .address_space:  global
        .offset:         16
        .size:           8
        .value_kind:     global_buffer
      - .offset:         24
        .size:           8
        .value_kind:     by_value
      - .actual_access:  read_only
        .address_space:  global
        .offset:         32
        .size:           8
        .value_kind:     global_buffer
      - .actual_access:  read_only
        .address_space:  global
        .offset:         40
        .size:           8
        .value_kind:     global_buffer
      - .actual_access:  read_only
        .address_space:  global
        .offset:         48
        .size:           8
        .value_kind:     global_buffer
      - .actual_access:  read_only
        .address_space:  global
        .offset:         56
        .size:           8
        .value_kind:     global_buffer
      - .actual_access:  read_only
        .address_space:  global
        .offset:         64
        .size:           8
        .value_kind:     global_buffer
      - .actual_access:  read_only
        .address_space:  global
        .offset:         72
        .size:           8
        .value_kind:     global_buffer
      - .offset:         80
        .size:           8
        .value_kind:     by_value
      - .actual_access:  read_only
        .address_space:  global
        .offset:         88
        .size:           8
        .value_kind:     global_buffer
      - .actual_access:  read_only
        .address_space:  global
        .offset:         96
        .size:           8
        .value_kind:     global_buffer
      - .actual_access:  read_only
        .address_space:  global
        .offset:         104
        .size:           8
        .value_kind:     global_buffer
      - .actual_access:  read_only
        .address_space:  global
        .offset:         112
        .size:           8
        .value_kind:     global_buffer
      - .actual_access:  read_only
        .address_space:  global
        .offset:         120
        .size:           8
        .value_kind:     global_buffer
      - .actual_access:  write_only
        .address_space:  global
        .offset:         128
        .size:           8
        .value_kind:     global_buffer
      - .offset:         136
        .size:           4
        .value_kind:     by_value
      - .offset:         140
        .size:           4
        .value_kind:     by_value
      - .offset:         144
        .size:           4
        .value_kind:     by_value
      - .offset:         148
        .size:           4
        .value_kind:     by_value
      - .offset:         152
        .size:           1
        .value_kind:     by_value
      - .offset:         153
        .size:           1
        .value_kind:     by_value
      - .offset:         154
        .size:           1
        .value_kind:     by_value
    .group_segment_fixed_size: 0
    .kernarg_segment_align: 8
    .kernarg_segment_size: 156
    .language:       OpenCL C
    .language_version:
      - 2
      - 0
    .max_flat_workgroup_size: 512
    .name:           _ZN9rocsparseL41csrgemm_numeric_fill_block_per_row_kernelILj512ELj32ELj1024ELj137ELj32ElidEEvT5_PKS1_S3_NS_24const_host_device_scalarIT6_EEPKT4_S3_PKS5_S9_S3_SB_S6_S9_S3_SB_S9_S3_PS5_21rocsparse_index_base_SD_SD_SD_bbb
    .private_segment_fixed_size: 0
    .sgpr_count:     57
    .sgpr_spill_count: 0
    .symbol:         _ZN9rocsparseL41csrgemm_numeric_fill_block_per_row_kernelILj512ELj32ELj1024ELj137ELj32ElidEEvT5_PKS1_S3_NS_24const_host_device_scalarIT6_EEPKT4_S3_PKS5_S9_S3_SB_S6_S9_S3_SB_S9_S3_PS5_21rocsparse_index_base_SD_SD_SD_bbb.kd
    .uniform_work_group_size: 1
    .uses_dynamic_stack: false
    .vgpr_count:     30
    .vgpr_spill_count: 0
    .wavefront_size: 64
  - .agpr_count:     0
    .args:
      - .offset:         0
        .size:           4
        .value_kind:     by_value
      - .actual_access:  read_only
        .address_space:  global
        .offset:         8
        .size:           8
        .value_kind:     global_buffer
      - .actual_access:  read_only
        .address_space:  global
        .offset:         16
        .size:           8
        .value_kind:     global_buffer
      - .offset:         24
        .size:           8
        .value_kind:     by_value
      - .actual_access:  read_only
        .address_space:  global
        .offset:         32
        .size:           8
        .value_kind:     global_buffer
      - .actual_access:  read_only
        .address_space:  global
        .offset:         40
        .size:           8
        .value_kind:     global_buffer
      - .actual_access:  read_only
        .address_space:  global
        .offset:         48
        .size:           8
        .value_kind:     global_buffer
      - .actual_access:  read_only
        .address_space:  global
        .offset:         56
        .size:           8
        .value_kind:     global_buffer
      - .actual_access:  read_only
        .address_space:  global
        .offset:         64
        .size:           8
        .value_kind:     global_buffer
      - .actual_access:  read_only
        .address_space:  global
        .offset:         72
        .size:           8
        .value_kind:     global_buffer
      - .offset:         80
        .size:           8
        .value_kind:     by_value
      - .actual_access:  read_only
        .address_space:  global
        .offset:         88
        .size:           8
        .value_kind:     global_buffer
      - .actual_access:  read_only
        .address_space:  global
        .offset:         96
        .size:           8
        .value_kind:     global_buffer
      - .actual_access:  read_only
        .address_space:  global
        .offset:         104
        .size:           8
        .value_kind:     global_buffer
      - .actual_access:  read_only
        .address_space:  global
        .offset:         112
        .size:           8
        .value_kind:     global_buffer
      - .actual_access:  read_only
        .address_space:  global
        .offset:         120
        .size:           8
        .value_kind:     global_buffer
      - .actual_access:  write_only
        .address_space:  global
        .offset:         128
        .size:           8
        .value_kind:     global_buffer
      - .offset:         136
        .size:           4
        .value_kind:     by_value
      - .offset:         140
        .size:           4
        .value_kind:     by_value
      - .offset:         144
        .size:           4
        .value_kind:     by_value
      - .offset:         148
        .size:           4
        .value_kind:     by_value
      - .offset:         152
        .size:           1
        .value_kind:     by_value
      - .offset:         153
        .size:           1
        .value_kind:     by_value
      - .offset:         154
        .size:           1
        .value_kind:     by_value
    .group_segment_fixed_size: 0
    .kernarg_segment_align: 8
    .kernarg_segment_size: 156
    .language:       OpenCL C
    .language_version:
      - 2
      - 0
    .max_flat_workgroup_size: 512
    .name:           _ZN9rocsparseL41csrgemm_numeric_fill_block_per_row_kernelILj512ELj32ELj1024ELj137ELj64ElidEEvT5_PKS1_S3_NS_24const_host_device_scalarIT6_EEPKT4_S3_PKS5_S9_S3_SB_S6_S9_S3_SB_S9_S3_PS5_21rocsparse_index_base_SD_SD_SD_bbb
    .private_segment_fixed_size: 0
    .sgpr_count:     57
    .sgpr_spill_count: 0
    .symbol:         _ZN9rocsparseL41csrgemm_numeric_fill_block_per_row_kernelILj512ELj32ELj1024ELj137ELj64ElidEEvT5_PKS1_S3_NS_24const_host_device_scalarIT6_EEPKT4_S3_PKS5_S9_S3_SB_S6_S9_S3_SB_S9_S3_PS5_21rocsparse_index_base_SD_SD_SD_bbb.kd
    .uniform_work_group_size: 1
    .uses_dynamic_stack: false
    .vgpr_count:     30
    .vgpr_spill_count: 0
    .wavefront_size: 64
  - .agpr_count:     0
    .args:
      - .offset:         0
        .size:           4
        .value_kind:     by_value
      - .actual_access:  read_only
        .address_space:  global
        .offset:         8
        .size:           8
        .value_kind:     global_buffer
      - .actual_access:  read_only
        .address_space:  global
        .offset:         16
        .size:           8
        .value_kind:     global_buffer
      - .offset:         24
        .size:           8
        .value_kind:     by_value
      - .actual_access:  read_only
        .address_space:  global
        .offset:         32
        .size:           8
        .value_kind:     global_buffer
      - .actual_access:  read_only
        .address_space:  global
        .offset:         40
        .size:           8
        .value_kind:     global_buffer
      - .actual_access:  read_only
        .address_space:  global
        .offset:         48
        .size:           8
        .value_kind:     global_buffer
      - .actual_access:  read_only
        .address_space:  global
        .offset:         56
        .size:           8
        .value_kind:     global_buffer
      - .actual_access:  read_only
        .address_space:  global
        .offset:         64
        .size:           8
        .value_kind:     global_buffer
      - .actual_access:  read_only
        .address_space:  global
        .offset:         72
        .size:           8
        .value_kind:     global_buffer
      - .offset:         80
        .size:           8
        .value_kind:     by_value
      - .actual_access:  read_only
        .address_space:  global
        .offset:         88
        .size:           8
        .value_kind:     global_buffer
      - .actual_access:  read_only
        .address_space:  global
        .offset:         96
        .size:           8
        .value_kind:     global_buffer
      - .actual_access:  read_only
        .address_space:  global
        .offset:         104
        .size:           8
        .value_kind:     global_buffer
      - .actual_access:  read_only
        .address_space:  global
        .offset:         112
        .size:           8
        .value_kind:     global_buffer
      - .actual_access:  read_only
        .address_space:  global
        .offset:         120
        .size:           8
        .value_kind:     global_buffer
      - .actual_access:  write_only
        .address_space:  global
        .offset:         128
        .size:           8
        .value_kind:     global_buffer
      - .offset:         136
        .size:           4
        .value_kind:     by_value
      - .offset:         140
        .size:           4
        .value_kind:     by_value
      - .offset:         144
        .size:           4
        .value_kind:     by_value
      - .offset:         148
        .size:           4
        .value_kind:     by_value
      - .offset:         152
        .size:           1
        .value_kind:     by_value
      - .offset:         153
        .size:           1
        .value_kind:     by_value
      - .offset:         154
        .size:           1
        .value_kind:     by_value
    .group_segment_fixed_size: 0
    .kernarg_segment_align: 8
    .kernarg_segment_size: 156
    .language:       OpenCL C
    .language_version:
      - 2
      - 0
    .max_flat_workgroup_size: 1024
    .name:           _ZN9rocsparseL41csrgemm_numeric_fill_block_per_row_kernelILj1024ELj32ELj2048ELj137ELj32ElidEEvT5_PKS1_S3_NS_24const_host_device_scalarIT6_EEPKT4_S3_PKS5_S9_S3_SB_S6_S9_S3_SB_S9_S3_PS5_21rocsparse_index_base_SD_SD_SD_bbb
    .private_segment_fixed_size: 0
    .sgpr_count:     84
    .sgpr_spill_count: 0
    .symbol:         _ZN9rocsparseL41csrgemm_numeric_fill_block_per_row_kernelILj1024ELj32ELj2048ELj137ELj32ElidEEvT5_PKS1_S3_NS_24const_host_device_scalarIT6_EEPKT4_S3_PKS5_S9_S3_SB_S6_S9_S3_SB_S9_S3_PS5_21rocsparse_index_base_SD_SD_SD_bbb.kd
    .uniform_work_group_size: 1
    .uses_dynamic_stack: false
    .vgpr_count:     30
    .vgpr_spill_count: 0
    .wavefront_size: 64
  - .agpr_count:     0
    .args:
      - .offset:         0
        .size:           4
        .value_kind:     by_value
      - .actual_access:  read_only
        .address_space:  global
        .offset:         8
        .size:           8
        .value_kind:     global_buffer
      - .actual_access:  read_only
        .address_space:  global
        .offset:         16
        .size:           8
        .value_kind:     global_buffer
      - .offset:         24
        .size:           8
        .value_kind:     by_value
      - .actual_access:  read_only
        .address_space:  global
        .offset:         32
        .size:           8
        .value_kind:     global_buffer
      - .actual_access:  read_only
        .address_space:  global
        .offset:         40
        .size:           8
        .value_kind:     global_buffer
      - .actual_access:  read_only
        .address_space:  global
        .offset:         48
        .size:           8
        .value_kind:     global_buffer
      - .actual_access:  read_only
        .address_space:  global
        .offset:         56
        .size:           8
        .value_kind:     global_buffer
      - .actual_access:  read_only
        .address_space:  global
        .offset:         64
        .size:           8
        .value_kind:     global_buffer
      - .actual_access:  read_only
        .address_space:  global
        .offset:         72
        .size:           8
        .value_kind:     global_buffer
      - .offset:         80
        .size:           8
        .value_kind:     by_value
      - .actual_access:  read_only
        .address_space:  global
        .offset:         88
        .size:           8
        .value_kind:     global_buffer
      - .actual_access:  read_only
        .address_space:  global
        .offset:         96
        .size:           8
        .value_kind:     global_buffer
      - .actual_access:  read_only
        .address_space:  global
        .offset:         104
        .size:           8
        .value_kind:     global_buffer
      - .actual_access:  read_only
        .address_space:  global
        .offset:         112
        .size:           8
        .value_kind:     global_buffer
      - .actual_access:  read_only
        .address_space:  global
        .offset:         120
        .size:           8
        .value_kind:     global_buffer
      - .actual_access:  write_only
        .address_space:  global
        .offset:         128
        .size:           8
        .value_kind:     global_buffer
      - .offset:         136
        .size:           4
        .value_kind:     by_value
      - .offset:         140
        .size:           4
        .value_kind:     by_value
      - .offset:         144
        .size:           4
        .value_kind:     by_value
      - .offset:         148
        .size:           4
        .value_kind:     by_value
      - .offset:         152
        .size:           1
        .value_kind:     by_value
      - .offset:         153
        .size:           1
        .value_kind:     by_value
      - .offset:         154
        .size:           1
        .value_kind:     by_value
    .group_segment_fixed_size: 0
    .kernarg_segment_align: 8
    .kernarg_segment_size: 156
    .language:       OpenCL C
    .language_version:
      - 2
      - 0
    .max_flat_workgroup_size: 1024
    .name:           _ZN9rocsparseL41csrgemm_numeric_fill_block_per_row_kernelILj1024ELj32ELj2048ELj137ELj64ElidEEvT5_PKS1_S3_NS_24const_host_device_scalarIT6_EEPKT4_S3_PKS5_S9_S3_SB_S6_S9_S3_SB_S9_S3_PS5_21rocsparse_index_base_SD_SD_SD_bbb
    .private_segment_fixed_size: 0
    .sgpr_count:     57
    .sgpr_spill_count: 0
    .symbol:         _ZN9rocsparseL41csrgemm_numeric_fill_block_per_row_kernelILj1024ELj32ELj2048ELj137ELj64ElidEEvT5_PKS1_S3_NS_24const_host_device_scalarIT6_EEPKT4_S3_PKS5_S9_S3_SB_S6_S9_S3_SB_S9_S3_PS5_21rocsparse_index_base_SD_SD_SD_bbb.kd
    .uniform_work_group_size: 1
    .uses_dynamic_stack: false
    .vgpr_count:     30
    .vgpr_spill_count: 0
    .wavefront_size: 64
  - .agpr_count:     0
    .args:
      - .offset:         0
        .size:           4
        .value_kind:     by_value
      - .actual_access:  read_only
        .address_space:  global
        .offset:         8
        .size:           8
        .value_kind:     global_buffer
      - .actual_access:  read_only
        .address_space:  global
        .offset:         16
        .size:           8
        .value_kind:     global_buffer
      - .offset:         24
        .size:           8
        .value_kind:     by_value
      - .actual_access:  read_only
        .address_space:  global
        .offset:         32
        .size:           8
        .value_kind:     global_buffer
      - .actual_access:  read_only
        .address_space:  global
        .offset:         40
        .size:           8
        .value_kind:     global_buffer
      - .actual_access:  read_only
        .address_space:  global
        .offset:         48
        .size:           8
        .value_kind:     global_buffer
      - .actual_access:  read_only
        .address_space:  global
        .offset:         56
        .size:           8
        .value_kind:     global_buffer
      - .actual_access:  read_only
        .address_space:  global
        .offset:         64
        .size:           8
        .value_kind:     global_buffer
      - .actual_access:  read_only
        .address_space:  global
        .offset:         72
        .size:           8
        .value_kind:     global_buffer
      - .offset:         80
        .size:           8
        .value_kind:     by_value
      - .actual_access:  read_only
        .address_space:  global
        .offset:         88
        .size:           8
        .value_kind:     global_buffer
      - .actual_access:  read_only
        .address_space:  global
        .offset:         96
        .size:           8
        .value_kind:     global_buffer
      - .actual_access:  read_only
        .address_space:  global
        .offset:         104
        .size:           8
        .value_kind:     global_buffer
      - .actual_access:  read_only
        .address_space:  global
        .offset:         112
        .size:           8
        .value_kind:     global_buffer
      - .actual_access:  read_only
        .address_space:  global
        .offset:         120
        .size:           8
        .value_kind:     global_buffer
      - .actual_access:  write_only
        .address_space:  global
        .offset:         128
        .size:           8
        .value_kind:     global_buffer
      - .offset:         136
        .size:           4
        .value_kind:     by_value
      - .offset:         140
        .size:           4
        .value_kind:     by_value
      - .offset:         144
        .size:           4
        .value_kind:     by_value
      - .offset:         148
        .size:           4
        .value_kind:     by_value
      - .offset:         152
        .size:           1
        .value_kind:     by_value
      - .offset:         153
        .size:           1
        .value_kind:     by_value
      - .offset:         154
        .size:           1
        .value_kind:     by_value
    .group_segment_fixed_size: 0
    .kernarg_segment_align: 8
    .kernarg_segment_size: 156
    .language:       OpenCL C
    .language_version:
      - 2
      - 0
    .max_flat_workgroup_size: 1024
    .name:           _ZN9rocsparseL41csrgemm_numeric_fill_block_per_row_kernelILj1024ELj64ELj4096ELj137ELj32ElidEEvT5_PKS1_S3_NS_24const_host_device_scalarIT6_EEPKT4_S3_PKS5_S9_S3_SB_S6_S9_S3_SB_S9_S3_PS5_21rocsparse_index_base_SD_SD_SD_bbb
    .private_segment_fixed_size: 0
    .sgpr_count:     84
    .sgpr_spill_count: 0
    .symbol:         _ZN9rocsparseL41csrgemm_numeric_fill_block_per_row_kernelILj1024ELj64ELj4096ELj137ELj32ElidEEvT5_PKS1_S3_NS_24const_host_device_scalarIT6_EEPKT4_S3_PKS5_S9_S3_SB_S6_S9_S3_SB_S9_S3_PS5_21rocsparse_index_base_SD_SD_SD_bbb.kd
    .uniform_work_group_size: 1
    .uses_dynamic_stack: false
    .vgpr_count:     30
    .vgpr_spill_count: 0
    .wavefront_size: 64
  - .agpr_count:     0
    .args:
      - .offset:         0
        .size:           4
        .value_kind:     by_value
      - .actual_access:  read_only
        .address_space:  global
        .offset:         8
        .size:           8
        .value_kind:     global_buffer
      - .actual_access:  read_only
        .address_space:  global
        .offset:         16
        .size:           8
        .value_kind:     global_buffer
      - .offset:         24
        .size:           8
        .value_kind:     by_value
      - .actual_access:  read_only
        .address_space:  global
        .offset:         32
        .size:           8
        .value_kind:     global_buffer
      - .actual_access:  read_only
        .address_space:  global
        .offset:         40
        .size:           8
        .value_kind:     global_buffer
      - .actual_access:  read_only
        .address_space:  global
        .offset:         48
        .size:           8
        .value_kind:     global_buffer
      - .actual_access:  read_only
        .address_space:  global
        .offset:         56
        .size:           8
        .value_kind:     global_buffer
      - .actual_access:  read_only
        .address_space:  global
        .offset:         64
        .size:           8
        .value_kind:     global_buffer
      - .actual_access:  read_only
        .address_space:  global
        .offset:         72
        .size:           8
        .value_kind:     global_buffer
      - .offset:         80
        .size:           8
        .value_kind:     by_value
      - .actual_access:  read_only
        .address_space:  global
        .offset:         88
        .size:           8
        .value_kind:     global_buffer
      - .actual_access:  read_only
        .address_space:  global
        .offset:         96
        .size:           8
        .value_kind:     global_buffer
      - .actual_access:  read_only
        .address_space:  global
        .offset:         104
        .size:           8
        .value_kind:     global_buffer
      - .actual_access:  read_only
        .address_space:  global
        .offset:         112
        .size:           8
        .value_kind:     global_buffer
      - .actual_access:  read_only
        .address_space:  global
        .offset:         120
        .size:           8
        .value_kind:     global_buffer
      - .actual_access:  write_only
        .address_space:  global
        .offset:         128
        .size:           8
        .value_kind:     global_buffer
      - .offset:         136
        .size:           4
        .value_kind:     by_value
      - .offset:         140
        .size:           4
        .value_kind:     by_value
      - .offset:         144
        .size:           4
        .value_kind:     by_value
      - .offset:         148
        .size:           4
        .value_kind:     by_value
      - .offset:         152
        .size:           1
        .value_kind:     by_value
      - .offset:         153
        .size:           1
        .value_kind:     by_value
      - .offset:         154
        .size:           1
        .value_kind:     by_value
    .group_segment_fixed_size: 0
    .kernarg_segment_align: 8
    .kernarg_segment_size: 156
    .language:       OpenCL C
    .language_version:
      - 2
      - 0
    .max_flat_workgroup_size: 1024
    .name:           _ZN9rocsparseL41csrgemm_numeric_fill_block_per_row_kernelILj1024ELj64ELj4096ELj137ELj64ElidEEvT5_PKS1_S3_NS_24const_host_device_scalarIT6_EEPKT4_S3_PKS5_S9_S3_SB_S6_S9_S3_SB_S9_S3_PS5_21rocsparse_index_base_SD_SD_SD_bbb
    .private_segment_fixed_size: 0
    .sgpr_count:     57
    .sgpr_spill_count: 0
    .symbol:         _ZN9rocsparseL41csrgemm_numeric_fill_block_per_row_kernelILj1024ELj64ELj4096ELj137ELj64ElidEEvT5_PKS1_S3_NS_24const_host_device_scalarIT6_EEPKT4_S3_PKS5_S9_S3_SB_S6_S9_S3_SB_S9_S3_PS5_21rocsparse_index_base_SD_SD_SD_bbb.kd
    .uniform_work_group_size: 1
    .uses_dynamic_stack: false
    .vgpr_count:     30
    .vgpr_spill_count: 0
    .wavefront_size: 64
  - .agpr_count:     0
    .args:
      - .offset:         0
        .size:           4
        .value_kind:     by_value
      - .actual_access:  read_only
        .address_space:  global
        .offset:         8
        .size:           8
        .value_kind:     global_buffer
      - .actual_access:  read_only
        .address_space:  global
        .offset:         16
        .size:           8
        .value_kind:     global_buffer
      - .offset:         24
        .size:           8
        .value_kind:     by_value
      - .actual_access:  read_only
        .address_space:  global
        .offset:         32
        .size:           8
        .value_kind:     global_buffer
      - .actual_access:  read_only
        .address_space:  global
        .offset:         40
        .size:           8
        .value_kind:     global_buffer
      - .actual_access:  read_only
        .address_space:  global
        .offset:         48
        .size:           8
        .value_kind:     global_buffer
      - .actual_access:  read_only
        .address_space:  global
        .offset:         56
        .size:           8
        .value_kind:     global_buffer
      - .actual_access:  read_only
        .address_space:  global
        .offset:         64
        .size:           8
        .value_kind:     global_buffer
      - .actual_access:  read_only
        .address_space:  global
        .offset:         72
        .size:           8
        .value_kind:     global_buffer
      - .offset:         80
        .size:           8
        .value_kind:     by_value
      - .actual_access:  read_only
        .address_space:  global
        .offset:         88
        .size:           8
        .value_kind:     global_buffer
      - .actual_access:  read_only
        .address_space:  global
        .offset:         96
        .size:           8
        .value_kind:     global_buffer
      - .actual_access:  read_only
        .address_space:  global
        .offset:         104
        .size:           8
        .value_kind:     global_buffer
      - .actual_access:  read_only
        .address_space:  global
        .offset:         112
        .size:           8
        .value_kind:     global_buffer
      - .actual_access:  read_only
        .address_space:  global
        .offset:         120
        .size:           8
        .value_kind:     global_buffer
      - .actual_access:  write_only
        .address_space:  global
        .offset:         128
        .size:           8
        .value_kind:     global_buffer
      - .offset:         136
        .size:           4
        .value_kind:     by_value
      - .offset:         140
        .size:           4
        .value_kind:     by_value
      - .offset:         144
        .size:           4
        .value_kind:     by_value
      - .offset:         148
        .size:           4
        .value_kind:     by_value
      - .offset:         152
        .size:           1
        .value_kind:     by_value
      - .offset:         153
        .size:           1
        .value_kind:     by_value
      - .offset:         154
        .size:           1
        .value_kind:     by_value
    .group_segment_fixed_size: 0
    .kernarg_segment_align: 8
    .kernarg_segment_size: 156
    .language:       OpenCL C
    .language_version:
      - 2
      - 0
    .max_flat_workgroup_size: 1024
    .name:           _ZN9rocsparseL41csrgemm_numeric_fill_block_per_row_kernelILj1024ELj64ELj8192ELj137ELj32ElidEEvT5_PKS1_S3_NS_24const_host_device_scalarIT6_EEPKT4_S3_PKS5_S9_S3_SB_S6_S9_S3_SB_S9_S3_PS5_21rocsparse_index_base_SD_SD_SD_bbb
    .private_segment_fixed_size: 0
    .sgpr_count:     106
    .sgpr_spill_count: 11
    .symbol:         _ZN9rocsparseL41csrgemm_numeric_fill_block_per_row_kernelILj1024ELj64ELj8192ELj137ELj32ElidEEvT5_PKS1_S3_NS_24const_host_device_scalarIT6_EEPKT4_S3_PKS5_S9_S3_SB_S6_S9_S3_SB_S9_S3_PS5_21rocsparse_index_base_SD_SD_SD_bbb.kd
    .uniform_work_group_size: 1
    .uses_dynamic_stack: false
    .vgpr_count:     31
    .vgpr_spill_count: 0
    .wavefront_size: 64
  - .agpr_count:     0
    .args:
      - .offset:         0
        .size:           4
        .value_kind:     by_value
      - .actual_access:  read_only
        .address_space:  global
        .offset:         8
        .size:           8
        .value_kind:     global_buffer
      - .actual_access:  read_only
        .address_space:  global
        .offset:         16
        .size:           8
        .value_kind:     global_buffer
      - .offset:         24
        .size:           8
        .value_kind:     by_value
      - .actual_access:  read_only
        .address_space:  global
        .offset:         32
        .size:           8
        .value_kind:     global_buffer
      - .actual_access:  read_only
        .address_space:  global
        .offset:         40
        .size:           8
        .value_kind:     global_buffer
      - .actual_access:  read_only
        .address_space:  global
        .offset:         48
        .size:           8
        .value_kind:     global_buffer
      - .actual_access:  read_only
        .address_space:  global
        .offset:         56
        .size:           8
        .value_kind:     global_buffer
      - .actual_access:  read_only
        .address_space:  global
        .offset:         64
        .size:           8
        .value_kind:     global_buffer
      - .actual_access:  read_only
        .address_space:  global
        .offset:         72
        .size:           8
        .value_kind:     global_buffer
      - .offset:         80
        .size:           8
        .value_kind:     by_value
      - .actual_access:  read_only
        .address_space:  global
        .offset:         88
        .size:           8
        .value_kind:     global_buffer
      - .actual_access:  read_only
        .address_space:  global
        .offset:         96
        .size:           8
        .value_kind:     global_buffer
      - .actual_access:  read_only
        .address_space:  global
        .offset:         104
        .size:           8
        .value_kind:     global_buffer
      - .actual_access:  read_only
        .address_space:  global
        .offset:         112
        .size:           8
        .value_kind:     global_buffer
      - .actual_access:  read_only
        .address_space:  global
        .offset:         120
        .size:           8
        .value_kind:     global_buffer
      - .actual_access:  write_only
        .address_space:  global
        .offset:         128
        .size:           8
        .value_kind:     global_buffer
      - .offset:         136
        .size:           4
        .value_kind:     by_value
      - .offset:         140
        .size:           4
        .value_kind:     by_value
      - .offset:         144
        .size:           4
        .value_kind:     by_value
      - .offset:         148
        .size:           4
        .value_kind:     by_value
      - .offset:         152
        .size:           1
        .value_kind:     by_value
      - .offset:         153
        .size:           1
        .value_kind:     by_value
      - .offset:         154
        .size:           1
        .value_kind:     by_value
    .group_segment_fixed_size: 0
    .kernarg_segment_align: 8
    .kernarg_segment_size: 156
    .language:       OpenCL C
    .language_version:
      - 2
      - 0
    .max_flat_workgroup_size: 1024
    .name:           _ZN9rocsparseL41csrgemm_numeric_fill_block_per_row_kernelILj1024ELj64ELj8192ELj137ELj64ElidEEvT5_PKS1_S3_NS_24const_host_device_scalarIT6_EEPKT4_S3_PKS5_S9_S3_SB_S6_S9_S3_SB_S9_S3_PS5_21rocsparse_index_base_SD_SD_SD_bbb
    .private_segment_fixed_size: 0
    .sgpr_count:     67
    .sgpr_spill_count: 0
    .symbol:         _ZN9rocsparseL41csrgemm_numeric_fill_block_per_row_kernelILj1024ELj64ELj8192ELj137ELj64ElidEEvT5_PKS1_S3_NS_24const_host_device_scalarIT6_EEPKT4_S3_PKS5_S9_S3_SB_S6_S9_S3_SB_S9_S3_PS5_21rocsparse_index_base_SD_SD_SD_bbb.kd
    .uniform_work_group_size: 1
    .uses_dynamic_stack: false
    .vgpr_count:     30
    .vgpr_spill_count: 0
    .wavefront_size: 64
  - .agpr_count:     0
    .args:
      - .offset:         0
        .size:           4
        .value_kind:     by_value
      - .actual_access:  read_only
        .address_space:  global
        .offset:         8
        .size:           8
        .value_kind:     global_buffer
      - .actual_access:  read_only
        .address_space:  global
        .offset:         16
        .size:           8
        .value_kind:     global_buffer
      - .offset:         24
        .size:           8
        .value_kind:     by_value
      - .actual_access:  read_only
        .address_space:  global
        .offset:         32
        .size:           8
        .value_kind:     global_buffer
      - .actual_access:  read_only
        .address_space:  global
        .offset:         40
        .size:           8
        .value_kind:     global_buffer
      - .actual_access:  read_only
        .address_space:  global
        .offset:         48
        .size:           8
        .value_kind:     global_buffer
      - .actual_access:  read_only
        .address_space:  global
        .offset:         56
        .size:           8
        .value_kind:     global_buffer
      - .actual_access:  read_only
        .address_space:  global
        .offset:         64
        .size:           8
        .value_kind:     global_buffer
      - .actual_access:  read_only
        .address_space:  global
        .offset:         72
        .size:           8
        .value_kind:     global_buffer
      - .offset:         80
        .size:           8
        .value_kind:     by_value
      - .actual_access:  read_only
        .address_space:  global
        .offset:         88
        .size:           8
        .value_kind:     global_buffer
      - .actual_access:  read_only
        .address_space:  global
        .offset:         96
        .size:           8
        .value_kind:     global_buffer
      - .actual_access:  read_only
        .address_space:  global
        .offset:         104
        .size:           8
        .value_kind:     global_buffer
      - .actual_access:  read_only
        .address_space:  global
        .offset:         112
        .size:           8
        .value_kind:     global_buffer
      - .actual_access:  read_only
        .address_space:  global
        .offset:         120
        .size:           8
        .value_kind:     global_buffer
      - .actual_access:  write_only
        .address_space:  global
        .offset:         128
        .size:           8
        .value_kind:     global_buffer
      - .offset:         136
        .size:           4
        .value_kind:     by_value
      - .offset:         140
        .size:           4
        .value_kind:     by_value
      - .offset:         144
        .size:           4
        .value_kind:     by_value
      - .offset:         148
        .size:           4
        .value_kind:     by_value
      - .offset:         152
        .size:           1
        .value_kind:     by_value
      - .offset:         153
        .size:           1
        .value_kind:     by_value
      - .offset:         154
        .size:           1
        .value_kind:     by_value
    .group_segment_fixed_size: 0
    .kernarg_segment_align: 8
    .kernarg_segment_size: 156
    .language:       OpenCL C
    .language_version:
      - 2
      - 0
    .max_flat_workgroup_size: 1024
    .name:           _ZN9rocsparseL41csrgemm_numeric_fill_block_per_row_kernelILj1024ELj64ELj16384ELj137ELj32ElidEEvT5_PKS1_S3_NS_24const_host_device_scalarIT6_EEPKT4_S3_PKS5_S9_S3_SB_S6_S9_S3_SB_S9_S3_PS5_21rocsparse_index_base_SD_SD_SD_bbb
    .private_segment_fixed_size: 0
    .sgpr_count:     106
    .sgpr_spill_count: 21
    .symbol:         _ZN9rocsparseL41csrgemm_numeric_fill_block_per_row_kernelILj1024ELj64ELj16384ELj137ELj32ElidEEvT5_PKS1_S3_NS_24const_host_device_scalarIT6_EEPKT4_S3_PKS5_S9_S3_SB_S6_S9_S3_SB_S9_S3_PS5_21rocsparse_index_base_SD_SD_SD_bbb.kd
    .uniform_work_group_size: 1
    .uses_dynamic_stack: false
    .vgpr_count:     31
    .vgpr_spill_count: 0
    .wavefront_size: 64
  - .agpr_count:     0
    .args:
      - .offset:         0
        .size:           4
        .value_kind:     by_value
      - .actual_access:  read_only
        .address_space:  global
        .offset:         8
        .size:           8
        .value_kind:     global_buffer
      - .actual_access:  read_only
        .address_space:  global
        .offset:         16
        .size:           8
        .value_kind:     global_buffer
      - .offset:         24
        .size:           8
        .value_kind:     by_value
      - .actual_access:  read_only
        .address_space:  global
        .offset:         32
        .size:           8
        .value_kind:     global_buffer
      - .actual_access:  read_only
        .address_space:  global
        .offset:         40
        .size:           8
        .value_kind:     global_buffer
      - .actual_access:  read_only
        .address_space:  global
        .offset:         48
        .size:           8
        .value_kind:     global_buffer
      - .actual_access:  read_only
        .address_space:  global
        .offset:         56
        .size:           8
        .value_kind:     global_buffer
      - .actual_access:  read_only
        .address_space:  global
        .offset:         64
        .size:           8
        .value_kind:     global_buffer
      - .actual_access:  read_only
        .address_space:  global
        .offset:         72
        .size:           8
        .value_kind:     global_buffer
      - .offset:         80
        .size:           8
        .value_kind:     by_value
      - .actual_access:  read_only
        .address_space:  global
        .offset:         88
        .size:           8
        .value_kind:     global_buffer
      - .actual_access:  read_only
        .address_space:  global
        .offset:         96
        .size:           8
        .value_kind:     global_buffer
      - .actual_access:  read_only
        .address_space:  global
        .offset:         104
        .size:           8
        .value_kind:     global_buffer
      - .actual_access:  read_only
        .address_space:  global
        .offset:         112
        .size:           8
        .value_kind:     global_buffer
      - .actual_access:  read_only
        .address_space:  global
        .offset:         120
        .size:           8
        .value_kind:     global_buffer
      - .actual_access:  write_only
        .address_space:  global
        .offset:         128
        .size:           8
        .value_kind:     global_buffer
      - .offset:         136
        .size:           4
        .value_kind:     by_value
      - .offset:         140
        .size:           4
        .value_kind:     by_value
      - .offset:         144
        .size:           4
        .value_kind:     by_value
      - .offset:         148
        .size:           4
        .value_kind:     by_value
      - .offset:         152
        .size:           1
        .value_kind:     by_value
      - .offset:         153
        .size:           1
        .value_kind:     by_value
      - .offset:         154
        .size:           1
        .value_kind:     by_value
    .group_segment_fixed_size: 0
    .kernarg_segment_align: 8
    .kernarg_segment_size: 156
    .language:       OpenCL C
    .language_version:
      - 2
      - 0
    .max_flat_workgroup_size: 1024
    .name:           _ZN9rocsparseL41csrgemm_numeric_fill_block_per_row_kernelILj1024ELj64ELj16384ELj137ELj64ElidEEvT5_PKS1_S3_NS_24const_host_device_scalarIT6_EEPKT4_S3_PKS5_S9_S3_SB_S6_S9_S3_SB_S9_S3_PS5_21rocsparse_index_base_SD_SD_SD_bbb
    .private_segment_fixed_size: 0
    .sgpr_count:     67
    .sgpr_spill_count: 0
    .symbol:         _ZN9rocsparseL41csrgemm_numeric_fill_block_per_row_kernelILj1024ELj64ELj16384ELj137ELj64ElidEEvT5_PKS1_S3_NS_24const_host_device_scalarIT6_EEPKT4_S3_PKS5_S9_S3_SB_S6_S9_S3_SB_S9_S3_PS5_21rocsparse_index_base_SD_SD_SD_bbb.kd
    .uniform_work_group_size: 1
    .uses_dynamic_stack: false
    .vgpr_count:     30
    .vgpr_spill_count: 0
    .wavefront_size: 64
  - .agpr_count:     0
    .args:
      - .offset:         0
        .size:           4
        .value_kind:     by_value
      - .actual_access:  read_only
        .address_space:  global
        .offset:         8
        .size:           8
        .value_kind:     global_buffer
      - .actual_access:  read_only
        .address_space:  global
        .offset:         16
        .size:           8
        .value_kind:     global_buffer
      - .offset:         24
        .size:           8
        .value_kind:     by_value
      - .actual_access:  read_only
        .address_space:  global
        .offset:         32
        .size:           8
        .value_kind:     global_buffer
      - .actual_access:  read_only
        .address_space:  global
        .offset:         40
        .size:           8
        .value_kind:     global_buffer
      - .actual_access:  read_only
        .address_space:  global
        .offset:         48
        .size:           8
        .value_kind:     global_buffer
      - .actual_access:  read_only
        .address_space:  global
        .offset:         56
        .size:           8
        .value_kind:     global_buffer
      - .actual_access:  read_only
        .address_space:  global
        .offset:         64
        .size:           8
        .value_kind:     global_buffer
      - .actual_access:  read_only
        .address_space:  global
        .offset:         72
        .size:           8
        .value_kind:     global_buffer
      - .offset:         80
        .size:           8
        .value_kind:     by_value
      - .actual_access:  read_only
        .address_space:  global
        .offset:         88
        .size:           8
        .value_kind:     global_buffer
      - .actual_access:  read_only
        .address_space:  global
        .offset:         96
        .size:           8
        .value_kind:     global_buffer
      - .actual_access:  read_only
        .address_space:  global
        .offset:         104
        .size:           8
        .value_kind:     global_buffer
      - .actual_access:  read_only
        .address_space:  global
        .offset:         112
        .size:           8
        .value_kind:     global_buffer
      - .actual_access:  read_only
        .address_space:  global
        .offset:         120
        .size:           8
        .value_kind:     global_buffer
      - .actual_access:  write_only
        .address_space:  global
        .offset:         128
        .size:           8
        .value_kind:     global_buffer
      - .offset:         136
        .size:           4
        .value_kind:     by_value
      - .offset:         140
        .size:           4
        .value_kind:     by_value
      - .offset:         144
        .size:           4
        .value_kind:     by_value
      - .offset:         148
        .size:           4
        .value_kind:     by_value
      - .offset:         152
        .size:           1
        .value_kind:     by_value
      - .offset:         153
        .size:           1
        .value_kind:     by_value
      - .offset:         154
        .size:           1
        .value_kind:     by_value
    .group_segment_fixed_size: 0
    .kernarg_segment_align: 8
    .kernarg_segment_size: 156
    .language:       OpenCL C
    .language_version:
      - 2
      - 0
    .max_flat_workgroup_size: 1024
    .name:           _ZN9rocsparseL41csrgemm_numeric_fill_block_per_row_kernelILj1024ELj64ELj32768ELj137ELj32ElidEEvT5_PKS1_S3_NS_24const_host_device_scalarIT6_EEPKT4_S3_PKS5_S9_S3_SB_S6_S9_S3_SB_S9_S3_PS5_21rocsparse_index_base_SD_SD_SD_bbb
    .private_segment_fixed_size: 0
    .sgpr_count:     106
    .sgpr_spill_count: 21
    .symbol:         _ZN9rocsparseL41csrgemm_numeric_fill_block_per_row_kernelILj1024ELj64ELj32768ELj137ELj32ElidEEvT5_PKS1_S3_NS_24const_host_device_scalarIT6_EEPKT4_S3_PKS5_S9_S3_SB_S6_S9_S3_SB_S9_S3_PS5_21rocsparse_index_base_SD_SD_SD_bbb.kd
    .uniform_work_group_size: 1
    .uses_dynamic_stack: false
    .vgpr_count:     31
    .vgpr_spill_count: 0
    .wavefront_size: 64
  - .agpr_count:     0
    .args:
      - .offset:         0
        .size:           4
        .value_kind:     by_value
      - .actual_access:  read_only
        .address_space:  global
        .offset:         8
        .size:           8
        .value_kind:     global_buffer
      - .actual_access:  read_only
        .address_space:  global
        .offset:         16
        .size:           8
        .value_kind:     global_buffer
      - .offset:         24
        .size:           8
        .value_kind:     by_value
      - .actual_access:  read_only
        .address_space:  global
        .offset:         32
        .size:           8
        .value_kind:     global_buffer
      - .actual_access:  read_only
        .address_space:  global
        .offset:         40
        .size:           8
        .value_kind:     global_buffer
      - .actual_access:  read_only
        .address_space:  global
        .offset:         48
        .size:           8
        .value_kind:     global_buffer
      - .actual_access:  read_only
        .address_space:  global
        .offset:         56
        .size:           8
        .value_kind:     global_buffer
      - .actual_access:  read_only
        .address_space:  global
        .offset:         64
        .size:           8
        .value_kind:     global_buffer
      - .actual_access:  read_only
        .address_space:  global
        .offset:         72
        .size:           8
        .value_kind:     global_buffer
      - .offset:         80
        .size:           8
        .value_kind:     by_value
      - .actual_access:  read_only
        .address_space:  global
        .offset:         88
        .size:           8
        .value_kind:     global_buffer
      - .actual_access:  read_only
        .address_space:  global
        .offset:         96
        .size:           8
        .value_kind:     global_buffer
      - .actual_access:  read_only
        .address_space:  global
        .offset:         104
        .size:           8
        .value_kind:     global_buffer
      - .actual_access:  read_only
        .address_space:  global
        .offset:         112
        .size:           8
        .value_kind:     global_buffer
      - .actual_access:  read_only
        .address_space:  global
        .offset:         120
        .size:           8
        .value_kind:     global_buffer
      - .actual_access:  write_only
        .address_space:  global
        .offset:         128
        .size:           8
        .value_kind:     global_buffer
      - .offset:         136
        .size:           4
        .value_kind:     by_value
      - .offset:         140
        .size:           4
        .value_kind:     by_value
      - .offset:         144
        .size:           4
        .value_kind:     by_value
      - .offset:         148
        .size:           4
        .value_kind:     by_value
      - .offset:         152
        .size:           1
        .value_kind:     by_value
      - .offset:         153
        .size:           1
        .value_kind:     by_value
      - .offset:         154
        .size:           1
        .value_kind:     by_value
    .group_segment_fixed_size: 0
    .kernarg_segment_align: 8
    .kernarg_segment_size: 156
    .language:       OpenCL C
    .language_version:
      - 2
      - 0
    .max_flat_workgroup_size: 1024
    .name:           _ZN9rocsparseL41csrgemm_numeric_fill_block_per_row_kernelILj1024ELj64ELj32768ELj137ELj64ElidEEvT5_PKS1_S3_NS_24const_host_device_scalarIT6_EEPKT4_S3_PKS5_S9_S3_SB_S6_S9_S3_SB_S9_S3_PS5_21rocsparse_index_base_SD_SD_SD_bbb
    .private_segment_fixed_size: 0
    .sgpr_count:     67
    .sgpr_spill_count: 0
    .symbol:         _ZN9rocsparseL41csrgemm_numeric_fill_block_per_row_kernelILj1024ELj64ELj32768ELj137ELj64ElidEEvT5_PKS1_S3_NS_24const_host_device_scalarIT6_EEPKT4_S3_PKS5_S9_S3_SB_S6_S9_S3_SB_S9_S3_PS5_21rocsparse_index_base_SD_SD_SD_bbb.kd
    .uniform_work_group_size: 1
    .uses_dynamic_stack: false
    .vgpr_count:     30
    .vgpr_spill_count: 0
    .wavefront_size: 64
  - .agpr_count:     0
    .args:
      - .offset:         0
        .size:           4
        .value_kind:     by_value
      - .actual_access:  read_only
        .address_space:  global
        .offset:         8
        .size:           8
        .value_kind:     global_buffer
      - .actual_access:  read_only
        .address_space:  global
        .offset:         16
        .size:           8
        .value_kind:     global_buffer
      - .offset:         24
        .size:           8
        .value_kind:     by_value
      - .actual_access:  read_only
        .address_space:  global
        .offset:         32
        .size:           8
        .value_kind:     global_buffer
      - .actual_access:  read_only
        .address_space:  global
        .offset:         40
        .size:           8
        .value_kind:     global_buffer
      - .actual_access:  read_only
        .address_space:  global
        .offset:         48
        .size:           8
        .value_kind:     global_buffer
      - .actual_access:  read_only
        .address_space:  global
        .offset:         56
        .size:           8
        .value_kind:     global_buffer
      - .actual_access:  read_only
        .address_space:  global
        .offset:         64
        .size:           8
        .value_kind:     global_buffer
      - .actual_access:  read_only
        .address_space:  global
        .offset:         72
        .size:           8
        .value_kind:     global_buffer
      - .offset:         80
        .size:           8
        .value_kind:     by_value
      - .actual_access:  read_only
        .address_space:  global
        .offset:         88
        .size:           8
        .value_kind:     global_buffer
      - .actual_access:  read_only
        .address_space:  global
        .offset:         96
        .size:           8
        .value_kind:     global_buffer
      - .actual_access:  read_only
        .address_space:  global
        .offset:         104
        .size:           8
        .value_kind:     global_buffer
      - .actual_access:  read_only
        .address_space:  global
        .offset:         112
        .size:           8
        .value_kind:     global_buffer
      - .actual_access:  read_only
        .address_space:  global
        .offset:         120
        .size:           8
        .value_kind:     global_buffer
      - .actual_access:  write_only
        .address_space:  global
        .offset:         128
        .size:           8
        .value_kind:     global_buffer
      - .address_space:  global
        .offset:         136
        .size:           8
        .value_kind:     global_buffer
      - .offset:         144
        .size:           4
        .value_kind:     by_value
      - .offset:         148
        .size:           4
        .value_kind:     by_value
      - .offset:         152
        .size:           4
        .value_kind:     by_value
      - .offset:         156
        .size:           4
        .value_kind:     by_value
      - .offset:         160
        .size:           1
        .value_kind:     by_value
      - .offset:         161
        .size:           1
        .value_kind:     by_value
      - .offset:         162
        .size:           1
        .value_kind:     by_value
    .group_segment_fixed_size: 18440
    .kernarg_segment_align: 8
    .kernarg_segment_size: 164
    .language:       OpenCL C
    .language_version:
      - 2
      - 0
    .max_flat_workgroup_size: 512
    .name:           _ZN9rocsparseL51csrgemm_numeric_fill_block_per_row_multipass_kernelILj512ELj16ELj2048ELj32ElidEEvT4_PKS1_S3_NS_24const_host_device_scalarIT5_EEPKT3_S3_PKS5_S9_S3_SB_S6_S9_S3_SB_S9_S3_PS5_PS7_21rocsparse_index_base_SE_SE_SE_bbb
    .private_segment_fixed_size: 0
    .sgpr_count:     104
    .sgpr_spill_count: 0
    .symbol:         _ZN9rocsparseL51csrgemm_numeric_fill_block_per_row_multipass_kernelILj512ELj16ELj2048ELj32ElidEEvT4_PKS1_S3_NS_24const_host_device_scalarIT5_EEPKT3_S3_PKS5_S9_S3_SB_S6_S9_S3_SB_S9_S3_PS5_PS7_21rocsparse_index_base_SE_SE_SE_bbb.kd
    .uniform_work_group_size: 1
    .uses_dynamic_stack: false
    .vgpr_count:     44
    .vgpr_spill_count: 0
    .wavefront_size: 64
  - .agpr_count:     0
    .args:
      - .offset:         0
        .size:           4
        .value_kind:     by_value
      - .actual_access:  read_only
        .address_space:  global
        .offset:         8
        .size:           8
        .value_kind:     global_buffer
      - .actual_access:  read_only
        .address_space:  global
        .offset:         16
        .size:           8
        .value_kind:     global_buffer
      - .offset:         24
        .size:           8
        .value_kind:     by_value
      - .actual_access:  read_only
        .address_space:  global
        .offset:         32
        .size:           8
        .value_kind:     global_buffer
      - .actual_access:  read_only
        .address_space:  global
        .offset:         40
        .size:           8
        .value_kind:     global_buffer
      - .actual_access:  read_only
        .address_space:  global
        .offset:         48
        .size:           8
        .value_kind:     global_buffer
      - .actual_access:  read_only
        .address_space:  global
        .offset:         56
        .size:           8
        .value_kind:     global_buffer
      - .actual_access:  read_only
        .address_space:  global
        .offset:         64
        .size:           8
        .value_kind:     global_buffer
      - .actual_access:  read_only
        .address_space:  global
        .offset:         72
        .size:           8
        .value_kind:     global_buffer
      - .offset:         80
        .size:           8
        .value_kind:     by_value
      - .actual_access:  read_only
        .address_space:  global
        .offset:         88
        .size:           8
        .value_kind:     global_buffer
      - .actual_access:  read_only
        .address_space:  global
        .offset:         96
        .size:           8
        .value_kind:     global_buffer
      - .actual_access:  read_only
        .address_space:  global
        .offset:         104
        .size:           8
        .value_kind:     global_buffer
      - .actual_access:  read_only
        .address_space:  global
        .offset:         112
        .size:           8
        .value_kind:     global_buffer
      - .actual_access:  read_only
        .address_space:  global
        .offset:         120
        .size:           8
        .value_kind:     global_buffer
      - .actual_access:  write_only
        .address_space:  global
        .offset:         128
        .size:           8
        .value_kind:     global_buffer
      - .address_space:  global
        .offset:         136
        .size:           8
        .value_kind:     global_buffer
      - .offset:         144
        .size:           4
        .value_kind:     by_value
      - .offset:         148
        .size:           4
        .value_kind:     by_value
      - .offset:         152
        .size:           4
        .value_kind:     by_value
      - .offset:         156
        .size:           4
        .value_kind:     by_value
      - .offset:         160
        .size:           1
        .value_kind:     by_value
      - .offset:         161
        .size:           1
        .value_kind:     by_value
      - .offset:         162
        .size:           1
        .value_kind:     by_value
    .group_segment_fixed_size: 18440
    .kernarg_segment_align: 8
    .kernarg_segment_size: 164
    .language:       OpenCL C
    .language_version:
      - 2
      - 0
    .max_flat_workgroup_size: 512
    .name:           _ZN9rocsparseL51csrgemm_numeric_fill_block_per_row_multipass_kernelILj512ELj16ELj2048ELj64ElidEEvT4_PKS1_S3_NS_24const_host_device_scalarIT5_EEPKT3_S3_PKS5_S9_S3_SB_S6_S9_S3_SB_S9_S3_PS5_PS7_21rocsparse_index_base_SE_SE_SE_bbb
    .private_segment_fixed_size: 0
    .sgpr_count:     88
    .sgpr_spill_count: 0
    .symbol:         _ZN9rocsparseL51csrgemm_numeric_fill_block_per_row_multipass_kernelILj512ELj16ELj2048ELj64ElidEEvT4_PKS1_S3_NS_24const_host_device_scalarIT5_EEPKT3_S3_PKS5_S9_S3_SB_S6_S9_S3_SB_S9_S3_PS5_PS7_21rocsparse_index_base_SE_SE_SE_bbb.kd
    .uniform_work_group_size: 1
    .uses_dynamic_stack: false
    .vgpr_count:     44
    .vgpr_spill_count: 0
    .wavefront_size: 64
  - .agpr_count:     0
    .args:
      - .offset:         0
        .size:           4
        .value_kind:     by_value
      - .offset:         4
        .size:           4
        .value_kind:     by_value
      - .actual_access:  read_only
        .address_space:  global
        .offset:         8
        .size:           8
        .value_kind:     global_buffer
      - .actual_access:  read_only
        .address_space:  global
        .offset:         16
        .size:           8
        .value_kind:     global_buffer
      - .offset:         24
        .size:           8
        .value_kind:     by_value
      - .actual_access:  read_only
        .address_space:  global
        .offset:         32
        .size:           8
        .value_kind:     global_buffer
      - .actual_access:  read_only
        .address_space:  global
        .offset:         40
        .size:           8
        .value_kind:     global_buffer
      - .actual_access:  read_only
        .address_space:  global
        .offset:         48
        .size:           8
        .value_kind:     global_buffer
      - .actual_access:  read_only
        .address_space:  global
        .offset:         56
        .size:           8
        .value_kind:     global_buffer
      - .actual_access:  read_only
        .address_space:  global
        .offset:         64
        .size:           8
        .value_kind:     global_buffer
      - .actual_access:  read_only
        .address_space:  global
        .offset:         72
        .size:           8
        .value_kind:     global_buffer
      - .offset:         80
        .size:           8
        .value_kind:     by_value
      - .actual_access:  read_only
        .address_space:  global
        .offset:         88
        .size:           8
        .value_kind:     global_buffer
      - .actual_access:  read_only
        .address_space:  global
        .offset:         96
        .size:           8
        .value_kind:     global_buffer
      - .actual_access:  read_only
        .address_space:  global
        .offset:         104
        .size:           8
        .value_kind:     global_buffer
      - .actual_access:  read_only
        .address_space:  global
        .offset:         112
        .size:           8
        .value_kind:     global_buffer
      - .actual_access:  read_only
        .address_space:  global
        .offset:         120
        .size:           8
        .value_kind:     global_buffer
      - .actual_access:  write_only
        .address_space:  global
        .offset:         128
        .size:           8
        .value_kind:     global_buffer
      - .offset:         136
        .size:           4
        .value_kind:     by_value
      - .offset:         140
        .size:           4
        .value_kind:     by_value
      - .offset:         144
        .size:           4
        .value_kind:     by_value
      - .offset:         148
        .size:           4
        .value_kind:     by_value
      - .offset:         152
        .size:           1
        .value_kind:     by_value
      - .offset:         153
        .size:           1
        .value_kind:     by_value
      - .offset:         154
        .size:           1
        .value_kind:     by_value
    .group_segment_fixed_size: 6144
    .kernarg_segment_align: 8
    .kernarg_segment_size: 156
    .language:       OpenCL C
    .language_version:
      - 2
      - 0
    .max_flat_workgroup_size: 256
    .name:           _ZN9rocsparseL38csrgemm_numeric_fill_wf_per_row_kernelILj256ELj8ELj16ELj137Eli21rocsparse_complex_numIfEEEvT4_S3_PKS3_S5_NS_24const_host_device_scalarIT5_EEPKT3_S5_PKS7_SB_S5_SD_S8_SB_S5_SD_SB_S5_PS7_21rocsparse_index_base_SF_SF_SF_bbb
    .private_segment_fixed_size: 0
    .sgpr_count:     57
    .sgpr_spill_count: 0
    .symbol:         _ZN9rocsparseL38csrgemm_numeric_fill_wf_per_row_kernelILj256ELj8ELj16ELj137Eli21rocsparse_complex_numIfEEEvT4_S3_PKS3_S5_NS_24const_host_device_scalarIT5_EEPKT3_S5_PKS7_SB_S5_SD_S8_SB_S5_SD_SB_S5_PS7_21rocsparse_index_base_SF_SF_SF_bbb.kd
    .uniform_work_group_size: 1
    .uses_dynamic_stack: false
    .vgpr_count:     28
    .vgpr_spill_count: 0
    .wavefront_size: 64
  - .agpr_count:     0
    .args:
      - .offset:         0
        .size:           4
        .value_kind:     by_value
      - .offset:         4
        .size:           4
        .value_kind:     by_value
      - .actual_access:  read_only
        .address_space:  global
        .offset:         8
        .size:           8
        .value_kind:     global_buffer
      - .actual_access:  read_only
        .address_space:  global
        .offset:         16
        .size:           8
        .value_kind:     global_buffer
      - .offset:         24
        .size:           8
        .value_kind:     by_value
      - .actual_access:  read_only
        .address_space:  global
        .offset:         32
        .size:           8
        .value_kind:     global_buffer
      - .actual_access:  read_only
        .address_space:  global
        .offset:         40
        .size:           8
        .value_kind:     global_buffer
      - .actual_access:  read_only
        .address_space:  global
        .offset:         48
        .size:           8
        .value_kind:     global_buffer
      - .actual_access:  read_only
        .address_space:  global
        .offset:         56
        .size:           8
        .value_kind:     global_buffer
      - .actual_access:  read_only
        .address_space:  global
        .offset:         64
        .size:           8
        .value_kind:     global_buffer
      - .actual_access:  read_only
        .address_space:  global
        .offset:         72
        .size:           8
        .value_kind:     global_buffer
      - .offset:         80
        .size:           8
        .value_kind:     by_value
      - .actual_access:  read_only
        .address_space:  global
        .offset:         88
        .size:           8
        .value_kind:     global_buffer
      - .actual_access:  read_only
        .address_space:  global
        .offset:         96
        .size:           8
        .value_kind:     global_buffer
      - .actual_access:  read_only
        .address_space:  global
        .offset:         104
        .size:           8
        .value_kind:     global_buffer
      - .actual_access:  read_only
        .address_space:  global
        .offset:         112
        .size:           8
        .value_kind:     global_buffer
      - .actual_access:  read_only
        .address_space:  global
        .offset:         120
        .size:           8
        .value_kind:     global_buffer
      - .actual_access:  write_only
        .address_space:  global
        .offset:         128
        .size:           8
        .value_kind:     global_buffer
      - .offset:         136
        .size:           4
        .value_kind:     by_value
      - .offset:         140
        .size:           4
        .value_kind:     by_value
      - .offset:         144
        .size:           4
        .value_kind:     by_value
      - .offset:         148
        .size:           4
        .value_kind:     by_value
      - .offset:         152
        .size:           1
        .value_kind:     by_value
      - .offset:         153
        .size:           1
        .value_kind:     by_value
      - .offset:         154
        .size:           1
        .value_kind:     by_value
    .group_segment_fixed_size: 6144
    .kernarg_segment_align: 8
    .kernarg_segment_size: 156
    .language:       OpenCL C
    .language_version:
      - 2
      - 0
    .max_flat_workgroup_size: 256
    .name:           _ZN9rocsparseL38csrgemm_numeric_fill_wf_per_row_kernelILj256ELj16ELj32ELj137Eli21rocsparse_complex_numIfEEEvT4_S3_PKS3_S5_NS_24const_host_device_scalarIT5_EEPKT3_S5_PKS7_SB_S5_SD_S8_SB_S5_SD_SB_S5_PS7_21rocsparse_index_base_SF_SF_SF_bbb
    .private_segment_fixed_size: 0
    .sgpr_count:     57
    .sgpr_spill_count: 0
    .symbol:         _ZN9rocsparseL38csrgemm_numeric_fill_wf_per_row_kernelILj256ELj16ELj32ELj137Eli21rocsparse_complex_numIfEEEvT4_S3_PKS3_S5_NS_24const_host_device_scalarIT5_EEPKT3_S5_PKS7_SB_S5_SD_S8_SB_S5_SD_SB_S5_PS7_21rocsparse_index_base_SF_SF_SF_bbb.kd
    .uniform_work_group_size: 1
    .uses_dynamic_stack: false
    .vgpr_count:     44
    .vgpr_spill_count: 0
    .wavefront_size: 64
  - .agpr_count:     0
    .args:
      - .offset:         0
        .size:           4
        .value_kind:     by_value
      - .actual_access:  read_only
        .address_space:  global
        .offset:         8
        .size:           8
        .value_kind:     global_buffer
      - .actual_access:  read_only
        .address_space:  global
        .offset:         16
        .size:           8
        .value_kind:     global_buffer
      - .offset:         24
        .size:           8
        .value_kind:     by_value
      - .actual_access:  read_only
        .address_space:  global
        .offset:         32
        .size:           8
        .value_kind:     global_buffer
      - .actual_access:  read_only
        .address_space:  global
        .offset:         40
        .size:           8
        .value_kind:     global_buffer
      - .actual_access:  read_only
        .address_space:  global
        .offset:         48
        .size:           8
        .value_kind:     global_buffer
      - .actual_access:  read_only
        .address_space:  global
        .offset:         56
        .size:           8
        .value_kind:     global_buffer
      - .actual_access:  read_only
        .address_space:  global
        .offset:         64
        .size:           8
        .value_kind:     global_buffer
      - .actual_access:  read_only
        .address_space:  global
        .offset:         72
        .size:           8
        .value_kind:     global_buffer
      - .offset:         80
        .size:           8
        .value_kind:     by_value
      - .actual_access:  read_only
        .address_space:  global
        .offset:         88
        .size:           8
        .value_kind:     global_buffer
      - .actual_access:  read_only
        .address_space:  global
        .offset:         96
        .size:           8
        .value_kind:     global_buffer
      - .actual_access:  read_only
        .address_space:  global
        .offset:         104
        .size:           8
        .value_kind:     global_buffer
      - .actual_access:  read_only
        .address_space:  global
        .offset:         112
        .size:           8
        .value_kind:     global_buffer
      - .actual_access:  read_only
        .address_space:  global
        .offset:         120
        .size:           8
        .value_kind:     global_buffer
      - .actual_access:  write_only
        .address_space:  global
        .offset:         128
        .size:           8
        .value_kind:     global_buffer
      - .offset:         136
        .size:           4
        .value_kind:     by_value
      - .offset:         140
        .size:           4
        .value_kind:     by_value
      - .offset:         144
        .size:           4
        .value_kind:     by_value
      - .offset:         148
        .size:           4
        .value_kind:     by_value
      - .offset:         152
        .size:           1
        .value_kind:     by_value
      - .offset:         153
        .size:           1
        .value_kind:     by_value
      - .offset:         154
        .size:           1
        .value_kind:     by_value
    .group_segment_fixed_size: 0
    .kernarg_segment_align: 8
    .kernarg_segment_size: 156
    .language:       OpenCL C
    .language_version:
      - 2
      - 0
    .max_flat_workgroup_size: 128
    .name:           _ZN9rocsparseL41csrgemm_numeric_fill_block_per_row_kernelILj128ELj16ELj256ELj137ELj32Eli21rocsparse_complex_numIfEEEvT5_PKS3_S5_NS_24const_host_device_scalarIT6_EEPKT4_S5_PKS7_SB_S5_SD_S8_SB_S5_SD_SB_S5_PS7_21rocsparse_index_base_SF_SF_SF_bbb
    .private_segment_fixed_size: 0
    .sgpr_count:     63
    .sgpr_spill_count: 0
    .symbol:         _ZN9rocsparseL41csrgemm_numeric_fill_block_per_row_kernelILj128ELj16ELj256ELj137ELj32Eli21rocsparse_complex_numIfEEEvT5_PKS3_S5_NS_24const_host_device_scalarIT6_EEPKT4_S5_PKS7_SB_S5_SD_S8_SB_S5_SD_SB_S5_PS7_21rocsparse_index_base_SF_SF_SF_bbb.kd
    .uniform_work_group_size: 1
    .uses_dynamic_stack: false
    .vgpr_count:     30
    .vgpr_spill_count: 0
    .wavefront_size: 64
  - .agpr_count:     0
    .args:
      - .offset:         0
        .size:           4
        .value_kind:     by_value
      - .actual_access:  read_only
        .address_space:  global
        .offset:         8
        .size:           8
        .value_kind:     global_buffer
      - .actual_access:  read_only
        .address_space:  global
        .offset:         16
        .size:           8
        .value_kind:     global_buffer
      - .offset:         24
        .size:           8
        .value_kind:     by_value
      - .actual_access:  read_only
        .address_space:  global
        .offset:         32
        .size:           8
        .value_kind:     global_buffer
      - .actual_access:  read_only
        .address_space:  global
        .offset:         40
        .size:           8
        .value_kind:     global_buffer
      - .actual_access:  read_only
        .address_space:  global
        .offset:         48
        .size:           8
        .value_kind:     global_buffer
      - .actual_access:  read_only
        .address_space:  global
        .offset:         56
        .size:           8
        .value_kind:     global_buffer
      - .actual_access:  read_only
        .address_space:  global
        .offset:         64
        .size:           8
        .value_kind:     global_buffer
      - .actual_access:  read_only
        .address_space:  global
        .offset:         72
        .size:           8
        .value_kind:     global_buffer
      - .offset:         80
        .size:           8
        .value_kind:     by_value
      - .actual_access:  read_only
        .address_space:  global
        .offset:         88
        .size:           8
        .value_kind:     global_buffer
      - .actual_access:  read_only
        .address_space:  global
        .offset:         96
        .size:           8
        .value_kind:     global_buffer
      - .actual_access:  read_only
        .address_space:  global
        .offset:         104
        .size:           8
        .value_kind:     global_buffer
      - .actual_access:  read_only
        .address_space:  global
        .offset:         112
        .size:           8
        .value_kind:     global_buffer
      - .actual_access:  read_only
        .address_space:  global
        .offset:         120
        .size:           8
        .value_kind:     global_buffer
      - .actual_access:  write_only
        .address_space:  global
        .offset:         128
        .size:           8
        .value_kind:     global_buffer
      - .offset:         136
        .size:           4
        .value_kind:     by_value
      - .offset:         140
        .size:           4
        .value_kind:     by_value
      - .offset:         144
        .size:           4
        .value_kind:     by_value
      - .offset:         148
        .size:           4
        .value_kind:     by_value
      - .offset:         152
        .size:           1
        .value_kind:     by_value
      - .offset:         153
        .size:           1
        .value_kind:     by_value
      - .offset:         154
        .size:           1
        .value_kind:     by_value
    .group_segment_fixed_size: 0
    .kernarg_segment_align: 8
    .kernarg_segment_size: 156
    .language:       OpenCL C
    .language_version:
      - 2
      - 0
    .max_flat_workgroup_size: 128
    .name:           _ZN9rocsparseL41csrgemm_numeric_fill_block_per_row_kernelILj128ELj16ELj256ELj137ELj64Eli21rocsparse_complex_numIfEEEvT5_PKS3_S5_NS_24const_host_device_scalarIT6_EEPKT4_S5_PKS7_SB_S5_SD_S8_SB_S5_SD_SB_S5_PS7_21rocsparse_index_base_SF_SF_SF_bbb
    .private_segment_fixed_size: 0
    .sgpr_count:     63
    .sgpr_spill_count: 0
    .symbol:         _ZN9rocsparseL41csrgemm_numeric_fill_block_per_row_kernelILj128ELj16ELj256ELj137ELj64Eli21rocsparse_complex_numIfEEEvT5_PKS3_S5_NS_24const_host_device_scalarIT6_EEPKT4_S5_PKS7_SB_S5_SD_S8_SB_S5_SD_SB_S5_PS7_21rocsparse_index_base_SF_SF_SF_bbb.kd
    .uniform_work_group_size: 1
    .uses_dynamic_stack: false
    .vgpr_count:     30
    .vgpr_spill_count: 0
    .wavefront_size: 64
  - .agpr_count:     0
    .args:
      - .offset:         0
        .size:           4
        .value_kind:     by_value
      - .actual_access:  read_only
        .address_space:  global
        .offset:         8
        .size:           8
        .value_kind:     global_buffer
      - .actual_access:  read_only
        .address_space:  global
        .offset:         16
        .size:           8
        .value_kind:     global_buffer
      - .offset:         24
        .size:           8
        .value_kind:     by_value
      - .actual_access:  read_only
        .address_space:  global
        .offset:         32
        .size:           8
        .value_kind:     global_buffer
      - .actual_access:  read_only
        .address_space:  global
        .offset:         40
        .size:           8
        .value_kind:     global_buffer
      - .actual_access:  read_only
        .address_space:  global
        .offset:         48
        .size:           8
        .value_kind:     global_buffer
      - .actual_access:  read_only
        .address_space:  global
        .offset:         56
        .size:           8
        .value_kind:     global_buffer
      - .actual_access:  read_only
        .address_space:  global
        .offset:         64
        .size:           8
        .value_kind:     global_buffer
      - .actual_access:  read_only
        .address_space:  global
        .offset:         72
        .size:           8
        .value_kind:     global_buffer
      - .offset:         80
        .size:           8
        .value_kind:     by_value
      - .actual_access:  read_only
        .address_space:  global
        .offset:         88
        .size:           8
        .value_kind:     global_buffer
      - .actual_access:  read_only
        .address_space:  global
        .offset:         96
        .size:           8
        .value_kind:     global_buffer
      - .actual_access:  read_only
        .address_space:  global
        .offset:         104
        .size:           8
        .value_kind:     global_buffer
      - .actual_access:  read_only
        .address_space:  global
        .offset:         112
        .size:           8
        .value_kind:     global_buffer
      - .actual_access:  read_only
        .address_space:  global
        .offset:         120
        .size:           8
        .value_kind:     global_buffer
      - .actual_access:  write_only
        .address_space:  global
        .offset:         128
        .size:           8
        .value_kind:     global_buffer
      - .offset:         136
        .size:           4
        .value_kind:     by_value
      - .offset:         140
        .size:           4
        .value_kind:     by_value
      - .offset:         144
        .size:           4
        .value_kind:     by_value
      - .offset:         148
        .size:           4
        .value_kind:     by_value
      - .offset:         152
        .size:           1
        .value_kind:     by_value
      - .offset:         153
        .size:           1
        .value_kind:     by_value
      - .offset:         154
        .size:           1
        .value_kind:     by_value
    .group_segment_fixed_size: 0
    .kernarg_segment_align: 8
    .kernarg_segment_size: 156
    .language:       OpenCL C
    .language_version:
      - 2
      - 0
    .max_flat_workgroup_size: 256
    .name:           _ZN9rocsparseL41csrgemm_numeric_fill_block_per_row_kernelILj256ELj32ELj512ELj137ELj32Eli21rocsparse_complex_numIfEEEvT5_PKS3_S5_NS_24const_host_device_scalarIT6_EEPKT4_S5_PKS7_SB_S5_SD_S8_SB_S5_SD_SB_S5_PS7_21rocsparse_index_base_SF_SF_SF_bbb
    .private_segment_fixed_size: 0
    .sgpr_count:     63
    .sgpr_spill_count: 0
    .symbol:         _ZN9rocsparseL41csrgemm_numeric_fill_block_per_row_kernelILj256ELj32ELj512ELj137ELj32Eli21rocsparse_complex_numIfEEEvT5_PKS3_S5_NS_24const_host_device_scalarIT6_EEPKT4_S5_PKS7_SB_S5_SD_S8_SB_S5_SD_SB_S5_PS7_21rocsparse_index_base_SF_SF_SF_bbb.kd
    .uniform_work_group_size: 1
    .uses_dynamic_stack: false
    .vgpr_count:     30
    .vgpr_spill_count: 0
    .wavefront_size: 64
  - .agpr_count:     0
    .args:
      - .offset:         0
        .size:           4
        .value_kind:     by_value
      - .actual_access:  read_only
        .address_space:  global
        .offset:         8
        .size:           8
        .value_kind:     global_buffer
      - .actual_access:  read_only
        .address_space:  global
        .offset:         16
        .size:           8
        .value_kind:     global_buffer
      - .offset:         24
        .size:           8
        .value_kind:     by_value
      - .actual_access:  read_only
        .address_space:  global
        .offset:         32
        .size:           8
        .value_kind:     global_buffer
      - .actual_access:  read_only
        .address_space:  global
        .offset:         40
        .size:           8
        .value_kind:     global_buffer
      - .actual_access:  read_only
        .address_space:  global
        .offset:         48
        .size:           8
        .value_kind:     global_buffer
      - .actual_access:  read_only
        .address_space:  global
        .offset:         56
        .size:           8
        .value_kind:     global_buffer
      - .actual_access:  read_only
        .address_space:  global
        .offset:         64
        .size:           8
        .value_kind:     global_buffer
      - .actual_access:  read_only
        .address_space:  global
        .offset:         72
        .size:           8
        .value_kind:     global_buffer
      - .offset:         80
        .size:           8
        .value_kind:     by_value
      - .actual_access:  read_only
        .address_space:  global
        .offset:         88
        .size:           8
        .value_kind:     global_buffer
      - .actual_access:  read_only
        .address_space:  global
        .offset:         96
        .size:           8
        .value_kind:     global_buffer
      - .actual_access:  read_only
        .address_space:  global
        .offset:         104
        .size:           8
        .value_kind:     global_buffer
      - .actual_access:  read_only
        .address_space:  global
        .offset:         112
        .size:           8
        .value_kind:     global_buffer
      - .actual_access:  read_only
        .address_space:  global
        .offset:         120
        .size:           8
        .value_kind:     global_buffer
      - .actual_access:  write_only
        .address_space:  global
        .offset:         128
        .size:           8
        .value_kind:     global_buffer
      - .offset:         136
        .size:           4
        .value_kind:     by_value
      - .offset:         140
        .size:           4
        .value_kind:     by_value
      - .offset:         144
        .size:           4
        .value_kind:     by_value
      - .offset:         148
        .size:           4
        .value_kind:     by_value
      - .offset:         152
        .size:           1
        .value_kind:     by_value
      - .offset:         153
        .size:           1
        .value_kind:     by_value
      - .offset:         154
        .size:           1
        .value_kind:     by_value
    .group_segment_fixed_size: 0
    .kernarg_segment_align: 8
    .kernarg_segment_size: 156
    .language:       OpenCL C
    .language_version:
      - 2
      - 0
    .max_flat_workgroup_size: 256
    .name:           _ZN9rocsparseL41csrgemm_numeric_fill_block_per_row_kernelILj256ELj32ELj512ELj137ELj64Eli21rocsparse_complex_numIfEEEvT5_PKS3_S5_NS_24const_host_device_scalarIT6_EEPKT4_S5_PKS7_SB_S5_SD_S8_SB_S5_SD_SB_S5_PS7_21rocsparse_index_base_SF_SF_SF_bbb
    .private_segment_fixed_size: 0
    .sgpr_count:     63
    .sgpr_spill_count: 0
    .symbol:         _ZN9rocsparseL41csrgemm_numeric_fill_block_per_row_kernelILj256ELj32ELj512ELj137ELj64Eli21rocsparse_complex_numIfEEEvT5_PKS3_S5_NS_24const_host_device_scalarIT6_EEPKT4_S5_PKS7_SB_S5_SD_S8_SB_S5_SD_SB_S5_PS7_21rocsparse_index_base_SF_SF_SF_bbb.kd
    .uniform_work_group_size: 1
    .uses_dynamic_stack: false
    .vgpr_count:     30
    .vgpr_spill_count: 0
    .wavefront_size: 64
  - .agpr_count:     0
    .args:
      - .offset:         0
        .size:           4
        .value_kind:     by_value
      - .actual_access:  read_only
        .address_space:  global
        .offset:         8
        .size:           8
        .value_kind:     global_buffer
      - .actual_access:  read_only
        .address_space:  global
        .offset:         16
        .size:           8
        .value_kind:     global_buffer
      - .offset:         24
        .size:           8
        .value_kind:     by_value
      - .actual_access:  read_only
        .address_space:  global
        .offset:         32
        .size:           8
        .value_kind:     global_buffer
      - .actual_access:  read_only
        .address_space:  global
        .offset:         40
        .size:           8
        .value_kind:     global_buffer
      - .actual_access:  read_only
        .address_space:  global
        .offset:         48
        .size:           8
        .value_kind:     global_buffer
      - .actual_access:  read_only
        .address_space:  global
        .offset:         56
        .size:           8
        .value_kind:     global_buffer
      - .actual_access:  read_only
        .address_space:  global
        .offset:         64
        .size:           8
        .value_kind:     global_buffer
      - .actual_access:  read_only
        .address_space:  global
        .offset:         72
        .size:           8
        .value_kind:     global_buffer
      - .offset:         80
        .size:           8
        .value_kind:     by_value
      - .actual_access:  read_only
        .address_space:  global
        .offset:         88
        .size:           8
        .value_kind:     global_buffer
      - .actual_access:  read_only
        .address_space:  global
        .offset:         96
        .size:           8
        .value_kind:     global_buffer
      - .actual_access:  read_only
        .address_space:  global
        .offset:         104
        .size:           8
        .value_kind:     global_buffer
      - .actual_access:  read_only
        .address_space:  global
        .offset:         112
        .size:           8
        .value_kind:     global_buffer
      - .actual_access:  read_only
        .address_space:  global
        .offset:         120
        .size:           8
        .value_kind:     global_buffer
      - .actual_access:  write_only
        .address_space:  global
        .offset:         128
        .size:           8
        .value_kind:     global_buffer
      - .offset:         136
        .size:           4
        .value_kind:     by_value
      - .offset:         140
        .size:           4
        .value_kind:     by_value
      - .offset:         144
        .size:           4
        .value_kind:     by_value
      - .offset:         148
        .size:           4
        .value_kind:     by_value
      - .offset:         152
        .size:           1
        .value_kind:     by_value
      - .offset:         153
        .size:           1
        .value_kind:     by_value
      - .offset:         154
        .size:           1
        .value_kind:     by_value
    .group_segment_fixed_size: 0
    .kernarg_segment_align: 8
    .kernarg_segment_size: 156
    .language:       OpenCL C
    .language_version:
      - 2
      - 0
    .max_flat_workgroup_size: 512
    .name:           _ZN9rocsparseL41csrgemm_numeric_fill_block_per_row_kernelILj512ELj32ELj1024ELj137ELj32Eli21rocsparse_complex_numIfEEEvT5_PKS3_S5_NS_24const_host_device_scalarIT6_EEPKT4_S5_PKS7_SB_S5_SD_S8_SB_S5_SD_SB_S5_PS7_21rocsparse_index_base_SF_SF_SF_bbb
    .private_segment_fixed_size: 0
    .sgpr_count:     61
    .sgpr_spill_count: 0
    .symbol:         _ZN9rocsparseL41csrgemm_numeric_fill_block_per_row_kernelILj512ELj32ELj1024ELj137ELj32Eli21rocsparse_complex_numIfEEEvT5_PKS3_S5_NS_24const_host_device_scalarIT6_EEPKT4_S5_PKS7_SB_S5_SD_S8_SB_S5_SD_SB_S5_PS7_21rocsparse_index_base_SF_SF_SF_bbb.kd
    .uniform_work_group_size: 1
    .uses_dynamic_stack: false
    .vgpr_count:     30
    .vgpr_spill_count: 0
    .wavefront_size: 64
  - .agpr_count:     0
    .args:
      - .offset:         0
        .size:           4
        .value_kind:     by_value
      - .actual_access:  read_only
        .address_space:  global
        .offset:         8
        .size:           8
        .value_kind:     global_buffer
      - .actual_access:  read_only
        .address_space:  global
        .offset:         16
        .size:           8
        .value_kind:     global_buffer
      - .offset:         24
        .size:           8
        .value_kind:     by_value
      - .actual_access:  read_only
        .address_space:  global
        .offset:         32
        .size:           8
        .value_kind:     global_buffer
      - .actual_access:  read_only
        .address_space:  global
        .offset:         40
        .size:           8
        .value_kind:     global_buffer
      - .actual_access:  read_only
        .address_space:  global
        .offset:         48
        .size:           8
        .value_kind:     global_buffer
      - .actual_access:  read_only
        .address_space:  global
        .offset:         56
        .size:           8
        .value_kind:     global_buffer
      - .actual_access:  read_only
        .address_space:  global
        .offset:         64
        .size:           8
        .value_kind:     global_buffer
      - .actual_access:  read_only
        .address_space:  global
        .offset:         72
        .size:           8
        .value_kind:     global_buffer
      - .offset:         80
        .size:           8
        .value_kind:     by_value
      - .actual_access:  read_only
        .address_space:  global
        .offset:         88
        .size:           8
        .value_kind:     global_buffer
      - .actual_access:  read_only
        .address_space:  global
        .offset:         96
        .size:           8
        .value_kind:     global_buffer
      - .actual_access:  read_only
        .address_space:  global
        .offset:         104
        .size:           8
        .value_kind:     global_buffer
      - .actual_access:  read_only
        .address_space:  global
        .offset:         112
        .size:           8
        .value_kind:     global_buffer
      - .actual_access:  read_only
        .address_space:  global
        .offset:         120
        .size:           8
        .value_kind:     global_buffer
      - .actual_access:  write_only
        .address_space:  global
        .offset:         128
        .size:           8
        .value_kind:     global_buffer
      - .offset:         136
        .size:           4
        .value_kind:     by_value
      - .offset:         140
        .size:           4
        .value_kind:     by_value
      - .offset:         144
        .size:           4
        .value_kind:     by_value
      - .offset:         148
        .size:           4
        .value_kind:     by_value
      - .offset:         152
        .size:           1
        .value_kind:     by_value
      - .offset:         153
        .size:           1
        .value_kind:     by_value
      - .offset:         154
        .size:           1
        .value_kind:     by_value
    .group_segment_fixed_size: 0
    .kernarg_segment_align: 8
    .kernarg_segment_size: 156
    .language:       OpenCL C
    .language_version:
      - 2
      - 0
    .max_flat_workgroup_size: 512
    .name:           _ZN9rocsparseL41csrgemm_numeric_fill_block_per_row_kernelILj512ELj32ELj1024ELj137ELj64Eli21rocsparse_complex_numIfEEEvT5_PKS3_S5_NS_24const_host_device_scalarIT6_EEPKT4_S5_PKS7_SB_S5_SD_S8_SB_S5_SD_SB_S5_PS7_21rocsparse_index_base_SF_SF_SF_bbb
    .private_segment_fixed_size: 0
    .sgpr_count:     61
    .sgpr_spill_count: 0
    .symbol:         _ZN9rocsparseL41csrgemm_numeric_fill_block_per_row_kernelILj512ELj32ELj1024ELj137ELj64Eli21rocsparse_complex_numIfEEEvT5_PKS3_S5_NS_24const_host_device_scalarIT6_EEPKT4_S5_PKS7_SB_S5_SD_S8_SB_S5_SD_SB_S5_PS7_21rocsparse_index_base_SF_SF_SF_bbb.kd
    .uniform_work_group_size: 1
    .uses_dynamic_stack: false
    .vgpr_count:     30
    .vgpr_spill_count: 0
    .wavefront_size: 64
  - .agpr_count:     0
    .args:
      - .offset:         0
        .size:           4
        .value_kind:     by_value
      - .actual_access:  read_only
        .address_space:  global
        .offset:         8
        .size:           8
        .value_kind:     global_buffer
      - .actual_access:  read_only
        .address_space:  global
        .offset:         16
        .size:           8
        .value_kind:     global_buffer
      - .offset:         24
        .size:           8
        .value_kind:     by_value
      - .actual_access:  read_only
        .address_space:  global
        .offset:         32
        .size:           8
        .value_kind:     global_buffer
      - .actual_access:  read_only
        .address_space:  global
        .offset:         40
        .size:           8
        .value_kind:     global_buffer
      - .actual_access:  read_only
        .address_space:  global
        .offset:         48
        .size:           8
        .value_kind:     global_buffer
      - .actual_access:  read_only
        .address_space:  global
        .offset:         56
        .size:           8
        .value_kind:     global_buffer
      - .actual_access:  read_only
        .address_space:  global
        .offset:         64
        .size:           8
        .value_kind:     global_buffer
      - .actual_access:  read_only
        .address_space:  global
        .offset:         72
        .size:           8
        .value_kind:     global_buffer
      - .offset:         80
        .size:           8
        .value_kind:     by_value
      - .actual_access:  read_only
        .address_space:  global
        .offset:         88
        .size:           8
        .value_kind:     global_buffer
      - .actual_access:  read_only
        .address_space:  global
        .offset:         96
        .size:           8
        .value_kind:     global_buffer
      - .actual_access:  read_only
        .address_space:  global
        .offset:         104
        .size:           8
        .value_kind:     global_buffer
      - .actual_access:  read_only
        .address_space:  global
        .offset:         112
        .size:           8
        .value_kind:     global_buffer
      - .actual_access:  read_only
        .address_space:  global
        .offset:         120
        .size:           8
        .value_kind:     global_buffer
      - .actual_access:  write_only
        .address_space:  global
        .offset:         128
        .size:           8
        .value_kind:     global_buffer
      - .offset:         136
        .size:           4
        .value_kind:     by_value
      - .offset:         140
        .size:           4
        .value_kind:     by_value
      - .offset:         144
        .size:           4
        .value_kind:     by_value
      - .offset:         148
        .size:           4
        .value_kind:     by_value
      - .offset:         152
        .size:           1
        .value_kind:     by_value
      - .offset:         153
        .size:           1
        .value_kind:     by_value
      - .offset:         154
        .size:           1
        .value_kind:     by_value
    .group_segment_fixed_size: 0
    .kernarg_segment_align: 8
    .kernarg_segment_size: 156
    .language:       OpenCL C
    .language_version:
      - 2
      - 0
    .max_flat_workgroup_size: 1024
    .name:           _ZN9rocsparseL41csrgemm_numeric_fill_block_per_row_kernelILj1024ELj32ELj2048ELj137ELj32Eli21rocsparse_complex_numIfEEEvT5_PKS3_S5_NS_24const_host_device_scalarIT6_EEPKT4_S5_PKS7_SB_S5_SD_S8_SB_S5_SD_SB_S5_PS7_21rocsparse_index_base_SF_SF_SF_bbb
    .private_segment_fixed_size: 0
    .sgpr_count:     84
    .sgpr_spill_count: 0
    .symbol:         _ZN9rocsparseL41csrgemm_numeric_fill_block_per_row_kernelILj1024ELj32ELj2048ELj137ELj32Eli21rocsparse_complex_numIfEEEvT5_PKS3_S5_NS_24const_host_device_scalarIT6_EEPKT4_S5_PKS7_SB_S5_SD_S8_SB_S5_SD_SB_S5_PS7_21rocsparse_index_base_SF_SF_SF_bbb.kd
    .uniform_work_group_size: 1
    .uses_dynamic_stack: false
    .vgpr_count:     30
    .vgpr_spill_count: 0
    .wavefront_size: 64
  - .agpr_count:     0
    .args:
      - .offset:         0
        .size:           4
        .value_kind:     by_value
      - .actual_access:  read_only
        .address_space:  global
        .offset:         8
        .size:           8
        .value_kind:     global_buffer
      - .actual_access:  read_only
        .address_space:  global
        .offset:         16
        .size:           8
        .value_kind:     global_buffer
      - .offset:         24
        .size:           8
        .value_kind:     by_value
      - .actual_access:  read_only
        .address_space:  global
        .offset:         32
        .size:           8
        .value_kind:     global_buffer
      - .actual_access:  read_only
        .address_space:  global
        .offset:         40
        .size:           8
        .value_kind:     global_buffer
      - .actual_access:  read_only
        .address_space:  global
        .offset:         48
        .size:           8
        .value_kind:     global_buffer
      - .actual_access:  read_only
        .address_space:  global
        .offset:         56
        .size:           8
        .value_kind:     global_buffer
      - .actual_access:  read_only
        .address_space:  global
        .offset:         64
        .size:           8
        .value_kind:     global_buffer
      - .actual_access:  read_only
        .address_space:  global
        .offset:         72
        .size:           8
        .value_kind:     global_buffer
      - .offset:         80
        .size:           8
        .value_kind:     by_value
      - .actual_access:  read_only
        .address_space:  global
        .offset:         88
        .size:           8
        .value_kind:     global_buffer
      - .actual_access:  read_only
        .address_space:  global
        .offset:         96
        .size:           8
        .value_kind:     global_buffer
      - .actual_access:  read_only
        .address_space:  global
        .offset:         104
        .size:           8
        .value_kind:     global_buffer
      - .actual_access:  read_only
        .address_space:  global
        .offset:         112
        .size:           8
        .value_kind:     global_buffer
      - .actual_access:  read_only
        .address_space:  global
        .offset:         120
        .size:           8
        .value_kind:     global_buffer
      - .actual_access:  write_only
        .address_space:  global
        .offset:         128
        .size:           8
        .value_kind:     global_buffer
      - .offset:         136
        .size:           4
        .value_kind:     by_value
      - .offset:         140
        .size:           4
        .value_kind:     by_value
      - .offset:         144
        .size:           4
        .value_kind:     by_value
      - .offset:         148
        .size:           4
        .value_kind:     by_value
      - .offset:         152
        .size:           1
        .value_kind:     by_value
      - .offset:         153
        .size:           1
        .value_kind:     by_value
      - .offset:         154
        .size:           1
        .value_kind:     by_value
    .group_segment_fixed_size: 0
    .kernarg_segment_align: 8
    .kernarg_segment_size: 156
    .language:       OpenCL C
    .language_version:
      - 2
      - 0
    .max_flat_workgroup_size: 1024
    .name:           _ZN9rocsparseL41csrgemm_numeric_fill_block_per_row_kernelILj1024ELj32ELj2048ELj137ELj64Eli21rocsparse_complex_numIfEEEvT5_PKS3_S5_NS_24const_host_device_scalarIT6_EEPKT4_S5_PKS7_SB_S5_SD_S8_SB_S5_SD_SB_S5_PS7_21rocsparse_index_base_SF_SF_SF_bbb
    .private_segment_fixed_size: 0
    .sgpr_count:     61
    .sgpr_spill_count: 0
    .symbol:         _ZN9rocsparseL41csrgemm_numeric_fill_block_per_row_kernelILj1024ELj32ELj2048ELj137ELj64Eli21rocsparse_complex_numIfEEEvT5_PKS3_S5_NS_24const_host_device_scalarIT6_EEPKT4_S5_PKS7_SB_S5_SD_S8_SB_S5_SD_SB_S5_PS7_21rocsparse_index_base_SF_SF_SF_bbb.kd
    .uniform_work_group_size: 1
    .uses_dynamic_stack: false
    .vgpr_count:     30
    .vgpr_spill_count: 0
    .wavefront_size: 64
  - .agpr_count:     0
    .args:
      - .offset:         0
        .size:           4
        .value_kind:     by_value
      - .actual_access:  read_only
        .address_space:  global
        .offset:         8
        .size:           8
        .value_kind:     global_buffer
      - .actual_access:  read_only
        .address_space:  global
        .offset:         16
        .size:           8
        .value_kind:     global_buffer
      - .offset:         24
        .size:           8
        .value_kind:     by_value
      - .actual_access:  read_only
        .address_space:  global
        .offset:         32
        .size:           8
        .value_kind:     global_buffer
      - .actual_access:  read_only
        .address_space:  global
        .offset:         40
        .size:           8
        .value_kind:     global_buffer
      - .actual_access:  read_only
        .address_space:  global
        .offset:         48
        .size:           8
        .value_kind:     global_buffer
      - .actual_access:  read_only
        .address_space:  global
        .offset:         56
        .size:           8
        .value_kind:     global_buffer
      - .actual_access:  read_only
        .address_space:  global
        .offset:         64
        .size:           8
        .value_kind:     global_buffer
      - .actual_access:  read_only
        .address_space:  global
        .offset:         72
        .size:           8
        .value_kind:     global_buffer
      - .offset:         80
        .size:           8
        .value_kind:     by_value
      - .actual_access:  read_only
        .address_space:  global
        .offset:         88
        .size:           8
        .value_kind:     global_buffer
      - .actual_access:  read_only
        .address_space:  global
        .offset:         96
        .size:           8
        .value_kind:     global_buffer
      - .actual_access:  read_only
        .address_space:  global
        .offset:         104
        .size:           8
        .value_kind:     global_buffer
      - .actual_access:  read_only
        .address_space:  global
        .offset:         112
        .size:           8
        .value_kind:     global_buffer
      - .actual_access:  read_only
        .address_space:  global
        .offset:         120
        .size:           8
        .value_kind:     global_buffer
      - .actual_access:  write_only
        .address_space:  global
        .offset:         128
        .size:           8
        .value_kind:     global_buffer
      - .offset:         136
        .size:           4
        .value_kind:     by_value
      - .offset:         140
        .size:           4
        .value_kind:     by_value
      - .offset:         144
        .size:           4
        .value_kind:     by_value
      - .offset:         148
        .size:           4
        .value_kind:     by_value
      - .offset:         152
        .size:           1
        .value_kind:     by_value
      - .offset:         153
        .size:           1
        .value_kind:     by_value
      - .offset:         154
        .size:           1
        .value_kind:     by_value
    .group_segment_fixed_size: 0
    .kernarg_segment_align: 8
    .kernarg_segment_size: 156
    .language:       OpenCL C
    .language_version:
      - 2
      - 0
    .max_flat_workgroup_size: 1024
    .name:           _ZN9rocsparseL41csrgemm_numeric_fill_block_per_row_kernelILj1024ELj64ELj4096ELj137ELj32Eli21rocsparse_complex_numIfEEEvT5_PKS3_S5_NS_24const_host_device_scalarIT6_EEPKT4_S5_PKS7_SB_S5_SD_S8_SB_S5_SD_SB_S5_PS7_21rocsparse_index_base_SF_SF_SF_bbb
    .private_segment_fixed_size: 0
    .sgpr_count:     84
    .sgpr_spill_count: 0
    .symbol:         _ZN9rocsparseL41csrgemm_numeric_fill_block_per_row_kernelILj1024ELj64ELj4096ELj137ELj32Eli21rocsparse_complex_numIfEEEvT5_PKS3_S5_NS_24const_host_device_scalarIT6_EEPKT4_S5_PKS7_SB_S5_SD_S8_SB_S5_SD_SB_S5_PS7_21rocsparse_index_base_SF_SF_SF_bbb.kd
    .uniform_work_group_size: 1
    .uses_dynamic_stack: false
    .vgpr_count:     30
    .vgpr_spill_count: 0
    .wavefront_size: 64
  - .agpr_count:     0
    .args:
      - .offset:         0
        .size:           4
        .value_kind:     by_value
      - .actual_access:  read_only
        .address_space:  global
        .offset:         8
        .size:           8
        .value_kind:     global_buffer
      - .actual_access:  read_only
        .address_space:  global
        .offset:         16
        .size:           8
        .value_kind:     global_buffer
      - .offset:         24
        .size:           8
        .value_kind:     by_value
      - .actual_access:  read_only
        .address_space:  global
        .offset:         32
        .size:           8
        .value_kind:     global_buffer
      - .actual_access:  read_only
        .address_space:  global
        .offset:         40
        .size:           8
        .value_kind:     global_buffer
      - .actual_access:  read_only
        .address_space:  global
        .offset:         48
        .size:           8
        .value_kind:     global_buffer
      - .actual_access:  read_only
        .address_space:  global
        .offset:         56
        .size:           8
        .value_kind:     global_buffer
      - .actual_access:  read_only
        .address_space:  global
        .offset:         64
        .size:           8
        .value_kind:     global_buffer
      - .actual_access:  read_only
        .address_space:  global
        .offset:         72
        .size:           8
        .value_kind:     global_buffer
      - .offset:         80
        .size:           8
        .value_kind:     by_value
      - .actual_access:  read_only
        .address_space:  global
        .offset:         88
        .size:           8
        .value_kind:     global_buffer
      - .actual_access:  read_only
        .address_space:  global
        .offset:         96
        .size:           8
        .value_kind:     global_buffer
      - .actual_access:  read_only
        .address_space:  global
        .offset:         104
        .size:           8
        .value_kind:     global_buffer
      - .actual_access:  read_only
        .address_space:  global
        .offset:         112
        .size:           8
        .value_kind:     global_buffer
      - .actual_access:  read_only
        .address_space:  global
        .offset:         120
        .size:           8
        .value_kind:     global_buffer
      - .actual_access:  write_only
        .address_space:  global
        .offset:         128
        .size:           8
        .value_kind:     global_buffer
      - .offset:         136
        .size:           4
        .value_kind:     by_value
      - .offset:         140
        .size:           4
        .value_kind:     by_value
      - .offset:         144
        .size:           4
        .value_kind:     by_value
      - .offset:         148
        .size:           4
        .value_kind:     by_value
      - .offset:         152
        .size:           1
        .value_kind:     by_value
      - .offset:         153
        .size:           1
        .value_kind:     by_value
      - .offset:         154
        .size:           1
        .value_kind:     by_value
    .group_segment_fixed_size: 0
    .kernarg_segment_align: 8
    .kernarg_segment_size: 156
    .language:       OpenCL C
    .language_version:
      - 2
      - 0
    .max_flat_workgroup_size: 1024
    .name:           _ZN9rocsparseL41csrgemm_numeric_fill_block_per_row_kernelILj1024ELj64ELj4096ELj137ELj64Eli21rocsparse_complex_numIfEEEvT5_PKS3_S5_NS_24const_host_device_scalarIT6_EEPKT4_S5_PKS7_SB_S5_SD_S8_SB_S5_SD_SB_S5_PS7_21rocsparse_index_base_SF_SF_SF_bbb
    .private_segment_fixed_size: 0
    .sgpr_count:     61
    .sgpr_spill_count: 0
    .symbol:         _ZN9rocsparseL41csrgemm_numeric_fill_block_per_row_kernelILj1024ELj64ELj4096ELj137ELj64Eli21rocsparse_complex_numIfEEEvT5_PKS3_S5_NS_24const_host_device_scalarIT6_EEPKT4_S5_PKS7_SB_S5_SD_S8_SB_S5_SD_SB_S5_PS7_21rocsparse_index_base_SF_SF_SF_bbb.kd
    .uniform_work_group_size: 1
    .uses_dynamic_stack: false
    .vgpr_count:     30
    .vgpr_spill_count: 0
    .wavefront_size: 64
  - .agpr_count:     0
    .args:
      - .offset:         0
        .size:           4
        .value_kind:     by_value
      - .actual_access:  read_only
        .address_space:  global
        .offset:         8
        .size:           8
        .value_kind:     global_buffer
      - .actual_access:  read_only
        .address_space:  global
        .offset:         16
        .size:           8
        .value_kind:     global_buffer
      - .offset:         24
        .size:           8
        .value_kind:     by_value
      - .actual_access:  read_only
        .address_space:  global
        .offset:         32
        .size:           8
        .value_kind:     global_buffer
      - .actual_access:  read_only
        .address_space:  global
        .offset:         40
        .size:           8
        .value_kind:     global_buffer
      - .actual_access:  read_only
        .address_space:  global
        .offset:         48
        .size:           8
        .value_kind:     global_buffer
      - .actual_access:  read_only
        .address_space:  global
        .offset:         56
        .size:           8
        .value_kind:     global_buffer
      - .actual_access:  read_only
        .address_space:  global
        .offset:         64
        .size:           8
        .value_kind:     global_buffer
      - .actual_access:  read_only
        .address_space:  global
        .offset:         72
        .size:           8
        .value_kind:     global_buffer
      - .offset:         80
        .size:           8
        .value_kind:     by_value
      - .actual_access:  read_only
        .address_space:  global
        .offset:         88
        .size:           8
        .value_kind:     global_buffer
      - .actual_access:  read_only
        .address_space:  global
        .offset:         96
        .size:           8
        .value_kind:     global_buffer
      - .actual_access:  read_only
        .address_space:  global
        .offset:         104
        .size:           8
        .value_kind:     global_buffer
      - .actual_access:  read_only
        .address_space:  global
        .offset:         112
        .size:           8
        .value_kind:     global_buffer
      - .actual_access:  read_only
        .address_space:  global
        .offset:         120
        .size:           8
        .value_kind:     global_buffer
      - .actual_access:  write_only
        .address_space:  global
        .offset:         128
        .size:           8
        .value_kind:     global_buffer
      - .offset:         136
        .size:           4
        .value_kind:     by_value
      - .offset:         140
        .size:           4
        .value_kind:     by_value
      - .offset:         144
        .size:           4
        .value_kind:     by_value
      - .offset:         148
        .size:           4
        .value_kind:     by_value
      - .offset:         152
        .size:           1
        .value_kind:     by_value
      - .offset:         153
        .size:           1
        .value_kind:     by_value
      - .offset:         154
        .size:           1
        .value_kind:     by_value
    .group_segment_fixed_size: 0
    .kernarg_segment_align: 8
    .kernarg_segment_size: 156
    .language:       OpenCL C
    .language_version:
      - 2
      - 0
    .max_flat_workgroup_size: 1024
    .name:           _ZN9rocsparseL41csrgemm_numeric_fill_block_per_row_kernelILj1024ELj64ELj8192ELj137ELj32Eli21rocsparse_complex_numIfEEEvT5_PKS3_S5_NS_24const_host_device_scalarIT6_EEPKT4_S5_PKS7_SB_S5_SD_S8_SB_S5_SD_SB_S5_PS7_21rocsparse_index_base_SF_SF_SF_bbb
    .private_segment_fixed_size: 0
    .sgpr_count:     106
    .sgpr_spill_count: 11
    .symbol:         _ZN9rocsparseL41csrgemm_numeric_fill_block_per_row_kernelILj1024ELj64ELj8192ELj137ELj32Eli21rocsparse_complex_numIfEEEvT5_PKS3_S5_NS_24const_host_device_scalarIT6_EEPKT4_S5_PKS7_SB_S5_SD_S8_SB_S5_SD_SB_S5_PS7_21rocsparse_index_base_SF_SF_SF_bbb.kd
    .uniform_work_group_size: 1
    .uses_dynamic_stack: false
    .vgpr_count:     31
    .vgpr_spill_count: 0
    .wavefront_size: 64
  - .agpr_count:     0
    .args:
      - .offset:         0
        .size:           4
        .value_kind:     by_value
      - .actual_access:  read_only
        .address_space:  global
        .offset:         8
        .size:           8
        .value_kind:     global_buffer
      - .actual_access:  read_only
        .address_space:  global
        .offset:         16
        .size:           8
        .value_kind:     global_buffer
      - .offset:         24
        .size:           8
        .value_kind:     by_value
      - .actual_access:  read_only
        .address_space:  global
        .offset:         32
        .size:           8
        .value_kind:     global_buffer
      - .actual_access:  read_only
        .address_space:  global
        .offset:         40
        .size:           8
        .value_kind:     global_buffer
      - .actual_access:  read_only
        .address_space:  global
        .offset:         48
        .size:           8
        .value_kind:     global_buffer
      - .actual_access:  read_only
        .address_space:  global
        .offset:         56
        .size:           8
        .value_kind:     global_buffer
      - .actual_access:  read_only
        .address_space:  global
        .offset:         64
        .size:           8
        .value_kind:     global_buffer
      - .actual_access:  read_only
        .address_space:  global
        .offset:         72
        .size:           8
        .value_kind:     global_buffer
      - .offset:         80
        .size:           8
        .value_kind:     by_value
      - .actual_access:  read_only
        .address_space:  global
        .offset:         88
        .size:           8
        .value_kind:     global_buffer
      - .actual_access:  read_only
        .address_space:  global
        .offset:         96
        .size:           8
        .value_kind:     global_buffer
      - .actual_access:  read_only
        .address_space:  global
        .offset:         104
        .size:           8
        .value_kind:     global_buffer
      - .actual_access:  read_only
        .address_space:  global
        .offset:         112
        .size:           8
        .value_kind:     global_buffer
      - .actual_access:  read_only
        .address_space:  global
        .offset:         120
        .size:           8
        .value_kind:     global_buffer
      - .actual_access:  write_only
        .address_space:  global
        .offset:         128
        .size:           8
        .value_kind:     global_buffer
      - .offset:         136
        .size:           4
        .value_kind:     by_value
      - .offset:         140
        .size:           4
        .value_kind:     by_value
      - .offset:         144
        .size:           4
        .value_kind:     by_value
      - .offset:         148
        .size:           4
        .value_kind:     by_value
      - .offset:         152
        .size:           1
        .value_kind:     by_value
      - .offset:         153
        .size:           1
        .value_kind:     by_value
      - .offset:         154
        .size:           1
        .value_kind:     by_value
    .group_segment_fixed_size: 0
    .kernarg_segment_align: 8
    .kernarg_segment_size: 156
    .language:       OpenCL C
    .language_version:
      - 2
      - 0
    .max_flat_workgroup_size: 1024
    .name:           _ZN9rocsparseL41csrgemm_numeric_fill_block_per_row_kernelILj1024ELj64ELj8192ELj137ELj64Eli21rocsparse_complex_numIfEEEvT5_PKS3_S5_NS_24const_host_device_scalarIT6_EEPKT4_S5_PKS7_SB_S5_SD_S8_SB_S5_SD_SB_S5_PS7_21rocsparse_index_base_SF_SF_SF_bbb
    .private_segment_fixed_size: 0
    .sgpr_count:     67
    .sgpr_spill_count: 0
    .symbol:         _ZN9rocsparseL41csrgemm_numeric_fill_block_per_row_kernelILj1024ELj64ELj8192ELj137ELj64Eli21rocsparse_complex_numIfEEEvT5_PKS3_S5_NS_24const_host_device_scalarIT6_EEPKT4_S5_PKS7_SB_S5_SD_S8_SB_S5_SD_SB_S5_PS7_21rocsparse_index_base_SF_SF_SF_bbb.kd
    .uniform_work_group_size: 1
    .uses_dynamic_stack: false
    .vgpr_count:     30
    .vgpr_spill_count: 0
    .wavefront_size: 64
  - .agpr_count:     0
    .args:
      - .offset:         0
        .size:           4
        .value_kind:     by_value
      - .actual_access:  read_only
        .address_space:  global
        .offset:         8
        .size:           8
        .value_kind:     global_buffer
      - .actual_access:  read_only
        .address_space:  global
        .offset:         16
        .size:           8
        .value_kind:     global_buffer
      - .offset:         24
        .size:           8
        .value_kind:     by_value
      - .actual_access:  read_only
        .address_space:  global
        .offset:         32
        .size:           8
        .value_kind:     global_buffer
      - .actual_access:  read_only
        .address_space:  global
        .offset:         40
        .size:           8
        .value_kind:     global_buffer
      - .actual_access:  read_only
        .address_space:  global
        .offset:         48
        .size:           8
        .value_kind:     global_buffer
      - .actual_access:  read_only
        .address_space:  global
        .offset:         56
        .size:           8
        .value_kind:     global_buffer
      - .actual_access:  read_only
        .address_space:  global
        .offset:         64
        .size:           8
        .value_kind:     global_buffer
      - .actual_access:  read_only
        .address_space:  global
        .offset:         72
        .size:           8
        .value_kind:     global_buffer
      - .offset:         80
        .size:           8
        .value_kind:     by_value
      - .actual_access:  read_only
        .address_space:  global
        .offset:         88
        .size:           8
        .value_kind:     global_buffer
      - .actual_access:  read_only
        .address_space:  global
        .offset:         96
        .size:           8
        .value_kind:     global_buffer
      - .actual_access:  read_only
        .address_space:  global
        .offset:         104
        .size:           8
        .value_kind:     global_buffer
      - .actual_access:  read_only
        .address_space:  global
        .offset:         112
        .size:           8
        .value_kind:     global_buffer
      - .actual_access:  read_only
        .address_space:  global
        .offset:         120
        .size:           8
        .value_kind:     global_buffer
      - .actual_access:  write_only
        .address_space:  global
        .offset:         128
        .size:           8
        .value_kind:     global_buffer
      - .offset:         136
        .size:           4
        .value_kind:     by_value
      - .offset:         140
        .size:           4
        .value_kind:     by_value
      - .offset:         144
        .size:           4
        .value_kind:     by_value
      - .offset:         148
        .size:           4
        .value_kind:     by_value
      - .offset:         152
        .size:           1
        .value_kind:     by_value
      - .offset:         153
        .size:           1
        .value_kind:     by_value
      - .offset:         154
        .size:           1
        .value_kind:     by_value
    .group_segment_fixed_size: 0
    .kernarg_segment_align: 8
    .kernarg_segment_size: 156
    .language:       OpenCL C
    .language_version:
      - 2
      - 0
    .max_flat_workgroup_size: 1024
    .name:           _ZN9rocsparseL41csrgemm_numeric_fill_block_per_row_kernelILj1024ELj64ELj16384ELj137ELj32Eli21rocsparse_complex_numIfEEEvT5_PKS3_S5_NS_24const_host_device_scalarIT6_EEPKT4_S5_PKS7_SB_S5_SD_S8_SB_S5_SD_SB_S5_PS7_21rocsparse_index_base_SF_SF_SF_bbb
    .private_segment_fixed_size: 0
    .sgpr_count:     106
    .sgpr_spill_count: 11
    .symbol:         _ZN9rocsparseL41csrgemm_numeric_fill_block_per_row_kernelILj1024ELj64ELj16384ELj137ELj32Eli21rocsparse_complex_numIfEEEvT5_PKS3_S5_NS_24const_host_device_scalarIT6_EEPKT4_S5_PKS7_SB_S5_SD_S8_SB_S5_SD_SB_S5_PS7_21rocsparse_index_base_SF_SF_SF_bbb.kd
    .uniform_work_group_size: 1
    .uses_dynamic_stack: false
    .vgpr_count:     31
    .vgpr_spill_count: 0
    .wavefront_size: 64
  - .agpr_count:     0
    .args:
      - .offset:         0
        .size:           4
        .value_kind:     by_value
      - .actual_access:  read_only
        .address_space:  global
        .offset:         8
        .size:           8
        .value_kind:     global_buffer
      - .actual_access:  read_only
        .address_space:  global
        .offset:         16
        .size:           8
        .value_kind:     global_buffer
      - .offset:         24
        .size:           8
        .value_kind:     by_value
      - .actual_access:  read_only
        .address_space:  global
        .offset:         32
        .size:           8
        .value_kind:     global_buffer
      - .actual_access:  read_only
        .address_space:  global
        .offset:         40
        .size:           8
        .value_kind:     global_buffer
      - .actual_access:  read_only
        .address_space:  global
        .offset:         48
        .size:           8
        .value_kind:     global_buffer
      - .actual_access:  read_only
        .address_space:  global
        .offset:         56
        .size:           8
        .value_kind:     global_buffer
      - .actual_access:  read_only
        .address_space:  global
        .offset:         64
        .size:           8
        .value_kind:     global_buffer
      - .actual_access:  read_only
        .address_space:  global
        .offset:         72
        .size:           8
        .value_kind:     global_buffer
      - .offset:         80
        .size:           8
        .value_kind:     by_value
      - .actual_access:  read_only
        .address_space:  global
        .offset:         88
        .size:           8
        .value_kind:     global_buffer
      - .actual_access:  read_only
        .address_space:  global
        .offset:         96
        .size:           8
        .value_kind:     global_buffer
      - .actual_access:  read_only
        .address_space:  global
        .offset:         104
        .size:           8
        .value_kind:     global_buffer
      - .actual_access:  read_only
        .address_space:  global
        .offset:         112
        .size:           8
        .value_kind:     global_buffer
      - .actual_access:  read_only
        .address_space:  global
        .offset:         120
        .size:           8
        .value_kind:     global_buffer
      - .actual_access:  write_only
        .address_space:  global
        .offset:         128
        .size:           8
        .value_kind:     global_buffer
      - .offset:         136
        .size:           4
        .value_kind:     by_value
      - .offset:         140
        .size:           4
        .value_kind:     by_value
      - .offset:         144
        .size:           4
        .value_kind:     by_value
      - .offset:         148
        .size:           4
        .value_kind:     by_value
      - .offset:         152
        .size:           1
        .value_kind:     by_value
      - .offset:         153
        .size:           1
        .value_kind:     by_value
      - .offset:         154
        .size:           1
        .value_kind:     by_value
    .group_segment_fixed_size: 0
    .kernarg_segment_align: 8
    .kernarg_segment_size: 156
    .language:       OpenCL C
    .language_version:
      - 2
      - 0
    .max_flat_workgroup_size: 1024
    .name:           _ZN9rocsparseL41csrgemm_numeric_fill_block_per_row_kernelILj1024ELj64ELj16384ELj137ELj64Eli21rocsparse_complex_numIfEEEvT5_PKS3_S5_NS_24const_host_device_scalarIT6_EEPKT4_S5_PKS7_SB_S5_SD_S8_SB_S5_SD_SB_S5_PS7_21rocsparse_index_base_SF_SF_SF_bbb
    .private_segment_fixed_size: 0
    .sgpr_count:     67
    .sgpr_spill_count: 0
    .symbol:         _ZN9rocsparseL41csrgemm_numeric_fill_block_per_row_kernelILj1024ELj64ELj16384ELj137ELj64Eli21rocsparse_complex_numIfEEEvT5_PKS3_S5_NS_24const_host_device_scalarIT6_EEPKT4_S5_PKS7_SB_S5_SD_S8_SB_S5_SD_SB_S5_PS7_21rocsparse_index_base_SF_SF_SF_bbb.kd
    .uniform_work_group_size: 1
    .uses_dynamic_stack: false
    .vgpr_count:     30
    .vgpr_spill_count: 0
    .wavefront_size: 64
  - .agpr_count:     0
    .args:
      - .offset:         0
        .size:           4
        .value_kind:     by_value
      - .actual_access:  read_only
        .address_space:  global
        .offset:         8
        .size:           8
        .value_kind:     global_buffer
      - .actual_access:  read_only
        .address_space:  global
        .offset:         16
        .size:           8
        .value_kind:     global_buffer
      - .offset:         24
        .size:           8
        .value_kind:     by_value
      - .actual_access:  read_only
        .address_space:  global
        .offset:         32
        .size:           8
        .value_kind:     global_buffer
      - .actual_access:  read_only
        .address_space:  global
        .offset:         40
        .size:           8
        .value_kind:     global_buffer
      - .actual_access:  read_only
        .address_space:  global
        .offset:         48
        .size:           8
        .value_kind:     global_buffer
      - .actual_access:  read_only
        .address_space:  global
        .offset:         56
        .size:           8
        .value_kind:     global_buffer
      - .actual_access:  read_only
        .address_space:  global
        .offset:         64
        .size:           8
        .value_kind:     global_buffer
      - .actual_access:  read_only
        .address_space:  global
        .offset:         72
        .size:           8
        .value_kind:     global_buffer
      - .offset:         80
        .size:           8
        .value_kind:     by_value
      - .actual_access:  read_only
        .address_space:  global
        .offset:         88
        .size:           8
        .value_kind:     global_buffer
      - .actual_access:  read_only
        .address_space:  global
        .offset:         96
        .size:           8
        .value_kind:     global_buffer
      - .actual_access:  read_only
        .address_space:  global
        .offset:         104
        .size:           8
        .value_kind:     global_buffer
      - .actual_access:  read_only
        .address_space:  global
        .offset:         112
        .size:           8
        .value_kind:     global_buffer
      - .actual_access:  read_only
        .address_space:  global
        .offset:         120
        .size:           8
        .value_kind:     global_buffer
      - .actual_access:  write_only
        .address_space:  global
        .offset:         128
        .size:           8
        .value_kind:     global_buffer
      - .offset:         136
        .size:           4
        .value_kind:     by_value
      - .offset:         140
        .size:           4
        .value_kind:     by_value
      - .offset:         144
        .size:           4
        .value_kind:     by_value
      - .offset:         148
        .size:           4
        .value_kind:     by_value
      - .offset:         152
        .size:           1
        .value_kind:     by_value
      - .offset:         153
        .size:           1
        .value_kind:     by_value
      - .offset:         154
        .size:           1
        .value_kind:     by_value
    .group_segment_fixed_size: 0
    .kernarg_segment_align: 8
    .kernarg_segment_size: 156
    .language:       OpenCL C
    .language_version:
      - 2
      - 0
    .max_flat_workgroup_size: 1024
    .name:           _ZN9rocsparseL41csrgemm_numeric_fill_block_per_row_kernelILj1024ELj64ELj32768ELj137ELj32Eli21rocsparse_complex_numIfEEEvT5_PKS3_S5_NS_24const_host_device_scalarIT6_EEPKT4_S5_PKS7_SB_S5_SD_S8_SB_S5_SD_SB_S5_PS7_21rocsparse_index_base_SF_SF_SF_bbb
    .private_segment_fixed_size: 0
    .sgpr_count:     106
    .sgpr_spill_count: 11
    .symbol:         _ZN9rocsparseL41csrgemm_numeric_fill_block_per_row_kernelILj1024ELj64ELj32768ELj137ELj32Eli21rocsparse_complex_numIfEEEvT5_PKS3_S5_NS_24const_host_device_scalarIT6_EEPKT4_S5_PKS7_SB_S5_SD_S8_SB_S5_SD_SB_S5_PS7_21rocsparse_index_base_SF_SF_SF_bbb.kd
    .uniform_work_group_size: 1
    .uses_dynamic_stack: false
    .vgpr_count:     31
    .vgpr_spill_count: 0
    .wavefront_size: 64
  - .agpr_count:     0
    .args:
      - .offset:         0
        .size:           4
        .value_kind:     by_value
      - .actual_access:  read_only
        .address_space:  global
        .offset:         8
        .size:           8
        .value_kind:     global_buffer
      - .actual_access:  read_only
        .address_space:  global
        .offset:         16
        .size:           8
        .value_kind:     global_buffer
      - .offset:         24
        .size:           8
        .value_kind:     by_value
      - .actual_access:  read_only
        .address_space:  global
        .offset:         32
        .size:           8
        .value_kind:     global_buffer
      - .actual_access:  read_only
        .address_space:  global
        .offset:         40
        .size:           8
        .value_kind:     global_buffer
      - .actual_access:  read_only
        .address_space:  global
        .offset:         48
        .size:           8
        .value_kind:     global_buffer
      - .actual_access:  read_only
        .address_space:  global
        .offset:         56
        .size:           8
        .value_kind:     global_buffer
      - .actual_access:  read_only
        .address_space:  global
        .offset:         64
        .size:           8
        .value_kind:     global_buffer
      - .actual_access:  read_only
        .address_space:  global
        .offset:         72
        .size:           8
        .value_kind:     global_buffer
      - .offset:         80
        .size:           8
        .value_kind:     by_value
      - .actual_access:  read_only
        .address_space:  global
        .offset:         88
        .size:           8
        .value_kind:     global_buffer
      - .actual_access:  read_only
        .address_space:  global
        .offset:         96
        .size:           8
        .value_kind:     global_buffer
      - .actual_access:  read_only
        .address_space:  global
        .offset:         104
        .size:           8
        .value_kind:     global_buffer
      - .actual_access:  read_only
        .address_space:  global
        .offset:         112
        .size:           8
        .value_kind:     global_buffer
      - .actual_access:  read_only
        .address_space:  global
        .offset:         120
        .size:           8
        .value_kind:     global_buffer
      - .actual_access:  write_only
        .address_space:  global
        .offset:         128
        .size:           8
        .value_kind:     global_buffer
      - .offset:         136
        .size:           4
        .value_kind:     by_value
      - .offset:         140
        .size:           4
        .value_kind:     by_value
      - .offset:         144
        .size:           4
        .value_kind:     by_value
      - .offset:         148
        .size:           4
        .value_kind:     by_value
      - .offset:         152
        .size:           1
        .value_kind:     by_value
      - .offset:         153
        .size:           1
        .value_kind:     by_value
      - .offset:         154
        .size:           1
        .value_kind:     by_value
    .group_segment_fixed_size: 0
    .kernarg_segment_align: 8
    .kernarg_segment_size: 156
    .language:       OpenCL C
    .language_version:
      - 2
      - 0
    .max_flat_workgroup_size: 1024
    .name:           _ZN9rocsparseL41csrgemm_numeric_fill_block_per_row_kernelILj1024ELj64ELj32768ELj137ELj64Eli21rocsparse_complex_numIfEEEvT5_PKS3_S5_NS_24const_host_device_scalarIT6_EEPKT4_S5_PKS7_SB_S5_SD_S8_SB_S5_SD_SB_S5_PS7_21rocsparse_index_base_SF_SF_SF_bbb
    .private_segment_fixed_size: 0
    .sgpr_count:     67
    .sgpr_spill_count: 0
    .symbol:         _ZN9rocsparseL41csrgemm_numeric_fill_block_per_row_kernelILj1024ELj64ELj32768ELj137ELj64Eli21rocsparse_complex_numIfEEEvT5_PKS3_S5_NS_24const_host_device_scalarIT6_EEPKT4_S5_PKS7_SB_S5_SD_S8_SB_S5_SD_SB_S5_PS7_21rocsparse_index_base_SF_SF_SF_bbb.kd
    .uniform_work_group_size: 1
    .uses_dynamic_stack: false
    .vgpr_count:     30
    .vgpr_spill_count: 0
    .wavefront_size: 64
  - .agpr_count:     0
    .args:
      - .offset:         0
        .size:           4
        .value_kind:     by_value
      - .actual_access:  read_only
        .address_space:  global
        .offset:         8
        .size:           8
        .value_kind:     global_buffer
      - .actual_access:  read_only
        .address_space:  global
        .offset:         16
        .size:           8
        .value_kind:     global_buffer
      - .offset:         24
        .size:           8
        .value_kind:     by_value
      - .actual_access:  read_only
        .address_space:  global
        .offset:         32
        .size:           8
        .value_kind:     global_buffer
      - .actual_access:  read_only
        .address_space:  global
        .offset:         40
        .size:           8
        .value_kind:     global_buffer
      - .actual_access:  read_only
        .address_space:  global
        .offset:         48
        .size:           8
        .value_kind:     global_buffer
      - .actual_access:  read_only
        .address_space:  global
        .offset:         56
        .size:           8
        .value_kind:     global_buffer
      - .actual_access:  read_only
        .address_space:  global
        .offset:         64
        .size:           8
        .value_kind:     global_buffer
      - .actual_access:  read_only
        .address_space:  global
        .offset:         72
        .size:           8
        .value_kind:     global_buffer
      - .offset:         80
        .size:           8
        .value_kind:     by_value
      - .actual_access:  read_only
        .address_space:  global
        .offset:         88
        .size:           8
        .value_kind:     global_buffer
      - .actual_access:  read_only
        .address_space:  global
        .offset:         96
        .size:           8
        .value_kind:     global_buffer
      - .actual_access:  read_only
        .address_space:  global
        .offset:         104
        .size:           8
        .value_kind:     global_buffer
      - .actual_access:  read_only
        .address_space:  global
        .offset:         112
        .size:           8
        .value_kind:     global_buffer
      - .actual_access:  read_only
        .address_space:  global
        .offset:         120
        .size:           8
        .value_kind:     global_buffer
      - .actual_access:  write_only
        .address_space:  global
        .offset:         128
        .size:           8
        .value_kind:     global_buffer
      - .address_space:  global
        .offset:         136
        .size:           8
        .value_kind:     global_buffer
      - .offset:         144
        .size:           4
        .value_kind:     by_value
      - .offset:         148
        .size:           4
        .value_kind:     by_value
      - .offset:         152
        .size:           4
        .value_kind:     by_value
      - .offset:         156
        .size:           4
        .value_kind:     by_value
      - .offset:         160
        .size:           1
        .value_kind:     by_value
      - .offset:         161
        .size:           1
        .value_kind:     by_value
      - .offset:         162
        .size:           1
        .value_kind:     by_value
    .group_segment_fixed_size: 18436
    .kernarg_segment_align: 8
    .kernarg_segment_size: 164
    .language:       OpenCL C
    .language_version:
      - 2
      - 0
    .max_flat_workgroup_size: 512
    .name:           _ZN9rocsparseL51csrgemm_numeric_fill_block_per_row_multipass_kernelILj512ELj16ELj2048ELj32Eli21rocsparse_complex_numIfEEEvT4_PKS3_S5_NS_24const_host_device_scalarIT5_EEPKT3_S5_PKS7_SB_S5_SD_S8_SB_S5_SD_SB_S5_PS7_PS9_21rocsparse_index_base_SG_SG_SG_bbb
    .private_segment_fixed_size: 0
    .sgpr_count:     106
    .sgpr_spill_count: 4
    .symbol:         _ZN9rocsparseL51csrgemm_numeric_fill_block_per_row_multipass_kernelILj512ELj16ELj2048ELj32Eli21rocsparse_complex_numIfEEEvT4_PKS3_S5_NS_24const_host_device_scalarIT5_EEPKT3_S5_PKS7_SB_S5_SD_S8_SB_S5_SD_SB_S5_PS7_PS9_21rocsparse_index_base_SG_SG_SG_bbb.kd
    .uniform_work_group_size: 1
    .uses_dynamic_stack: false
    .vgpr_count:     44
    .vgpr_spill_count: 0
    .wavefront_size: 64
  - .agpr_count:     0
    .args:
      - .offset:         0
        .size:           4
        .value_kind:     by_value
      - .actual_access:  read_only
        .address_space:  global
        .offset:         8
        .size:           8
        .value_kind:     global_buffer
      - .actual_access:  read_only
        .address_space:  global
        .offset:         16
        .size:           8
        .value_kind:     global_buffer
      - .offset:         24
        .size:           8
        .value_kind:     by_value
      - .actual_access:  read_only
        .address_space:  global
        .offset:         32
        .size:           8
        .value_kind:     global_buffer
      - .actual_access:  read_only
        .address_space:  global
        .offset:         40
        .size:           8
        .value_kind:     global_buffer
      - .actual_access:  read_only
        .address_space:  global
        .offset:         48
        .size:           8
        .value_kind:     global_buffer
      - .actual_access:  read_only
        .address_space:  global
        .offset:         56
        .size:           8
        .value_kind:     global_buffer
      - .actual_access:  read_only
        .address_space:  global
        .offset:         64
        .size:           8
        .value_kind:     global_buffer
      - .actual_access:  read_only
        .address_space:  global
        .offset:         72
        .size:           8
        .value_kind:     global_buffer
      - .offset:         80
        .size:           8
        .value_kind:     by_value
      - .actual_access:  read_only
        .address_space:  global
        .offset:         88
        .size:           8
        .value_kind:     global_buffer
      - .actual_access:  read_only
        .address_space:  global
        .offset:         96
        .size:           8
        .value_kind:     global_buffer
      - .actual_access:  read_only
        .address_space:  global
        .offset:         104
        .size:           8
        .value_kind:     global_buffer
      - .actual_access:  read_only
        .address_space:  global
        .offset:         112
        .size:           8
        .value_kind:     global_buffer
      - .actual_access:  read_only
        .address_space:  global
        .offset:         120
        .size:           8
        .value_kind:     global_buffer
      - .actual_access:  write_only
        .address_space:  global
        .offset:         128
        .size:           8
        .value_kind:     global_buffer
      - .address_space:  global
        .offset:         136
        .size:           8
        .value_kind:     global_buffer
      - .offset:         144
        .size:           4
        .value_kind:     by_value
      - .offset:         148
        .size:           4
        .value_kind:     by_value
      - .offset:         152
        .size:           4
        .value_kind:     by_value
      - .offset:         156
        .size:           4
        .value_kind:     by_value
      - .offset:         160
        .size:           1
        .value_kind:     by_value
      - .offset:         161
        .size:           1
        .value_kind:     by_value
      - .offset:         162
        .size:           1
        .value_kind:     by_value
    .group_segment_fixed_size: 18436
    .kernarg_segment_align: 8
    .kernarg_segment_size: 164
    .language:       OpenCL C
    .language_version:
      - 2
      - 0
    .max_flat_workgroup_size: 512
    .name:           _ZN9rocsparseL51csrgemm_numeric_fill_block_per_row_multipass_kernelILj512ELj16ELj2048ELj64Eli21rocsparse_complex_numIfEEEvT4_PKS3_S5_NS_24const_host_device_scalarIT5_EEPKT3_S5_PKS7_SB_S5_SD_S8_SB_S5_SD_SB_S5_PS7_PS9_21rocsparse_index_base_SG_SG_SG_bbb
    .private_segment_fixed_size: 0
    .sgpr_count:     92
    .sgpr_spill_count: 0
    .symbol:         _ZN9rocsparseL51csrgemm_numeric_fill_block_per_row_multipass_kernelILj512ELj16ELj2048ELj64Eli21rocsparse_complex_numIfEEEvT4_PKS3_S5_NS_24const_host_device_scalarIT5_EEPKT3_S5_PKS7_SB_S5_SD_S8_SB_S5_SD_SB_S5_PS7_PS9_21rocsparse_index_base_SG_SG_SG_bbb.kd
    .uniform_work_group_size: 1
    .uses_dynamic_stack: false
    .vgpr_count:     41
    .vgpr_spill_count: 0
    .wavefront_size: 64
  - .agpr_count:     0
    .args:
      - .offset:         0
        .size:           4
        .value_kind:     by_value
      - .offset:         4
        .size:           4
        .value_kind:     by_value
      - .actual_access:  read_only
        .address_space:  global
        .offset:         8
        .size:           8
        .value_kind:     global_buffer
      - .actual_access:  read_only
        .address_space:  global
        .offset:         16
        .size:           8
        .value_kind:     global_buffer
      - .offset:         24
        .size:           16
        .value_kind:     by_value
      - .actual_access:  read_only
        .address_space:  global
        .offset:         40
        .size:           8
        .value_kind:     global_buffer
      - .actual_access:  read_only
        .address_space:  global
        .offset:         48
        .size:           8
        .value_kind:     global_buffer
      - .actual_access:  read_only
        .address_space:  global
        .offset:         56
        .size:           8
        .value_kind:     global_buffer
      - .actual_access:  read_only
        .address_space:  global
        .offset:         64
        .size:           8
        .value_kind:     global_buffer
      - .actual_access:  read_only
        .address_space:  global
        .offset:         72
        .size:           8
        .value_kind:     global_buffer
      - .actual_access:  read_only
        .address_space:  global
        .offset:         80
        .size:           8
        .value_kind:     global_buffer
      - .offset:         88
        .size:           16
        .value_kind:     by_value
      - .actual_access:  read_only
        .address_space:  global
        .offset:         104
        .size:           8
        .value_kind:     global_buffer
      - .actual_access:  read_only
        .address_space:  global
        .offset:         112
        .size:           8
        .value_kind:     global_buffer
      - .actual_access:  read_only
        .address_space:  global
        .offset:         120
        .size:           8
        .value_kind:     global_buffer
      - .actual_access:  read_only
        .address_space:  global
        .offset:         128
        .size:           8
        .value_kind:     global_buffer
      - .actual_access:  read_only
        .address_space:  global
        .offset:         136
        .size:           8
        .value_kind:     global_buffer
      - .actual_access:  write_only
        .address_space:  global
        .offset:         144
        .size:           8
        .value_kind:     global_buffer
      - .offset:         152
        .size:           4
        .value_kind:     by_value
      - .offset:         156
        .size:           4
        .value_kind:     by_value
      - .offset:         160
        .size:           4
        .value_kind:     by_value
      - .offset:         164
        .size:           4
        .value_kind:     by_value
      - .offset:         168
        .size:           1
        .value_kind:     by_value
      - .offset:         169
        .size:           1
        .value_kind:     by_value
      - .offset:         170
        .size:           1
        .value_kind:     by_value
    .group_segment_fixed_size: 10240
    .kernarg_segment_align: 8
    .kernarg_segment_size: 172
    .language:       OpenCL C
    .language_version:
      - 2
      - 0
    .max_flat_workgroup_size: 256
    .name:           _ZN9rocsparseL38csrgemm_numeric_fill_wf_per_row_kernelILj256ELj8ELj16ELj137Eli21rocsparse_complex_numIdEEEvT4_S3_PKS3_S5_NS_24const_host_device_scalarIT5_EEPKT3_S5_PKS7_SB_S5_SD_S8_SB_S5_SD_SB_S5_PS7_21rocsparse_index_base_SF_SF_SF_bbb
    .private_segment_fixed_size: 24
    .sgpr_count:     56
    .sgpr_spill_count: 0
    .symbol:         _ZN9rocsparseL38csrgemm_numeric_fill_wf_per_row_kernelILj256ELj8ELj16ELj137Eli21rocsparse_complex_numIdEEEvT4_S3_PKS3_S5_NS_24const_host_device_scalarIT5_EEPKT3_S5_PKS7_SB_S5_SD_S8_SB_S5_SD_SB_S5_PS7_21rocsparse_index_base_SF_SF_SF_bbb.kd
    .uniform_work_group_size: 1
    .uses_dynamic_stack: false
    .vgpr_count:     36
    .vgpr_spill_count: 0
    .wavefront_size: 64
  - .agpr_count:     0
    .args:
      - .offset:         0
        .size:           4
        .value_kind:     by_value
      - .offset:         4
        .size:           4
        .value_kind:     by_value
      - .actual_access:  read_only
        .address_space:  global
        .offset:         8
        .size:           8
        .value_kind:     global_buffer
      - .actual_access:  read_only
        .address_space:  global
        .offset:         16
        .size:           8
        .value_kind:     global_buffer
      - .offset:         24
        .size:           16
        .value_kind:     by_value
      - .actual_access:  read_only
        .address_space:  global
        .offset:         40
        .size:           8
        .value_kind:     global_buffer
      - .actual_access:  read_only
        .address_space:  global
        .offset:         48
        .size:           8
        .value_kind:     global_buffer
      - .actual_access:  read_only
        .address_space:  global
        .offset:         56
        .size:           8
        .value_kind:     global_buffer
      - .actual_access:  read_only
        .address_space:  global
        .offset:         64
        .size:           8
        .value_kind:     global_buffer
      - .actual_access:  read_only
        .address_space:  global
        .offset:         72
        .size:           8
        .value_kind:     global_buffer
      - .actual_access:  read_only
        .address_space:  global
        .offset:         80
        .size:           8
        .value_kind:     global_buffer
      - .offset:         88
        .size:           16
        .value_kind:     by_value
      - .actual_access:  read_only
        .address_space:  global
        .offset:         104
        .size:           8
        .value_kind:     global_buffer
      - .actual_access:  read_only
        .address_space:  global
        .offset:         112
        .size:           8
        .value_kind:     global_buffer
      - .actual_access:  read_only
        .address_space:  global
        .offset:         120
        .size:           8
        .value_kind:     global_buffer
      - .actual_access:  read_only
        .address_space:  global
        .offset:         128
        .size:           8
        .value_kind:     global_buffer
      - .actual_access:  read_only
        .address_space:  global
        .offset:         136
        .size:           8
        .value_kind:     global_buffer
      - .actual_access:  write_only
        .address_space:  global
        .offset:         144
        .size:           8
        .value_kind:     global_buffer
      - .offset:         152
        .size:           4
        .value_kind:     by_value
      - .offset:         156
        .size:           4
        .value_kind:     by_value
      - .offset:         160
        .size:           4
        .value_kind:     by_value
      - .offset:         164
        .size:           4
        .value_kind:     by_value
      - .offset:         168
        .size:           1
        .value_kind:     by_value
      - .offset:         169
        .size:           1
        .value_kind:     by_value
      - .offset:         170
        .size:           1
        .value_kind:     by_value
    .group_segment_fixed_size: 10240
    .kernarg_segment_align: 8
    .kernarg_segment_size: 172
    .language:       OpenCL C
    .language_version:
      - 2
      - 0
    .max_flat_workgroup_size: 256
    .name:           _ZN9rocsparseL38csrgemm_numeric_fill_wf_per_row_kernelILj256ELj16ELj32ELj137Eli21rocsparse_complex_numIdEEEvT4_S3_PKS3_S5_NS_24const_host_device_scalarIT5_EEPKT3_S5_PKS7_SB_S5_SD_S8_SB_S5_SD_SB_S5_PS7_21rocsparse_index_base_SF_SF_SF_bbb
    .private_segment_fixed_size: 24
    .sgpr_count:     56
    .sgpr_spill_count: 0
    .symbol:         _ZN9rocsparseL38csrgemm_numeric_fill_wf_per_row_kernelILj256ELj16ELj32ELj137Eli21rocsparse_complex_numIdEEEvT4_S3_PKS3_S5_NS_24const_host_device_scalarIT5_EEPKT3_S5_PKS7_SB_S5_SD_S8_SB_S5_SD_SB_S5_PS7_21rocsparse_index_base_SF_SF_SF_bbb.kd
    .uniform_work_group_size: 1
    .uses_dynamic_stack: false
    .vgpr_count:     44
    .vgpr_spill_count: 0
    .wavefront_size: 64
  - .agpr_count:     0
    .args:
      - .offset:         0
        .size:           4
        .value_kind:     by_value
      - .actual_access:  read_only
        .address_space:  global
        .offset:         8
        .size:           8
        .value_kind:     global_buffer
      - .actual_access:  read_only
        .address_space:  global
        .offset:         16
        .size:           8
        .value_kind:     global_buffer
      - .offset:         24
        .size:           16
        .value_kind:     by_value
      - .actual_access:  read_only
        .address_space:  global
        .offset:         40
        .size:           8
        .value_kind:     global_buffer
      - .actual_access:  read_only
        .address_space:  global
        .offset:         48
        .size:           8
        .value_kind:     global_buffer
      - .actual_access:  read_only
        .address_space:  global
        .offset:         56
        .size:           8
        .value_kind:     global_buffer
      - .actual_access:  read_only
        .address_space:  global
        .offset:         64
        .size:           8
        .value_kind:     global_buffer
      - .actual_access:  read_only
        .address_space:  global
        .offset:         72
        .size:           8
        .value_kind:     global_buffer
      - .actual_access:  read_only
        .address_space:  global
        .offset:         80
        .size:           8
        .value_kind:     global_buffer
      - .offset:         88
        .size:           16
        .value_kind:     by_value
      - .actual_access:  read_only
        .address_space:  global
        .offset:         104
        .size:           8
        .value_kind:     global_buffer
      - .actual_access:  read_only
        .address_space:  global
        .offset:         112
        .size:           8
        .value_kind:     global_buffer
      - .actual_access:  read_only
        .address_space:  global
        .offset:         120
        .size:           8
        .value_kind:     global_buffer
      - .actual_access:  read_only
        .address_space:  global
        .offset:         128
        .size:           8
        .value_kind:     global_buffer
      - .actual_access:  read_only
        .address_space:  global
        .offset:         136
        .size:           8
        .value_kind:     global_buffer
      - .actual_access:  write_only
        .address_space:  global
        .offset:         144
        .size:           8
        .value_kind:     global_buffer
      - .offset:         152
        .size:           4
        .value_kind:     by_value
      - .offset:         156
        .size:           4
        .value_kind:     by_value
      - .offset:         160
        .size:           4
        .value_kind:     by_value
      - .offset:         164
        .size:           4
        .value_kind:     by_value
      - .offset:         168
        .size:           1
        .value_kind:     by_value
      - .offset:         169
        .size:           1
        .value_kind:     by_value
      - .offset:         170
        .size:           1
        .value_kind:     by_value
    .group_segment_fixed_size: 0
    .kernarg_segment_align: 8
    .kernarg_segment_size: 172
    .language:       OpenCL C
    .language_version:
      - 2
      - 0
    .max_flat_workgroup_size: 128
    .name:           _ZN9rocsparseL41csrgemm_numeric_fill_block_per_row_kernelILj128ELj16ELj256ELj137ELj32Eli21rocsparse_complex_numIdEEEvT5_PKS3_S5_NS_24const_host_device_scalarIT6_EEPKT4_S5_PKS7_SB_S5_SD_S8_SB_S5_SD_SB_S5_PS7_21rocsparse_index_base_SF_SF_SF_bbb
    .private_segment_fixed_size: 40
    .sgpr_count:     59
    .sgpr_spill_count: 0
    .symbol:         _ZN9rocsparseL41csrgemm_numeric_fill_block_per_row_kernelILj128ELj16ELj256ELj137ELj32Eli21rocsparse_complex_numIdEEEvT5_PKS3_S5_NS_24const_host_device_scalarIT6_EEPKT4_S5_PKS7_SB_S5_SD_S8_SB_S5_SD_SB_S5_PS7_21rocsparse_index_base_SF_SF_SF_bbb.kd
    .uniform_work_group_size: 1
    .uses_dynamic_stack: false
    .vgpr_count:     31
    .vgpr_spill_count: 0
    .wavefront_size: 64
  - .agpr_count:     0
    .args:
      - .offset:         0
        .size:           4
        .value_kind:     by_value
      - .actual_access:  read_only
        .address_space:  global
        .offset:         8
        .size:           8
        .value_kind:     global_buffer
      - .actual_access:  read_only
        .address_space:  global
        .offset:         16
        .size:           8
        .value_kind:     global_buffer
      - .offset:         24
        .size:           16
        .value_kind:     by_value
      - .actual_access:  read_only
        .address_space:  global
        .offset:         40
        .size:           8
        .value_kind:     global_buffer
      - .actual_access:  read_only
        .address_space:  global
        .offset:         48
        .size:           8
        .value_kind:     global_buffer
      - .actual_access:  read_only
        .address_space:  global
        .offset:         56
        .size:           8
        .value_kind:     global_buffer
      - .actual_access:  read_only
        .address_space:  global
        .offset:         64
        .size:           8
        .value_kind:     global_buffer
      - .actual_access:  read_only
        .address_space:  global
        .offset:         72
        .size:           8
        .value_kind:     global_buffer
      - .actual_access:  read_only
        .address_space:  global
        .offset:         80
        .size:           8
        .value_kind:     global_buffer
      - .offset:         88
        .size:           16
        .value_kind:     by_value
      - .actual_access:  read_only
        .address_space:  global
        .offset:         104
        .size:           8
        .value_kind:     global_buffer
      - .actual_access:  read_only
        .address_space:  global
        .offset:         112
        .size:           8
        .value_kind:     global_buffer
      - .actual_access:  read_only
        .address_space:  global
        .offset:         120
        .size:           8
        .value_kind:     global_buffer
      - .actual_access:  read_only
        .address_space:  global
        .offset:         128
        .size:           8
        .value_kind:     global_buffer
      - .actual_access:  read_only
        .address_space:  global
        .offset:         136
        .size:           8
        .value_kind:     global_buffer
      - .actual_access:  write_only
        .address_space:  global
        .offset:         144
        .size:           8
        .value_kind:     global_buffer
      - .offset:         152
        .size:           4
        .value_kind:     by_value
      - .offset:         156
        .size:           4
        .value_kind:     by_value
      - .offset:         160
        .size:           4
        .value_kind:     by_value
      - .offset:         164
        .size:           4
        .value_kind:     by_value
      - .offset:         168
        .size:           1
        .value_kind:     by_value
      - .offset:         169
        .size:           1
        .value_kind:     by_value
      - .offset:         170
        .size:           1
        .value_kind:     by_value
    .group_segment_fixed_size: 0
    .kernarg_segment_align: 8
    .kernarg_segment_size: 172
    .language:       OpenCL C
    .language_version:
      - 2
      - 0
    .max_flat_workgroup_size: 128
    .name:           _ZN9rocsparseL41csrgemm_numeric_fill_block_per_row_kernelILj128ELj16ELj256ELj137ELj64Eli21rocsparse_complex_numIdEEEvT5_PKS3_S5_NS_24const_host_device_scalarIT6_EEPKT4_S5_PKS7_SB_S5_SD_S8_SB_S5_SD_SB_S5_PS7_21rocsparse_index_base_SF_SF_SF_bbb
    .private_segment_fixed_size: 40
    .sgpr_count:     59
    .sgpr_spill_count: 0
    .symbol:         _ZN9rocsparseL41csrgemm_numeric_fill_block_per_row_kernelILj128ELj16ELj256ELj137ELj64Eli21rocsparse_complex_numIdEEEvT5_PKS3_S5_NS_24const_host_device_scalarIT6_EEPKT4_S5_PKS7_SB_S5_SD_S8_SB_S5_SD_SB_S5_PS7_21rocsparse_index_base_SF_SF_SF_bbb.kd
    .uniform_work_group_size: 1
    .uses_dynamic_stack: false
    .vgpr_count:     32
    .vgpr_spill_count: 0
    .wavefront_size: 64
  - .agpr_count:     0
    .args:
      - .offset:         0
        .size:           4
        .value_kind:     by_value
      - .actual_access:  read_only
        .address_space:  global
        .offset:         8
        .size:           8
        .value_kind:     global_buffer
      - .actual_access:  read_only
        .address_space:  global
        .offset:         16
        .size:           8
        .value_kind:     global_buffer
      - .offset:         24
        .size:           16
        .value_kind:     by_value
      - .actual_access:  read_only
        .address_space:  global
        .offset:         40
        .size:           8
        .value_kind:     global_buffer
      - .actual_access:  read_only
        .address_space:  global
        .offset:         48
        .size:           8
        .value_kind:     global_buffer
      - .actual_access:  read_only
        .address_space:  global
        .offset:         56
        .size:           8
        .value_kind:     global_buffer
      - .actual_access:  read_only
        .address_space:  global
        .offset:         64
        .size:           8
        .value_kind:     global_buffer
      - .actual_access:  read_only
        .address_space:  global
        .offset:         72
        .size:           8
        .value_kind:     global_buffer
      - .actual_access:  read_only
        .address_space:  global
        .offset:         80
        .size:           8
        .value_kind:     global_buffer
      - .offset:         88
        .size:           16
        .value_kind:     by_value
      - .actual_access:  read_only
        .address_space:  global
        .offset:         104
        .size:           8
        .value_kind:     global_buffer
      - .actual_access:  read_only
        .address_space:  global
        .offset:         112
        .size:           8
        .value_kind:     global_buffer
      - .actual_access:  read_only
        .address_space:  global
        .offset:         120
        .size:           8
        .value_kind:     global_buffer
      - .actual_access:  read_only
        .address_space:  global
        .offset:         128
        .size:           8
        .value_kind:     global_buffer
      - .actual_access:  read_only
        .address_space:  global
        .offset:         136
        .size:           8
        .value_kind:     global_buffer
      - .actual_access:  write_only
        .address_space:  global
        .offset:         144
        .size:           8
        .value_kind:     global_buffer
      - .offset:         152
        .size:           4
        .value_kind:     by_value
      - .offset:         156
        .size:           4
        .value_kind:     by_value
      - .offset:         160
        .size:           4
        .value_kind:     by_value
      - .offset:         164
        .size:           4
        .value_kind:     by_value
      - .offset:         168
        .size:           1
        .value_kind:     by_value
      - .offset:         169
        .size:           1
        .value_kind:     by_value
      - .offset:         170
        .size:           1
        .value_kind:     by_value
    .group_segment_fixed_size: 0
    .kernarg_segment_align: 8
    .kernarg_segment_size: 172
    .language:       OpenCL C
    .language_version:
      - 2
      - 0
    .max_flat_workgroup_size: 256
    .name:           _ZN9rocsparseL41csrgemm_numeric_fill_block_per_row_kernelILj256ELj32ELj512ELj137ELj32Eli21rocsparse_complex_numIdEEEvT5_PKS3_S5_NS_24const_host_device_scalarIT6_EEPKT4_S5_PKS7_SB_S5_SD_S8_SB_S5_SD_SB_S5_PS7_21rocsparse_index_base_SF_SF_SF_bbb
    .private_segment_fixed_size: 40
    .sgpr_count:     59
    .sgpr_spill_count: 0
    .symbol:         _ZN9rocsparseL41csrgemm_numeric_fill_block_per_row_kernelILj256ELj32ELj512ELj137ELj32Eli21rocsparse_complex_numIdEEEvT5_PKS3_S5_NS_24const_host_device_scalarIT6_EEPKT4_S5_PKS7_SB_S5_SD_S8_SB_S5_SD_SB_S5_PS7_21rocsparse_index_base_SF_SF_SF_bbb.kd
    .uniform_work_group_size: 1
    .uses_dynamic_stack: false
    .vgpr_count:     32
    .vgpr_spill_count: 0
    .wavefront_size: 64
  - .agpr_count:     0
    .args:
      - .offset:         0
        .size:           4
        .value_kind:     by_value
      - .actual_access:  read_only
        .address_space:  global
        .offset:         8
        .size:           8
        .value_kind:     global_buffer
      - .actual_access:  read_only
        .address_space:  global
        .offset:         16
        .size:           8
        .value_kind:     global_buffer
      - .offset:         24
        .size:           16
        .value_kind:     by_value
      - .actual_access:  read_only
        .address_space:  global
        .offset:         40
        .size:           8
        .value_kind:     global_buffer
      - .actual_access:  read_only
        .address_space:  global
        .offset:         48
        .size:           8
        .value_kind:     global_buffer
      - .actual_access:  read_only
        .address_space:  global
        .offset:         56
        .size:           8
        .value_kind:     global_buffer
      - .actual_access:  read_only
        .address_space:  global
        .offset:         64
        .size:           8
        .value_kind:     global_buffer
      - .actual_access:  read_only
        .address_space:  global
        .offset:         72
        .size:           8
        .value_kind:     global_buffer
      - .actual_access:  read_only
        .address_space:  global
        .offset:         80
        .size:           8
        .value_kind:     global_buffer
      - .offset:         88
        .size:           16
        .value_kind:     by_value
      - .actual_access:  read_only
        .address_space:  global
        .offset:         104
        .size:           8
        .value_kind:     global_buffer
      - .actual_access:  read_only
        .address_space:  global
        .offset:         112
        .size:           8
        .value_kind:     global_buffer
      - .actual_access:  read_only
        .address_space:  global
        .offset:         120
        .size:           8
        .value_kind:     global_buffer
      - .actual_access:  read_only
        .address_space:  global
        .offset:         128
        .size:           8
        .value_kind:     global_buffer
      - .actual_access:  read_only
        .address_space:  global
        .offset:         136
        .size:           8
        .value_kind:     global_buffer
      - .actual_access:  write_only
        .address_space:  global
        .offset:         144
        .size:           8
        .value_kind:     global_buffer
      - .offset:         152
        .size:           4
        .value_kind:     by_value
      - .offset:         156
        .size:           4
        .value_kind:     by_value
      - .offset:         160
        .size:           4
        .value_kind:     by_value
      - .offset:         164
        .size:           4
        .value_kind:     by_value
      - .offset:         168
        .size:           1
        .value_kind:     by_value
      - .offset:         169
        .size:           1
        .value_kind:     by_value
      - .offset:         170
        .size:           1
        .value_kind:     by_value
    .group_segment_fixed_size: 0
    .kernarg_segment_align: 8
    .kernarg_segment_size: 172
    .language:       OpenCL C
    .language_version:
      - 2
      - 0
    .max_flat_workgroup_size: 256
    .name:           _ZN9rocsparseL41csrgemm_numeric_fill_block_per_row_kernelILj256ELj32ELj512ELj137ELj64Eli21rocsparse_complex_numIdEEEvT5_PKS3_S5_NS_24const_host_device_scalarIT6_EEPKT4_S5_PKS7_SB_S5_SD_S8_SB_S5_SD_SB_S5_PS7_21rocsparse_index_base_SF_SF_SF_bbb
    .private_segment_fixed_size: 40
    .sgpr_count:     59
    .sgpr_spill_count: 0
    .symbol:         _ZN9rocsparseL41csrgemm_numeric_fill_block_per_row_kernelILj256ELj32ELj512ELj137ELj64Eli21rocsparse_complex_numIdEEEvT5_PKS3_S5_NS_24const_host_device_scalarIT6_EEPKT4_S5_PKS7_SB_S5_SD_S8_SB_S5_SD_SB_S5_PS7_21rocsparse_index_base_SF_SF_SF_bbb.kd
    .uniform_work_group_size: 1
    .uses_dynamic_stack: false
    .vgpr_count:     31
    .vgpr_spill_count: 0
    .wavefront_size: 64
  - .agpr_count:     0
    .args:
      - .offset:         0
        .size:           4
        .value_kind:     by_value
      - .actual_access:  read_only
        .address_space:  global
        .offset:         8
        .size:           8
        .value_kind:     global_buffer
      - .actual_access:  read_only
        .address_space:  global
        .offset:         16
        .size:           8
        .value_kind:     global_buffer
      - .offset:         24
        .size:           16
        .value_kind:     by_value
      - .actual_access:  read_only
        .address_space:  global
        .offset:         40
        .size:           8
        .value_kind:     global_buffer
      - .actual_access:  read_only
        .address_space:  global
        .offset:         48
        .size:           8
        .value_kind:     global_buffer
      - .actual_access:  read_only
        .address_space:  global
        .offset:         56
        .size:           8
        .value_kind:     global_buffer
      - .actual_access:  read_only
        .address_space:  global
        .offset:         64
        .size:           8
        .value_kind:     global_buffer
      - .actual_access:  read_only
        .address_space:  global
        .offset:         72
        .size:           8
        .value_kind:     global_buffer
      - .actual_access:  read_only
        .address_space:  global
        .offset:         80
        .size:           8
        .value_kind:     global_buffer
      - .offset:         88
        .size:           16
        .value_kind:     by_value
      - .actual_access:  read_only
        .address_space:  global
        .offset:         104
        .size:           8
        .value_kind:     global_buffer
      - .actual_access:  read_only
        .address_space:  global
        .offset:         112
        .size:           8
        .value_kind:     global_buffer
      - .actual_access:  read_only
        .address_space:  global
        .offset:         120
        .size:           8
        .value_kind:     global_buffer
      - .actual_access:  read_only
        .address_space:  global
        .offset:         128
        .size:           8
        .value_kind:     global_buffer
      - .actual_access:  read_only
        .address_space:  global
        .offset:         136
        .size:           8
        .value_kind:     global_buffer
      - .actual_access:  write_only
        .address_space:  global
        .offset:         144
        .size:           8
        .value_kind:     global_buffer
      - .offset:         152
        .size:           4
        .value_kind:     by_value
      - .offset:         156
        .size:           4
        .value_kind:     by_value
      - .offset:         160
        .size:           4
        .value_kind:     by_value
      - .offset:         164
        .size:           4
        .value_kind:     by_value
      - .offset:         168
        .size:           1
        .value_kind:     by_value
      - .offset:         169
        .size:           1
        .value_kind:     by_value
      - .offset:         170
        .size:           1
        .value_kind:     by_value
    .group_segment_fixed_size: 0
    .kernarg_segment_align: 8
    .kernarg_segment_size: 172
    .language:       OpenCL C
    .language_version:
      - 2
      - 0
    .max_flat_workgroup_size: 512
    .name:           _ZN9rocsparseL41csrgemm_numeric_fill_block_per_row_kernelILj512ELj32ELj1024ELj137ELj32Eli21rocsparse_complex_numIdEEEvT5_PKS3_S5_NS_24const_host_device_scalarIT6_EEPKT4_S5_PKS7_SB_S5_SD_S8_SB_S5_SD_SB_S5_PS7_21rocsparse_index_base_SF_SF_SF_bbb
    .private_segment_fixed_size: 40
    .sgpr_count:     57
    .sgpr_spill_count: 0
    .symbol:         _ZN9rocsparseL41csrgemm_numeric_fill_block_per_row_kernelILj512ELj32ELj1024ELj137ELj32Eli21rocsparse_complex_numIdEEEvT5_PKS3_S5_NS_24const_host_device_scalarIT6_EEPKT4_S5_PKS7_SB_S5_SD_S8_SB_S5_SD_SB_S5_PS7_21rocsparse_index_base_SF_SF_SF_bbb.kd
    .uniform_work_group_size: 1
    .uses_dynamic_stack: false
    .vgpr_count:     33
    .vgpr_spill_count: 0
    .wavefront_size: 64
  - .agpr_count:     0
    .args:
      - .offset:         0
        .size:           4
        .value_kind:     by_value
      - .actual_access:  read_only
        .address_space:  global
        .offset:         8
        .size:           8
        .value_kind:     global_buffer
      - .actual_access:  read_only
        .address_space:  global
        .offset:         16
        .size:           8
        .value_kind:     global_buffer
      - .offset:         24
        .size:           16
        .value_kind:     by_value
      - .actual_access:  read_only
        .address_space:  global
        .offset:         40
        .size:           8
        .value_kind:     global_buffer
      - .actual_access:  read_only
        .address_space:  global
        .offset:         48
        .size:           8
        .value_kind:     global_buffer
      - .actual_access:  read_only
        .address_space:  global
        .offset:         56
        .size:           8
        .value_kind:     global_buffer
      - .actual_access:  read_only
        .address_space:  global
        .offset:         64
        .size:           8
        .value_kind:     global_buffer
      - .actual_access:  read_only
        .address_space:  global
        .offset:         72
        .size:           8
        .value_kind:     global_buffer
      - .actual_access:  read_only
        .address_space:  global
        .offset:         80
        .size:           8
        .value_kind:     global_buffer
      - .offset:         88
        .size:           16
        .value_kind:     by_value
      - .actual_access:  read_only
        .address_space:  global
        .offset:         104
        .size:           8
        .value_kind:     global_buffer
      - .actual_access:  read_only
        .address_space:  global
        .offset:         112
        .size:           8
        .value_kind:     global_buffer
      - .actual_access:  read_only
        .address_space:  global
        .offset:         120
        .size:           8
        .value_kind:     global_buffer
      - .actual_access:  read_only
        .address_space:  global
        .offset:         128
        .size:           8
        .value_kind:     global_buffer
      - .actual_access:  read_only
        .address_space:  global
        .offset:         136
        .size:           8
        .value_kind:     global_buffer
      - .actual_access:  write_only
        .address_space:  global
        .offset:         144
        .size:           8
        .value_kind:     global_buffer
      - .offset:         152
        .size:           4
        .value_kind:     by_value
      - .offset:         156
        .size:           4
        .value_kind:     by_value
      - .offset:         160
        .size:           4
        .value_kind:     by_value
      - .offset:         164
        .size:           4
        .value_kind:     by_value
      - .offset:         168
        .size:           1
        .value_kind:     by_value
      - .offset:         169
        .size:           1
        .value_kind:     by_value
      - .offset:         170
        .size:           1
        .value_kind:     by_value
    .group_segment_fixed_size: 0
    .kernarg_segment_align: 8
    .kernarg_segment_size: 172
    .language:       OpenCL C
    .language_version:
      - 2
      - 0
    .max_flat_workgroup_size: 512
    .name:           _ZN9rocsparseL41csrgemm_numeric_fill_block_per_row_kernelILj512ELj32ELj1024ELj137ELj64Eli21rocsparse_complex_numIdEEEvT5_PKS3_S5_NS_24const_host_device_scalarIT6_EEPKT4_S5_PKS7_SB_S5_SD_S8_SB_S5_SD_SB_S5_PS7_21rocsparse_index_base_SF_SF_SF_bbb
    .private_segment_fixed_size: 40
    .sgpr_count:     57
    .sgpr_spill_count: 0
    .symbol:         _ZN9rocsparseL41csrgemm_numeric_fill_block_per_row_kernelILj512ELj32ELj1024ELj137ELj64Eli21rocsparse_complex_numIdEEEvT5_PKS3_S5_NS_24const_host_device_scalarIT6_EEPKT4_S5_PKS7_SB_S5_SD_S8_SB_S5_SD_SB_S5_PS7_21rocsparse_index_base_SF_SF_SF_bbb.kd
    .uniform_work_group_size: 1
    .uses_dynamic_stack: false
    .vgpr_count:     32
    .vgpr_spill_count: 0
    .wavefront_size: 64
  - .agpr_count:     0
    .args:
      - .offset:         0
        .size:           4
        .value_kind:     by_value
      - .actual_access:  read_only
        .address_space:  global
        .offset:         8
        .size:           8
        .value_kind:     global_buffer
      - .actual_access:  read_only
        .address_space:  global
        .offset:         16
        .size:           8
        .value_kind:     global_buffer
      - .offset:         24
        .size:           16
        .value_kind:     by_value
      - .actual_access:  read_only
        .address_space:  global
        .offset:         40
        .size:           8
        .value_kind:     global_buffer
      - .actual_access:  read_only
        .address_space:  global
        .offset:         48
        .size:           8
        .value_kind:     global_buffer
      - .actual_access:  read_only
        .address_space:  global
        .offset:         56
        .size:           8
        .value_kind:     global_buffer
      - .actual_access:  read_only
        .address_space:  global
        .offset:         64
        .size:           8
        .value_kind:     global_buffer
      - .actual_access:  read_only
        .address_space:  global
        .offset:         72
        .size:           8
        .value_kind:     global_buffer
      - .actual_access:  read_only
        .address_space:  global
        .offset:         80
        .size:           8
        .value_kind:     global_buffer
      - .offset:         88
        .size:           16
        .value_kind:     by_value
      - .actual_access:  read_only
        .address_space:  global
        .offset:         104
        .size:           8
        .value_kind:     global_buffer
      - .actual_access:  read_only
        .address_space:  global
        .offset:         112
        .size:           8
        .value_kind:     global_buffer
      - .actual_access:  read_only
        .address_space:  global
        .offset:         120
        .size:           8
        .value_kind:     global_buffer
      - .actual_access:  read_only
        .address_space:  global
        .offset:         128
        .size:           8
        .value_kind:     global_buffer
      - .actual_access:  read_only
        .address_space:  global
        .offset:         136
        .size:           8
        .value_kind:     global_buffer
      - .actual_access:  write_only
        .address_space:  global
        .offset:         144
        .size:           8
        .value_kind:     global_buffer
      - .offset:         152
        .size:           4
        .value_kind:     by_value
      - .offset:         156
        .size:           4
        .value_kind:     by_value
      - .offset:         160
        .size:           4
        .value_kind:     by_value
      - .offset:         164
        .size:           4
        .value_kind:     by_value
      - .offset:         168
        .size:           1
        .value_kind:     by_value
      - .offset:         169
        .size:           1
        .value_kind:     by_value
      - .offset:         170
        .size:           1
        .value_kind:     by_value
    .group_segment_fixed_size: 0
    .kernarg_segment_align: 8
    .kernarg_segment_size: 172
    .language:       OpenCL C
    .language_version:
      - 2
      - 0
    .max_flat_workgroup_size: 1024
    .name:           _ZN9rocsparseL41csrgemm_numeric_fill_block_per_row_kernelILj1024ELj32ELj2048ELj137ELj32Eli21rocsparse_complex_numIdEEEvT5_PKS3_S5_NS_24const_host_device_scalarIT6_EEPKT4_S5_PKS7_SB_S5_SD_S8_SB_S5_SD_SB_S5_PS7_21rocsparse_index_base_SF_SF_SF_bbb
    .private_segment_fixed_size: 40
    .sgpr_count:     84
    .sgpr_spill_count: 0
    .symbol:         _ZN9rocsparseL41csrgemm_numeric_fill_block_per_row_kernelILj1024ELj32ELj2048ELj137ELj32Eli21rocsparse_complex_numIdEEEvT5_PKS3_S5_NS_24const_host_device_scalarIT6_EEPKT4_S5_PKS7_SB_S5_SD_S8_SB_S5_SD_SB_S5_PS7_21rocsparse_index_base_SF_SF_SF_bbb.kd
    .uniform_work_group_size: 1
    .uses_dynamic_stack: false
    .vgpr_count:     33
    .vgpr_spill_count: 0
    .wavefront_size: 64
  - .agpr_count:     0
    .args:
      - .offset:         0
        .size:           4
        .value_kind:     by_value
      - .actual_access:  read_only
        .address_space:  global
        .offset:         8
        .size:           8
        .value_kind:     global_buffer
      - .actual_access:  read_only
        .address_space:  global
        .offset:         16
        .size:           8
        .value_kind:     global_buffer
      - .offset:         24
        .size:           16
        .value_kind:     by_value
      - .actual_access:  read_only
        .address_space:  global
        .offset:         40
        .size:           8
        .value_kind:     global_buffer
      - .actual_access:  read_only
        .address_space:  global
        .offset:         48
        .size:           8
        .value_kind:     global_buffer
      - .actual_access:  read_only
        .address_space:  global
        .offset:         56
        .size:           8
        .value_kind:     global_buffer
      - .actual_access:  read_only
        .address_space:  global
        .offset:         64
        .size:           8
        .value_kind:     global_buffer
      - .actual_access:  read_only
        .address_space:  global
        .offset:         72
        .size:           8
        .value_kind:     global_buffer
      - .actual_access:  read_only
        .address_space:  global
        .offset:         80
        .size:           8
        .value_kind:     global_buffer
      - .offset:         88
        .size:           16
        .value_kind:     by_value
      - .actual_access:  read_only
        .address_space:  global
        .offset:         104
        .size:           8
        .value_kind:     global_buffer
      - .actual_access:  read_only
        .address_space:  global
        .offset:         112
        .size:           8
        .value_kind:     global_buffer
      - .actual_access:  read_only
        .address_space:  global
        .offset:         120
        .size:           8
        .value_kind:     global_buffer
      - .actual_access:  read_only
        .address_space:  global
        .offset:         128
        .size:           8
        .value_kind:     global_buffer
      - .actual_access:  read_only
        .address_space:  global
        .offset:         136
        .size:           8
        .value_kind:     global_buffer
      - .actual_access:  write_only
        .address_space:  global
        .offset:         144
        .size:           8
        .value_kind:     global_buffer
      - .offset:         152
        .size:           4
        .value_kind:     by_value
      - .offset:         156
        .size:           4
        .value_kind:     by_value
      - .offset:         160
        .size:           4
        .value_kind:     by_value
      - .offset:         164
        .size:           4
        .value_kind:     by_value
      - .offset:         168
        .size:           1
        .value_kind:     by_value
      - .offset:         169
        .size:           1
        .value_kind:     by_value
      - .offset:         170
        .size:           1
        .value_kind:     by_value
    .group_segment_fixed_size: 0
    .kernarg_segment_align: 8
    .kernarg_segment_size: 172
    .language:       OpenCL C
    .language_version:
      - 2
      - 0
    .max_flat_workgroup_size: 1024
    .name:           _ZN9rocsparseL41csrgemm_numeric_fill_block_per_row_kernelILj1024ELj32ELj2048ELj137ELj64Eli21rocsparse_complex_numIdEEEvT5_PKS3_S5_NS_24const_host_device_scalarIT6_EEPKT4_S5_PKS7_SB_S5_SD_S8_SB_S5_SD_SB_S5_PS7_21rocsparse_index_base_SF_SF_SF_bbb
    .private_segment_fixed_size: 40
    .sgpr_count:     57
    .sgpr_spill_count: 0
    .symbol:         _ZN9rocsparseL41csrgemm_numeric_fill_block_per_row_kernelILj1024ELj32ELj2048ELj137ELj64Eli21rocsparse_complex_numIdEEEvT5_PKS3_S5_NS_24const_host_device_scalarIT6_EEPKT4_S5_PKS7_SB_S5_SD_S8_SB_S5_SD_SB_S5_PS7_21rocsparse_index_base_SF_SF_SF_bbb.kd
    .uniform_work_group_size: 1
    .uses_dynamic_stack: false
    .vgpr_count:     32
    .vgpr_spill_count: 0
    .wavefront_size: 64
  - .agpr_count:     0
    .args:
      - .offset:         0
        .size:           4
        .value_kind:     by_value
      - .actual_access:  read_only
        .address_space:  global
        .offset:         8
        .size:           8
        .value_kind:     global_buffer
      - .actual_access:  read_only
        .address_space:  global
        .offset:         16
        .size:           8
        .value_kind:     global_buffer
      - .offset:         24
        .size:           16
        .value_kind:     by_value
      - .actual_access:  read_only
        .address_space:  global
        .offset:         40
        .size:           8
        .value_kind:     global_buffer
      - .actual_access:  read_only
        .address_space:  global
        .offset:         48
        .size:           8
        .value_kind:     global_buffer
      - .actual_access:  read_only
        .address_space:  global
        .offset:         56
        .size:           8
        .value_kind:     global_buffer
      - .actual_access:  read_only
        .address_space:  global
        .offset:         64
        .size:           8
        .value_kind:     global_buffer
      - .actual_access:  read_only
        .address_space:  global
        .offset:         72
        .size:           8
        .value_kind:     global_buffer
      - .actual_access:  read_only
        .address_space:  global
        .offset:         80
        .size:           8
        .value_kind:     global_buffer
      - .offset:         88
        .size:           16
        .value_kind:     by_value
      - .actual_access:  read_only
        .address_space:  global
        .offset:         104
        .size:           8
        .value_kind:     global_buffer
      - .actual_access:  read_only
        .address_space:  global
        .offset:         112
        .size:           8
        .value_kind:     global_buffer
      - .actual_access:  read_only
        .address_space:  global
        .offset:         120
        .size:           8
        .value_kind:     global_buffer
      - .actual_access:  read_only
        .address_space:  global
        .offset:         128
        .size:           8
        .value_kind:     global_buffer
      - .actual_access:  read_only
        .address_space:  global
        .offset:         136
        .size:           8
        .value_kind:     global_buffer
      - .actual_access:  write_only
        .address_space:  global
        .offset:         144
        .size:           8
        .value_kind:     global_buffer
      - .offset:         152
        .size:           4
        .value_kind:     by_value
      - .offset:         156
        .size:           4
        .value_kind:     by_value
      - .offset:         160
        .size:           4
        .value_kind:     by_value
      - .offset:         164
        .size:           4
        .value_kind:     by_value
      - .offset:         168
        .size:           1
        .value_kind:     by_value
      - .offset:         169
        .size:           1
        .value_kind:     by_value
      - .offset:         170
        .size:           1
        .value_kind:     by_value
    .group_segment_fixed_size: 0
    .kernarg_segment_align: 8
    .kernarg_segment_size: 172
    .language:       OpenCL C
    .language_version:
      - 2
      - 0
    .max_flat_workgroup_size: 1024
    .name:           _ZN9rocsparseL41csrgemm_numeric_fill_block_per_row_kernelILj1024ELj64ELj4096ELj137ELj32Eli21rocsparse_complex_numIdEEEvT5_PKS3_S5_NS_24const_host_device_scalarIT6_EEPKT4_S5_PKS7_SB_S5_SD_S8_SB_S5_SD_SB_S5_PS7_21rocsparse_index_base_SF_SF_SF_bbb
    .private_segment_fixed_size: 40
    .sgpr_count:     106
    .sgpr_spill_count: 21
    .symbol:         _ZN9rocsparseL41csrgemm_numeric_fill_block_per_row_kernelILj1024ELj64ELj4096ELj137ELj32Eli21rocsparse_complex_numIdEEEvT5_PKS3_S5_NS_24const_host_device_scalarIT6_EEPKT4_S5_PKS7_SB_S5_SD_S8_SB_S5_SD_SB_S5_PS7_21rocsparse_index_base_SF_SF_SF_bbb.kd
    .uniform_work_group_size: 1
    .uses_dynamic_stack: false
    .vgpr_count:     33
    .vgpr_spill_count: 0
    .wavefront_size: 64
  - .agpr_count:     0
    .args:
      - .offset:         0
        .size:           4
        .value_kind:     by_value
      - .actual_access:  read_only
        .address_space:  global
        .offset:         8
        .size:           8
        .value_kind:     global_buffer
      - .actual_access:  read_only
        .address_space:  global
        .offset:         16
        .size:           8
        .value_kind:     global_buffer
      - .offset:         24
        .size:           16
        .value_kind:     by_value
      - .actual_access:  read_only
        .address_space:  global
        .offset:         40
        .size:           8
        .value_kind:     global_buffer
      - .actual_access:  read_only
        .address_space:  global
        .offset:         48
        .size:           8
        .value_kind:     global_buffer
      - .actual_access:  read_only
        .address_space:  global
        .offset:         56
        .size:           8
        .value_kind:     global_buffer
      - .actual_access:  read_only
        .address_space:  global
        .offset:         64
        .size:           8
        .value_kind:     global_buffer
      - .actual_access:  read_only
        .address_space:  global
        .offset:         72
        .size:           8
        .value_kind:     global_buffer
      - .actual_access:  read_only
        .address_space:  global
        .offset:         80
        .size:           8
        .value_kind:     global_buffer
      - .offset:         88
        .size:           16
        .value_kind:     by_value
      - .actual_access:  read_only
        .address_space:  global
        .offset:         104
        .size:           8
        .value_kind:     global_buffer
      - .actual_access:  read_only
        .address_space:  global
        .offset:         112
        .size:           8
        .value_kind:     global_buffer
      - .actual_access:  read_only
        .address_space:  global
        .offset:         120
        .size:           8
        .value_kind:     global_buffer
      - .actual_access:  read_only
        .address_space:  global
        .offset:         128
        .size:           8
        .value_kind:     global_buffer
      - .actual_access:  read_only
        .address_space:  global
        .offset:         136
        .size:           8
        .value_kind:     global_buffer
      - .actual_access:  write_only
        .address_space:  global
        .offset:         144
        .size:           8
        .value_kind:     global_buffer
      - .offset:         152
        .size:           4
        .value_kind:     by_value
      - .offset:         156
        .size:           4
        .value_kind:     by_value
      - .offset:         160
        .size:           4
        .value_kind:     by_value
      - .offset:         164
        .size:           4
        .value_kind:     by_value
      - .offset:         168
        .size:           1
        .value_kind:     by_value
      - .offset:         169
        .size:           1
        .value_kind:     by_value
      - .offset:         170
        .size:           1
        .value_kind:     by_value
    .group_segment_fixed_size: 0
    .kernarg_segment_align: 8
    .kernarg_segment_size: 172
    .language:       OpenCL C
    .language_version:
      - 2
      - 0
    .max_flat_workgroup_size: 1024
    .name:           _ZN9rocsparseL41csrgemm_numeric_fill_block_per_row_kernelILj1024ELj64ELj4096ELj137ELj64Eli21rocsparse_complex_numIdEEEvT5_PKS3_S5_NS_24const_host_device_scalarIT6_EEPKT4_S5_PKS7_SB_S5_SD_S8_SB_S5_SD_SB_S5_PS7_21rocsparse_index_base_SF_SF_SF_bbb
    .private_segment_fixed_size: 40
    .sgpr_count:     67
    .sgpr_spill_count: 0
    .symbol:         _ZN9rocsparseL41csrgemm_numeric_fill_block_per_row_kernelILj1024ELj64ELj4096ELj137ELj64Eli21rocsparse_complex_numIdEEEvT5_PKS3_S5_NS_24const_host_device_scalarIT6_EEPKT4_S5_PKS7_SB_S5_SD_S8_SB_S5_SD_SB_S5_PS7_21rocsparse_index_base_SF_SF_SF_bbb.kd
    .uniform_work_group_size: 1
    .uses_dynamic_stack: false
    .vgpr_count:     33
    .vgpr_spill_count: 0
    .wavefront_size: 64
  - .agpr_count:     0
    .args:
      - .offset:         0
        .size:           4
        .value_kind:     by_value
      - .actual_access:  read_only
        .address_space:  global
        .offset:         8
        .size:           8
        .value_kind:     global_buffer
      - .actual_access:  read_only
        .address_space:  global
        .offset:         16
        .size:           8
        .value_kind:     global_buffer
      - .offset:         24
        .size:           16
        .value_kind:     by_value
      - .actual_access:  read_only
        .address_space:  global
        .offset:         40
        .size:           8
        .value_kind:     global_buffer
      - .actual_access:  read_only
        .address_space:  global
        .offset:         48
        .size:           8
        .value_kind:     global_buffer
      - .actual_access:  read_only
        .address_space:  global
        .offset:         56
        .size:           8
        .value_kind:     global_buffer
      - .actual_access:  read_only
        .address_space:  global
        .offset:         64
        .size:           8
        .value_kind:     global_buffer
      - .actual_access:  read_only
        .address_space:  global
        .offset:         72
        .size:           8
        .value_kind:     global_buffer
      - .actual_access:  read_only
        .address_space:  global
        .offset:         80
        .size:           8
        .value_kind:     global_buffer
      - .offset:         88
        .size:           16
        .value_kind:     by_value
      - .actual_access:  read_only
        .address_space:  global
        .offset:         104
        .size:           8
        .value_kind:     global_buffer
      - .actual_access:  read_only
        .address_space:  global
        .offset:         112
        .size:           8
        .value_kind:     global_buffer
      - .actual_access:  read_only
        .address_space:  global
        .offset:         120
        .size:           8
        .value_kind:     global_buffer
      - .actual_access:  read_only
        .address_space:  global
        .offset:         128
        .size:           8
        .value_kind:     global_buffer
      - .actual_access:  read_only
        .address_space:  global
        .offset:         136
        .size:           8
        .value_kind:     global_buffer
      - .actual_access:  write_only
        .address_space:  global
        .offset:         144
        .size:           8
        .value_kind:     global_buffer
      - .offset:         152
        .size:           4
        .value_kind:     by_value
      - .offset:         156
        .size:           4
        .value_kind:     by_value
      - .offset:         160
        .size:           4
        .value_kind:     by_value
      - .offset:         164
        .size:           4
        .value_kind:     by_value
      - .offset:         168
        .size:           1
        .value_kind:     by_value
      - .offset:         169
        .size:           1
        .value_kind:     by_value
      - .offset:         170
        .size:           1
        .value_kind:     by_value
    .group_segment_fixed_size: 0
    .kernarg_segment_align: 8
    .kernarg_segment_size: 172
    .language:       OpenCL C
    .language_version:
      - 2
      - 0
    .max_flat_workgroup_size: 1024
    .name:           _ZN9rocsparseL41csrgemm_numeric_fill_block_per_row_kernelILj1024ELj64ELj8192ELj137ELj32Eli21rocsparse_complex_numIdEEEvT5_PKS3_S5_NS_24const_host_device_scalarIT6_EEPKT4_S5_PKS7_SB_S5_SD_S8_SB_S5_SD_SB_S5_PS7_21rocsparse_index_base_SF_SF_SF_bbb
    .private_segment_fixed_size: 40
    .sgpr_count:     106
    .sgpr_spill_count: 11
    .symbol:         _ZN9rocsparseL41csrgemm_numeric_fill_block_per_row_kernelILj1024ELj64ELj8192ELj137ELj32Eli21rocsparse_complex_numIdEEEvT5_PKS3_S5_NS_24const_host_device_scalarIT6_EEPKT4_S5_PKS7_SB_S5_SD_S8_SB_S5_SD_SB_S5_PS7_21rocsparse_index_base_SF_SF_SF_bbb.kd
    .uniform_work_group_size: 1
    .uses_dynamic_stack: false
    .vgpr_count:     31
    .vgpr_spill_count: 0
    .wavefront_size: 64
  - .agpr_count:     0
    .args:
      - .offset:         0
        .size:           4
        .value_kind:     by_value
      - .actual_access:  read_only
        .address_space:  global
        .offset:         8
        .size:           8
        .value_kind:     global_buffer
      - .actual_access:  read_only
        .address_space:  global
        .offset:         16
        .size:           8
        .value_kind:     global_buffer
      - .offset:         24
        .size:           16
        .value_kind:     by_value
      - .actual_access:  read_only
        .address_space:  global
        .offset:         40
        .size:           8
        .value_kind:     global_buffer
      - .actual_access:  read_only
        .address_space:  global
        .offset:         48
        .size:           8
        .value_kind:     global_buffer
      - .actual_access:  read_only
        .address_space:  global
        .offset:         56
        .size:           8
        .value_kind:     global_buffer
      - .actual_access:  read_only
        .address_space:  global
        .offset:         64
        .size:           8
        .value_kind:     global_buffer
      - .actual_access:  read_only
        .address_space:  global
        .offset:         72
        .size:           8
        .value_kind:     global_buffer
      - .actual_access:  read_only
        .address_space:  global
        .offset:         80
        .size:           8
        .value_kind:     global_buffer
      - .offset:         88
        .size:           16
        .value_kind:     by_value
      - .actual_access:  read_only
        .address_space:  global
        .offset:         104
        .size:           8
        .value_kind:     global_buffer
      - .actual_access:  read_only
        .address_space:  global
        .offset:         112
        .size:           8
        .value_kind:     global_buffer
      - .actual_access:  read_only
        .address_space:  global
        .offset:         120
        .size:           8
        .value_kind:     global_buffer
      - .actual_access:  read_only
        .address_space:  global
        .offset:         128
        .size:           8
        .value_kind:     global_buffer
      - .actual_access:  read_only
        .address_space:  global
        .offset:         136
        .size:           8
        .value_kind:     global_buffer
      - .actual_access:  write_only
        .address_space:  global
        .offset:         144
        .size:           8
        .value_kind:     global_buffer
      - .offset:         152
        .size:           4
        .value_kind:     by_value
      - .offset:         156
        .size:           4
        .value_kind:     by_value
      - .offset:         160
        .size:           4
        .value_kind:     by_value
      - .offset:         164
        .size:           4
        .value_kind:     by_value
      - .offset:         168
        .size:           1
        .value_kind:     by_value
      - .offset:         169
        .size:           1
        .value_kind:     by_value
      - .offset:         170
        .size:           1
        .value_kind:     by_value
    .group_segment_fixed_size: 0
    .kernarg_segment_align: 8
    .kernarg_segment_size: 172
    .language:       OpenCL C
    .language_version:
      - 2
      - 0
    .max_flat_workgroup_size: 1024
    .name:           _ZN9rocsparseL41csrgemm_numeric_fill_block_per_row_kernelILj1024ELj64ELj8192ELj137ELj64Eli21rocsparse_complex_numIdEEEvT5_PKS3_S5_NS_24const_host_device_scalarIT6_EEPKT4_S5_PKS7_SB_S5_SD_S8_SB_S5_SD_SB_S5_PS7_21rocsparse_index_base_SF_SF_SF_bbb
    .private_segment_fixed_size: 40
    .sgpr_count:     67
    .sgpr_spill_count: 0
    .symbol:         _ZN9rocsparseL41csrgemm_numeric_fill_block_per_row_kernelILj1024ELj64ELj8192ELj137ELj64Eli21rocsparse_complex_numIdEEEvT5_PKS3_S5_NS_24const_host_device_scalarIT6_EEPKT4_S5_PKS7_SB_S5_SD_S8_SB_S5_SD_SB_S5_PS7_21rocsparse_index_base_SF_SF_SF_bbb.kd
    .uniform_work_group_size: 1
    .uses_dynamic_stack: false
    .vgpr_count:     31
    .vgpr_spill_count: 0
    .wavefront_size: 64
  - .agpr_count:     0
    .args:
      - .offset:         0
        .size:           4
        .value_kind:     by_value
      - .actual_access:  read_only
        .address_space:  global
        .offset:         8
        .size:           8
        .value_kind:     global_buffer
      - .actual_access:  read_only
        .address_space:  global
        .offset:         16
        .size:           8
        .value_kind:     global_buffer
      - .offset:         24
        .size:           16
        .value_kind:     by_value
      - .actual_access:  read_only
        .address_space:  global
        .offset:         40
        .size:           8
        .value_kind:     global_buffer
      - .actual_access:  read_only
        .address_space:  global
        .offset:         48
        .size:           8
        .value_kind:     global_buffer
      - .actual_access:  read_only
        .address_space:  global
        .offset:         56
        .size:           8
        .value_kind:     global_buffer
      - .actual_access:  read_only
        .address_space:  global
        .offset:         64
        .size:           8
        .value_kind:     global_buffer
      - .actual_access:  read_only
        .address_space:  global
        .offset:         72
        .size:           8
        .value_kind:     global_buffer
      - .actual_access:  read_only
        .address_space:  global
        .offset:         80
        .size:           8
        .value_kind:     global_buffer
      - .offset:         88
        .size:           16
        .value_kind:     by_value
      - .actual_access:  read_only
        .address_space:  global
        .offset:         104
        .size:           8
        .value_kind:     global_buffer
      - .actual_access:  read_only
        .address_space:  global
        .offset:         112
        .size:           8
        .value_kind:     global_buffer
      - .actual_access:  read_only
        .address_space:  global
        .offset:         120
        .size:           8
        .value_kind:     global_buffer
      - .actual_access:  read_only
        .address_space:  global
        .offset:         128
        .size:           8
        .value_kind:     global_buffer
      - .actual_access:  read_only
        .address_space:  global
        .offset:         136
        .size:           8
        .value_kind:     global_buffer
      - .actual_access:  write_only
        .address_space:  global
        .offset:         144
        .size:           8
        .value_kind:     global_buffer
      - .offset:         152
        .size:           4
        .value_kind:     by_value
      - .offset:         156
        .size:           4
        .value_kind:     by_value
      - .offset:         160
        .size:           4
        .value_kind:     by_value
      - .offset:         164
        .size:           4
        .value_kind:     by_value
      - .offset:         168
        .size:           1
        .value_kind:     by_value
      - .offset:         169
        .size:           1
        .value_kind:     by_value
      - .offset:         170
        .size:           1
        .value_kind:     by_value
    .group_segment_fixed_size: 0
    .kernarg_segment_align: 8
    .kernarg_segment_size: 172
    .language:       OpenCL C
    .language_version:
      - 2
      - 0
    .max_flat_workgroup_size: 1024
    .name:           _ZN9rocsparseL41csrgemm_numeric_fill_block_per_row_kernelILj1024ELj64ELj16384ELj137ELj32Eli21rocsparse_complex_numIdEEEvT5_PKS3_S5_NS_24const_host_device_scalarIT6_EEPKT4_S5_PKS7_SB_S5_SD_S8_SB_S5_SD_SB_S5_PS7_21rocsparse_index_base_SF_SF_SF_bbb
    .private_segment_fixed_size: 40
    .sgpr_count:     106
    .sgpr_spill_count: 21
    .symbol:         _ZN9rocsparseL41csrgemm_numeric_fill_block_per_row_kernelILj1024ELj64ELj16384ELj137ELj32Eli21rocsparse_complex_numIdEEEvT5_PKS3_S5_NS_24const_host_device_scalarIT6_EEPKT4_S5_PKS7_SB_S5_SD_S8_SB_S5_SD_SB_S5_PS7_21rocsparse_index_base_SF_SF_SF_bbb.kd
    .uniform_work_group_size: 1
    .uses_dynamic_stack: false
    .vgpr_count:     33
    .vgpr_spill_count: 0
    .wavefront_size: 64
  - .agpr_count:     0
    .args:
      - .offset:         0
        .size:           4
        .value_kind:     by_value
      - .actual_access:  read_only
        .address_space:  global
        .offset:         8
        .size:           8
        .value_kind:     global_buffer
      - .actual_access:  read_only
        .address_space:  global
        .offset:         16
        .size:           8
        .value_kind:     global_buffer
      - .offset:         24
        .size:           16
        .value_kind:     by_value
      - .actual_access:  read_only
        .address_space:  global
        .offset:         40
        .size:           8
        .value_kind:     global_buffer
      - .actual_access:  read_only
        .address_space:  global
        .offset:         48
        .size:           8
        .value_kind:     global_buffer
      - .actual_access:  read_only
        .address_space:  global
        .offset:         56
        .size:           8
        .value_kind:     global_buffer
      - .actual_access:  read_only
        .address_space:  global
        .offset:         64
        .size:           8
        .value_kind:     global_buffer
      - .actual_access:  read_only
        .address_space:  global
        .offset:         72
        .size:           8
        .value_kind:     global_buffer
      - .actual_access:  read_only
        .address_space:  global
        .offset:         80
        .size:           8
        .value_kind:     global_buffer
      - .offset:         88
        .size:           16
        .value_kind:     by_value
      - .actual_access:  read_only
        .address_space:  global
        .offset:         104
        .size:           8
        .value_kind:     global_buffer
      - .actual_access:  read_only
        .address_space:  global
        .offset:         112
        .size:           8
        .value_kind:     global_buffer
      - .actual_access:  read_only
        .address_space:  global
        .offset:         120
        .size:           8
        .value_kind:     global_buffer
      - .actual_access:  read_only
        .address_space:  global
        .offset:         128
        .size:           8
        .value_kind:     global_buffer
      - .actual_access:  read_only
        .address_space:  global
        .offset:         136
        .size:           8
        .value_kind:     global_buffer
      - .actual_access:  write_only
        .address_space:  global
        .offset:         144
        .size:           8
        .value_kind:     global_buffer
      - .offset:         152
        .size:           4
        .value_kind:     by_value
      - .offset:         156
        .size:           4
        .value_kind:     by_value
      - .offset:         160
        .size:           4
        .value_kind:     by_value
      - .offset:         164
        .size:           4
        .value_kind:     by_value
      - .offset:         168
        .size:           1
        .value_kind:     by_value
      - .offset:         169
        .size:           1
        .value_kind:     by_value
      - .offset:         170
        .size:           1
        .value_kind:     by_value
    .group_segment_fixed_size: 0
    .kernarg_segment_align: 8
    .kernarg_segment_size: 172
    .language:       OpenCL C
    .language_version:
      - 2
      - 0
    .max_flat_workgroup_size: 1024
    .name:           _ZN9rocsparseL41csrgemm_numeric_fill_block_per_row_kernelILj1024ELj64ELj16384ELj137ELj64Eli21rocsparse_complex_numIdEEEvT5_PKS3_S5_NS_24const_host_device_scalarIT6_EEPKT4_S5_PKS7_SB_S5_SD_S8_SB_S5_SD_SB_S5_PS7_21rocsparse_index_base_SF_SF_SF_bbb
    .private_segment_fixed_size: 40
    .sgpr_count:     67
    .sgpr_spill_count: 0
    .symbol:         _ZN9rocsparseL41csrgemm_numeric_fill_block_per_row_kernelILj1024ELj64ELj16384ELj137ELj64Eli21rocsparse_complex_numIdEEEvT5_PKS3_S5_NS_24const_host_device_scalarIT6_EEPKT4_S5_PKS7_SB_S5_SD_S8_SB_S5_SD_SB_S5_PS7_21rocsparse_index_base_SF_SF_SF_bbb.kd
    .uniform_work_group_size: 1
    .uses_dynamic_stack: false
    .vgpr_count:     33
    .vgpr_spill_count: 0
    .wavefront_size: 64
  - .agpr_count:     0
    .args:
      - .offset:         0
        .size:           4
        .value_kind:     by_value
      - .actual_access:  read_only
        .address_space:  global
        .offset:         8
        .size:           8
        .value_kind:     global_buffer
      - .actual_access:  read_only
        .address_space:  global
        .offset:         16
        .size:           8
        .value_kind:     global_buffer
      - .offset:         24
        .size:           16
        .value_kind:     by_value
      - .actual_access:  read_only
        .address_space:  global
        .offset:         40
        .size:           8
        .value_kind:     global_buffer
      - .actual_access:  read_only
        .address_space:  global
        .offset:         48
        .size:           8
        .value_kind:     global_buffer
      - .actual_access:  read_only
        .address_space:  global
        .offset:         56
        .size:           8
        .value_kind:     global_buffer
      - .actual_access:  read_only
        .address_space:  global
        .offset:         64
        .size:           8
        .value_kind:     global_buffer
      - .actual_access:  read_only
        .address_space:  global
        .offset:         72
        .size:           8
        .value_kind:     global_buffer
      - .actual_access:  read_only
        .address_space:  global
        .offset:         80
        .size:           8
        .value_kind:     global_buffer
      - .offset:         88
        .size:           16
        .value_kind:     by_value
      - .actual_access:  read_only
        .address_space:  global
        .offset:         104
        .size:           8
        .value_kind:     global_buffer
      - .actual_access:  read_only
        .address_space:  global
        .offset:         112
        .size:           8
        .value_kind:     global_buffer
      - .actual_access:  read_only
        .address_space:  global
        .offset:         120
        .size:           8
        .value_kind:     global_buffer
      - .actual_access:  read_only
        .address_space:  global
        .offset:         128
        .size:           8
        .value_kind:     global_buffer
      - .actual_access:  read_only
        .address_space:  global
        .offset:         136
        .size:           8
        .value_kind:     global_buffer
      - .actual_access:  write_only
        .address_space:  global
        .offset:         144
        .size:           8
        .value_kind:     global_buffer
      - .offset:         152
        .size:           4
        .value_kind:     by_value
      - .offset:         156
        .size:           4
        .value_kind:     by_value
      - .offset:         160
        .size:           4
        .value_kind:     by_value
      - .offset:         164
        .size:           4
        .value_kind:     by_value
      - .offset:         168
        .size:           1
        .value_kind:     by_value
      - .offset:         169
        .size:           1
        .value_kind:     by_value
      - .offset:         170
        .size:           1
        .value_kind:     by_value
    .group_segment_fixed_size: 0
    .kernarg_segment_align: 8
    .kernarg_segment_size: 172
    .language:       OpenCL C
    .language_version:
      - 2
      - 0
    .max_flat_workgroup_size: 1024
    .name:           _ZN9rocsparseL41csrgemm_numeric_fill_block_per_row_kernelILj1024ELj64ELj32768ELj137ELj32Eli21rocsparse_complex_numIdEEEvT5_PKS3_S5_NS_24const_host_device_scalarIT6_EEPKT4_S5_PKS7_SB_S5_SD_S8_SB_S5_SD_SB_S5_PS7_21rocsparse_index_base_SF_SF_SF_bbb
    .private_segment_fixed_size: 40
    .sgpr_count:     106
    .sgpr_spill_count: 21
    .symbol:         _ZN9rocsparseL41csrgemm_numeric_fill_block_per_row_kernelILj1024ELj64ELj32768ELj137ELj32Eli21rocsparse_complex_numIdEEEvT5_PKS3_S5_NS_24const_host_device_scalarIT6_EEPKT4_S5_PKS7_SB_S5_SD_S8_SB_S5_SD_SB_S5_PS7_21rocsparse_index_base_SF_SF_SF_bbb.kd
    .uniform_work_group_size: 1
    .uses_dynamic_stack: false
    .vgpr_count:     33
    .vgpr_spill_count: 0
    .wavefront_size: 64
  - .agpr_count:     0
    .args:
      - .offset:         0
        .size:           4
        .value_kind:     by_value
      - .actual_access:  read_only
        .address_space:  global
        .offset:         8
        .size:           8
        .value_kind:     global_buffer
      - .actual_access:  read_only
        .address_space:  global
        .offset:         16
        .size:           8
        .value_kind:     global_buffer
      - .offset:         24
        .size:           16
        .value_kind:     by_value
      - .actual_access:  read_only
        .address_space:  global
        .offset:         40
        .size:           8
        .value_kind:     global_buffer
      - .actual_access:  read_only
        .address_space:  global
        .offset:         48
        .size:           8
        .value_kind:     global_buffer
      - .actual_access:  read_only
        .address_space:  global
        .offset:         56
        .size:           8
        .value_kind:     global_buffer
      - .actual_access:  read_only
        .address_space:  global
        .offset:         64
        .size:           8
        .value_kind:     global_buffer
      - .actual_access:  read_only
        .address_space:  global
        .offset:         72
        .size:           8
        .value_kind:     global_buffer
      - .actual_access:  read_only
        .address_space:  global
        .offset:         80
        .size:           8
        .value_kind:     global_buffer
      - .offset:         88
        .size:           16
        .value_kind:     by_value
      - .actual_access:  read_only
        .address_space:  global
        .offset:         104
        .size:           8
        .value_kind:     global_buffer
      - .actual_access:  read_only
        .address_space:  global
        .offset:         112
        .size:           8
        .value_kind:     global_buffer
      - .actual_access:  read_only
        .address_space:  global
        .offset:         120
        .size:           8
        .value_kind:     global_buffer
      - .actual_access:  read_only
        .address_space:  global
        .offset:         128
        .size:           8
        .value_kind:     global_buffer
      - .actual_access:  read_only
        .address_space:  global
        .offset:         136
        .size:           8
        .value_kind:     global_buffer
      - .actual_access:  write_only
        .address_space:  global
        .offset:         144
        .size:           8
        .value_kind:     global_buffer
      - .offset:         152
        .size:           4
        .value_kind:     by_value
      - .offset:         156
        .size:           4
        .value_kind:     by_value
      - .offset:         160
        .size:           4
        .value_kind:     by_value
      - .offset:         164
        .size:           4
        .value_kind:     by_value
      - .offset:         168
        .size:           1
        .value_kind:     by_value
      - .offset:         169
        .size:           1
        .value_kind:     by_value
      - .offset:         170
        .size:           1
        .value_kind:     by_value
    .group_segment_fixed_size: 0
    .kernarg_segment_align: 8
    .kernarg_segment_size: 172
    .language:       OpenCL C
    .language_version:
      - 2
      - 0
    .max_flat_workgroup_size: 1024
    .name:           _ZN9rocsparseL41csrgemm_numeric_fill_block_per_row_kernelILj1024ELj64ELj32768ELj137ELj64Eli21rocsparse_complex_numIdEEEvT5_PKS3_S5_NS_24const_host_device_scalarIT6_EEPKT4_S5_PKS7_SB_S5_SD_S8_SB_S5_SD_SB_S5_PS7_21rocsparse_index_base_SF_SF_SF_bbb
    .private_segment_fixed_size: 40
    .sgpr_count:     67
    .sgpr_spill_count: 0
    .symbol:         _ZN9rocsparseL41csrgemm_numeric_fill_block_per_row_kernelILj1024ELj64ELj32768ELj137ELj64Eli21rocsparse_complex_numIdEEEvT5_PKS3_S5_NS_24const_host_device_scalarIT6_EEPKT4_S5_PKS7_SB_S5_SD_S8_SB_S5_SD_SB_S5_PS7_21rocsparse_index_base_SF_SF_SF_bbb.kd
    .uniform_work_group_size: 1
    .uses_dynamic_stack: false
    .vgpr_count:     33
    .vgpr_spill_count: 0
    .wavefront_size: 64
  - .agpr_count:     0
    .args:
      - .offset:         0
        .size:           4
        .value_kind:     by_value
      - .actual_access:  read_only
        .address_space:  global
        .offset:         8
        .size:           8
        .value_kind:     global_buffer
      - .actual_access:  read_only
        .address_space:  global
        .offset:         16
        .size:           8
        .value_kind:     global_buffer
      - .offset:         24
        .size:           16
        .value_kind:     by_value
      - .actual_access:  read_only
        .address_space:  global
        .offset:         40
        .size:           8
        .value_kind:     global_buffer
      - .actual_access:  read_only
        .address_space:  global
        .offset:         48
        .size:           8
        .value_kind:     global_buffer
      - .actual_access:  read_only
        .address_space:  global
        .offset:         56
        .size:           8
        .value_kind:     global_buffer
      - .actual_access:  read_only
        .address_space:  global
        .offset:         64
        .size:           8
        .value_kind:     global_buffer
      - .actual_access:  read_only
        .address_space:  global
        .offset:         72
        .size:           8
        .value_kind:     global_buffer
      - .actual_access:  read_only
        .address_space:  global
        .offset:         80
        .size:           8
        .value_kind:     global_buffer
      - .offset:         88
        .size:           16
        .value_kind:     by_value
      - .actual_access:  read_only
        .address_space:  global
        .offset:         104
        .size:           8
        .value_kind:     global_buffer
      - .actual_access:  read_only
        .address_space:  global
        .offset:         112
        .size:           8
        .value_kind:     global_buffer
      - .actual_access:  read_only
        .address_space:  global
        .offset:         120
        .size:           8
        .value_kind:     global_buffer
      - .actual_access:  read_only
        .address_space:  global
        .offset:         128
        .size:           8
        .value_kind:     global_buffer
      - .actual_access:  read_only
        .address_space:  global
        .offset:         136
        .size:           8
        .value_kind:     global_buffer
      - .actual_access:  write_only
        .address_space:  global
        .offset:         144
        .size:           8
        .value_kind:     global_buffer
      - .address_space:  global
        .offset:         152
        .size:           8
        .value_kind:     global_buffer
      - .offset:         160
        .size:           4
        .value_kind:     by_value
      - .offset:         164
        .size:           4
        .value_kind:     by_value
      - .offset:         168
        .size:           4
        .value_kind:     by_value
      - .offset:         172
        .size:           4
        .value_kind:     by_value
      - .offset:         176
        .size:           1
        .value_kind:     by_value
      - .offset:         177
        .size:           1
        .value_kind:     by_value
      - .offset:         178
        .size:           1
        .value_kind:     by_value
    .group_segment_fixed_size: 34824
    .kernarg_segment_align: 8
    .kernarg_segment_size: 180
    .language:       OpenCL C
    .language_version:
      - 2
      - 0
    .max_flat_workgroup_size: 512
    .name:           _ZN9rocsparseL51csrgemm_numeric_fill_block_per_row_multipass_kernelILj512ELj16ELj2048ELj32Eli21rocsparse_complex_numIdEEEvT4_PKS3_S5_NS_24const_host_device_scalarIT5_EEPKT3_S5_PKS7_SB_S5_SD_S8_SB_S5_SD_SB_S5_PS7_PS9_21rocsparse_index_base_SG_SG_SG_bbb
    .private_segment_fixed_size: 40
    .sgpr_count:     104
    .sgpr_spill_count: 0
    .symbol:         _ZN9rocsparseL51csrgemm_numeric_fill_block_per_row_multipass_kernelILj512ELj16ELj2048ELj32Eli21rocsparse_complex_numIdEEEvT4_PKS3_S5_NS_24const_host_device_scalarIT5_EEPKT3_S5_PKS7_SB_S5_SD_S8_SB_S5_SD_SB_S5_PS7_PS9_21rocsparse_index_base_SG_SG_SG_bbb.kd
    .uniform_work_group_size: 1
    .uses_dynamic_stack: false
    .vgpr_count:     56
    .vgpr_spill_count: 0
    .wavefront_size: 64
  - .agpr_count:     0
    .args:
      - .offset:         0
        .size:           4
        .value_kind:     by_value
      - .actual_access:  read_only
        .address_space:  global
        .offset:         8
        .size:           8
        .value_kind:     global_buffer
      - .actual_access:  read_only
        .address_space:  global
        .offset:         16
        .size:           8
        .value_kind:     global_buffer
      - .offset:         24
        .size:           16
        .value_kind:     by_value
      - .actual_access:  read_only
        .address_space:  global
        .offset:         40
        .size:           8
        .value_kind:     global_buffer
      - .actual_access:  read_only
        .address_space:  global
        .offset:         48
        .size:           8
        .value_kind:     global_buffer
      - .actual_access:  read_only
        .address_space:  global
        .offset:         56
        .size:           8
        .value_kind:     global_buffer
      - .actual_access:  read_only
        .address_space:  global
        .offset:         64
        .size:           8
        .value_kind:     global_buffer
      - .actual_access:  read_only
        .address_space:  global
        .offset:         72
        .size:           8
        .value_kind:     global_buffer
      - .actual_access:  read_only
        .address_space:  global
        .offset:         80
        .size:           8
        .value_kind:     global_buffer
      - .offset:         88
        .size:           16
        .value_kind:     by_value
      - .actual_access:  read_only
        .address_space:  global
        .offset:         104
        .size:           8
        .value_kind:     global_buffer
      - .actual_access:  read_only
        .address_space:  global
        .offset:         112
        .size:           8
        .value_kind:     global_buffer
      - .actual_access:  read_only
        .address_space:  global
        .offset:         120
        .size:           8
        .value_kind:     global_buffer
      - .actual_access:  read_only
        .address_space:  global
        .offset:         128
        .size:           8
        .value_kind:     global_buffer
      - .actual_access:  read_only
        .address_space:  global
        .offset:         136
        .size:           8
        .value_kind:     global_buffer
      - .actual_access:  write_only
        .address_space:  global
        .offset:         144
        .size:           8
        .value_kind:     global_buffer
      - .address_space:  global
        .offset:         152
        .size:           8
        .value_kind:     global_buffer
      - .offset:         160
        .size:           4
        .value_kind:     by_value
      - .offset:         164
        .size:           4
        .value_kind:     by_value
      - .offset:         168
        .size:           4
        .value_kind:     by_value
      - .offset:         172
        .size:           4
        .value_kind:     by_value
      - .offset:         176
        .size:           1
        .value_kind:     by_value
      - .offset:         177
        .size:           1
        .value_kind:     by_value
      - .offset:         178
        .size:           1
        .value_kind:     by_value
    .group_segment_fixed_size: 34824
    .kernarg_segment_align: 8
    .kernarg_segment_size: 180
    .language:       OpenCL C
    .language_version:
      - 2
      - 0
    .max_flat_workgroup_size: 512
    .name:           _ZN9rocsparseL51csrgemm_numeric_fill_block_per_row_multipass_kernelILj512ELj16ELj2048ELj64Eli21rocsparse_complex_numIdEEEvT4_PKS3_S5_NS_24const_host_device_scalarIT5_EEPKT3_S5_PKS7_SB_S5_SD_S8_SB_S5_SD_SB_S5_PS7_PS9_21rocsparse_index_base_SG_SG_SG_bbb
    .private_segment_fixed_size: 40
    .sgpr_count:     88
    .sgpr_spill_count: 0
    .symbol:         _ZN9rocsparseL51csrgemm_numeric_fill_block_per_row_multipass_kernelILj512ELj16ELj2048ELj64Eli21rocsparse_complex_numIdEEEvT4_PKS3_S5_NS_24const_host_device_scalarIT5_EEPKT3_S5_PKS7_SB_S5_SD_S8_SB_S5_SD_SB_S5_PS7_PS9_21rocsparse_index_base_SG_SG_SG_bbb.kd
    .uniform_work_group_size: 1
    .uses_dynamic_stack: false
    .vgpr_count:     56
    .vgpr_spill_count: 0
    .wavefront_size: 64
amdhsa.target:   amdgcn-amd-amdhsa--gfx950
amdhsa.version:
  - 1
  - 2
...

	.end_amdgpu_metadata
